;; amdgpu-corpus repo=ROCm/rocThrust kind=compiled arch=gfx1100 opt=O3
	.text
	.amdgcn_target "amdgcn-amd-amdhsa--gfx1100"
	.amdhsa_code_object_version 6
	.section	.text._ZN6thrust23THRUST_200600_302600_NS11hip_rocprim14__parallel_for6kernelILj256ENS1_20__uninitialized_fill7functorINS0_10device_ptrIdEEdEEmLj1EEEvT0_T1_SA_,"axG",@progbits,_ZN6thrust23THRUST_200600_302600_NS11hip_rocprim14__parallel_for6kernelILj256ENS1_20__uninitialized_fill7functorINS0_10device_ptrIdEEdEEmLj1EEEvT0_T1_SA_,comdat
	.protected	_ZN6thrust23THRUST_200600_302600_NS11hip_rocprim14__parallel_for6kernelILj256ENS1_20__uninitialized_fill7functorINS0_10device_ptrIdEEdEEmLj1EEEvT0_T1_SA_ ; -- Begin function _ZN6thrust23THRUST_200600_302600_NS11hip_rocprim14__parallel_for6kernelILj256ENS1_20__uninitialized_fill7functorINS0_10device_ptrIdEEdEEmLj1EEEvT0_T1_SA_
	.globl	_ZN6thrust23THRUST_200600_302600_NS11hip_rocprim14__parallel_for6kernelILj256ENS1_20__uninitialized_fill7functorINS0_10device_ptrIdEEdEEmLj1EEEvT0_T1_SA_
	.p2align	8
	.type	_ZN6thrust23THRUST_200600_302600_NS11hip_rocprim14__parallel_for6kernelILj256ENS1_20__uninitialized_fill7functorINS0_10device_ptrIdEEdEEmLj1EEEvT0_T1_SA_,@function
_ZN6thrust23THRUST_200600_302600_NS11hip_rocprim14__parallel_for6kernelILj256ENS1_20__uninitialized_fill7functorINS0_10device_ptrIdEEdEEmLj1EEEvT0_T1_SA_: ; @_ZN6thrust23THRUST_200600_302600_NS11hip_rocprim14__parallel_for6kernelILj256ENS1_20__uninitialized_fill7functorINS0_10device_ptrIdEEdEEmLj1EEEvT0_T1_SA_
; %bb.0:
	s_load_b256 s[0:7], s[0:1], 0x0
	s_lshl_b32 s8, s15, 8
	s_waitcnt lgkmcnt(0)
	s_add_u32 s6, s8, s6
	s_addc_u32 s7, 0, s7
	s_sub_u32 s4, s4, s6
	s_subb_u32 s5, s5, s7
	s_delay_alu instid0(SALU_CYCLE_1) | instskip(NEXT) | instid1(VALU_DEP_1)
	v_cmp_gt_u64_e64 s5, 0x100, s[4:5]
	s_and_b32 vcc_lo, exec_lo, s5
	s_mov_b32 s5, 0
	s_cbranch_vccz .LBB0_2
; %bb.1:
	v_cmp_gt_u32_e32 vcc_lo, s4, v0
	s_and_b32 s5, vcc_lo, exec_lo
	s_cbranch_execz .LBB0_3
	s_branch .LBB0_4
.LBB0_2:
.LBB0_3:
	s_or_b32 s5, s5, exec_lo
.LBB0_4:
	s_delay_alu instid0(SALU_CYCLE_1)
	s_and_saveexec_b32 s4, s5
	s_cbranch_execnz .LBB0_6
; %bb.5:
	s_endpgm
.LBB0_6:
	v_dual_mov_b32 v1, 0 :: v_dual_mov_b32 v2, s2
	s_lshl_b64 s[4:5], s[6:7], 3
	v_mov_b32_e32 v3, s3
	s_add_u32 s0, s0, s4
	s_delay_alu instid0(VALU_DEP_2) | instskip(SKIP_1) | instid1(VALU_DEP_1)
	v_lshlrev_b64 v[0:1], 3, v[0:1]
	s_addc_u32 s1, s1, s5
	v_add_co_u32 v0, vcc_lo, s0, v0
	s_delay_alu instid0(VALU_DEP_2)
	v_add_co_ci_u32_e32 v1, vcc_lo, s1, v1, vcc_lo
	flat_store_b64 v[0:1], v[2:3]
	s_endpgm
	.section	.rodata,"a",@progbits
	.p2align	6, 0x0
	.amdhsa_kernel _ZN6thrust23THRUST_200600_302600_NS11hip_rocprim14__parallel_for6kernelILj256ENS1_20__uninitialized_fill7functorINS0_10device_ptrIdEEdEEmLj1EEEvT0_T1_SA_
		.amdhsa_group_segment_fixed_size 0
		.amdhsa_private_segment_fixed_size 0
		.amdhsa_kernarg_size 32
		.amdhsa_user_sgpr_count 15
		.amdhsa_user_sgpr_dispatch_ptr 0
		.amdhsa_user_sgpr_queue_ptr 0
		.amdhsa_user_sgpr_kernarg_segment_ptr 1
		.amdhsa_user_sgpr_dispatch_id 0
		.amdhsa_user_sgpr_private_segment_size 0
		.amdhsa_wavefront_size32 1
		.amdhsa_uses_dynamic_stack 0
		.amdhsa_enable_private_segment 0
		.amdhsa_system_sgpr_workgroup_id_x 1
		.amdhsa_system_sgpr_workgroup_id_y 0
		.amdhsa_system_sgpr_workgroup_id_z 0
		.amdhsa_system_sgpr_workgroup_info 0
		.amdhsa_system_vgpr_workitem_id 0
		.amdhsa_next_free_vgpr 4
		.amdhsa_next_free_sgpr 16
		.amdhsa_reserve_vcc 1
		.amdhsa_float_round_mode_32 0
		.amdhsa_float_round_mode_16_64 0
		.amdhsa_float_denorm_mode_32 3
		.amdhsa_float_denorm_mode_16_64 3
		.amdhsa_dx10_clamp 1
		.amdhsa_ieee_mode 1
		.amdhsa_fp16_overflow 0
		.amdhsa_workgroup_processor_mode 1
		.amdhsa_memory_ordered 1
		.amdhsa_forward_progress 0
		.amdhsa_shared_vgpr_count 0
		.amdhsa_exception_fp_ieee_invalid_op 0
		.amdhsa_exception_fp_denorm_src 0
		.amdhsa_exception_fp_ieee_div_zero 0
		.amdhsa_exception_fp_ieee_overflow 0
		.amdhsa_exception_fp_ieee_underflow 0
		.amdhsa_exception_fp_ieee_inexact 0
		.amdhsa_exception_int_div_zero 0
	.end_amdhsa_kernel
	.section	.text._ZN6thrust23THRUST_200600_302600_NS11hip_rocprim14__parallel_for6kernelILj256ENS1_20__uninitialized_fill7functorINS0_10device_ptrIdEEdEEmLj1EEEvT0_T1_SA_,"axG",@progbits,_ZN6thrust23THRUST_200600_302600_NS11hip_rocprim14__parallel_for6kernelILj256ENS1_20__uninitialized_fill7functorINS0_10device_ptrIdEEdEEmLj1EEEvT0_T1_SA_,comdat
.Lfunc_end0:
	.size	_ZN6thrust23THRUST_200600_302600_NS11hip_rocprim14__parallel_for6kernelILj256ENS1_20__uninitialized_fill7functorINS0_10device_ptrIdEEdEEmLj1EEEvT0_T1_SA_, .Lfunc_end0-_ZN6thrust23THRUST_200600_302600_NS11hip_rocprim14__parallel_for6kernelILj256ENS1_20__uninitialized_fill7functorINS0_10device_ptrIdEEdEEmLj1EEEvT0_T1_SA_
                                        ; -- End function
	.section	.AMDGPU.csdata,"",@progbits
; Kernel info:
; codeLenInByte = 160
; NumSgprs: 18
; NumVgprs: 4
; ScratchSize: 0
; MemoryBound: 0
; FloatMode: 240
; IeeeMode: 1
; LDSByteSize: 0 bytes/workgroup (compile time only)
; SGPRBlocks: 2
; VGPRBlocks: 0
; NumSGPRsForWavesPerEU: 18
; NumVGPRsForWavesPerEU: 4
; Occupancy: 16
; WaveLimiterHint : 0
; COMPUTE_PGM_RSRC2:SCRATCH_EN: 0
; COMPUTE_PGM_RSRC2:USER_SGPR: 15
; COMPUTE_PGM_RSRC2:TRAP_HANDLER: 0
; COMPUTE_PGM_RSRC2:TGID_X_EN: 1
; COMPUTE_PGM_RSRC2:TGID_Y_EN: 0
; COMPUTE_PGM_RSRC2:TGID_Z_EN: 0
; COMPUTE_PGM_RSRC2:TIDIG_COMP_CNT: 0
	.section	.text._ZN6thrust23THRUST_200600_302600_NS11hip_rocprim14__parallel_for6kernelILj256ENS1_20__uninitialized_fill7functorINS0_10device_ptrIlEElEEmLj1EEEvT0_T1_SA_,"axG",@progbits,_ZN6thrust23THRUST_200600_302600_NS11hip_rocprim14__parallel_for6kernelILj256ENS1_20__uninitialized_fill7functorINS0_10device_ptrIlEElEEmLj1EEEvT0_T1_SA_,comdat
	.protected	_ZN6thrust23THRUST_200600_302600_NS11hip_rocprim14__parallel_for6kernelILj256ENS1_20__uninitialized_fill7functorINS0_10device_ptrIlEElEEmLj1EEEvT0_T1_SA_ ; -- Begin function _ZN6thrust23THRUST_200600_302600_NS11hip_rocprim14__parallel_for6kernelILj256ENS1_20__uninitialized_fill7functorINS0_10device_ptrIlEElEEmLj1EEEvT0_T1_SA_
	.globl	_ZN6thrust23THRUST_200600_302600_NS11hip_rocprim14__parallel_for6kernelILj256ENS1_20__uninitialized_fill7functorINS0_10device_ptrIlEElEEmLj1EEEvT0_T1_SA_
	.p2align	8
	.type	_ZN6thrust23THRUST_200600_302600_NS11hip_rocprim14__parallel_for6kernelILj256ENS1_20__uninitialized_fill7functorINS0_10device_ptrIlEElEEmLj1EEEvT0_T1_SA_,@function
_ZN6thrust23THRUST_200600_302600_NS11hip_rocprim14__parallel_for6kernelILj256ENS1_20__uninitialized_fill7functorINS0_10device_ptrIlEElEEmLj1EEEvT0_T1_SA_: ; @_ZN6thrust23THRUST_200600_302600_NS11hip_rocprim14__parallel_for6kernelILj256ENS1_20__uninitialized_fill7functorINS0_10device_ptrIlEElEEmLj1EEEvT0_T1_SA_
; %bb.0:
	s_load_b256 s[0:7], s[0:1], 0x0
	s_lshl_b32 s8, s15, 8
	s_waitcnt lgkmcnt(0)
	s_add_u32 s6, s8, s6
	s_addc_u32 s7, 0, s7
	s_sub_u32 s4, s4, s6
	s_subb_u32 s5, s5, s7
	s_delay_alu instid0(SALU_CYCLE_1) | instskip(NEXT) | instid1(VALU_DEP_1)
	v_cmp_gt_u64_e64 s5, 0x100, s[4:5]
	s_and_b32 vcc_lo, exec_lo, s5
	s_mov_b32 s5, 0
	s_cbranch_vccz .LBB1_2
; %bb.1:
	v_cmp_gt_u32_e32 vcc_lo, s4, v0
	s_and_b32 s5, vcc_lo, exec_lo
	s_cbranch_execz .LBB1_3
	s_branch .LBB1_4
.LBB1_2:
.LBB1_3:
	s_or_b32 s5, s5, exec_lo
.LBB1_4:
	s_delay_alu instid0(SALU_CYCLE_1)
	s_and_saveexec_b32 s4, s5
	s_cbranch_execnz .LBB1_6
; %bb.5:
	s_endpgm
.LBB1_6:
	v_dual_mov_b32 v1, 0 :: v_dual_mov_b32 v2, s2
	s_lshl_b64 s[4:5], s[6:7], 3
	v_mov_b32_e32 v3, s3
	s_add_u32 s0, s0, s4
	s_delay_alu instid0(VALU_DEP_2) | instskip(SKIP_1) | instid1(VALU_DEP_1)
	v_lshlrev_b64 v[0:1], 3, v[0:1]
	s_addc_u32 s1, s1, s5
	v_add_co_u32 v0, vcc_lo, s0, v0
	s_delay_alu instid0(VALU_DEP_2)
	v_add_co_ci_u32_e32 v1, vcc_lo, s1, v1, vcc_lo
	flat_store_b64 v[0:1], v[2:3]
	s_endpgm
	.section	.rodata,"a",@progbits
	.p2align	6, 0x0
	.amdhsa_kernel _ZN6thrust23THRUST_200600_302600_NS11hip_rocprim14__parallel_for6kernelILj256ENS1_20__uninitialized_fill7functorINS0_10device_ptrIlEElEEmLj1EEEvT0_T1_SA_
		.amdhsa_group_segment_fixed_size 0
		.amdhsa_private_segment_fixed_size 0
		.amdhsa_kernarg_size 32
		.amdhsa_user_sgpr_count 15
		.amdhsa_user_sgpr_dispatch_ptr 0
		.amdhsa_user_sgpr_queue_ptr 0
		.amdhsa_user_sgpr_kernarg_segment_ptr 1
		.amdhsa_user_sgpr_dispatch_id 0
		.amdhsa_user_sgpr_private_segment_size 0
		.amdhsa_wavefront_size32 1
		.amdhsa_uses_dynamic_stack 0
		.amdhsa_enable_private_segment 0
		.amdhsa_system_sgpr_workgroup_id_x 1
		.amdhsa_system_sgpr_workgroup_id_y 0
		.amdhsa_system_sgpr_workgroup_id_z 0
		.amdhsa_system_sgpr_workgroup_info 0
		.amdhsa_system_vgpr_workitem_id 0
		.amdhsa_next_free_vgpr 4
		.amdhsa_next_free_sgpr 16
		.amdhsa_reserve_vcc 1
		.amdhsa_float_round_mode_32 0
		.amdhsa_float_round_mode_16_64 0
		.amdhsa_float_denorm_mode_32 3
		.amdhsa_float_denorm_mode_16_64 3
		.amdhsa_dx10_clamp 1
		.amdhsa_ieee_mode 1
		.amdhsa_fp16_overflow 0
		.amdhsa_workgroup_processor_mode 1
		.amdhsa_memory_ordered 1
		.amdhsa_forward_progress 0
		.amdhsa_shared_vgpr_count 0
		.amdhsa_exception_fp_ieee_invalid_op 0
		.amdhsa_exception_fp_denorm_src 0
		.amdhsa_exception_fp_ieee_div_zero 0
		.amdhsa_exception_fp_ieee_overflow 0
		.amdhsa_exception_fp_ieee_underflow 0
		.amdhsa_exception_fp_ieee_inexact 0
		.amdhsa_exception_int_div_zero 0
	.end_amdhsa_kernel
	.section	.text._ZN6thrust23THRUST_200600_302600_NS11hip_rocprim14__parallel_for6kernelILj256ENS1_20__uninitialized_fill7functorINS0_10device_ptrIlEElEEmLj1EEEvT0_T1_SA_,"axG",@progbits,_ZN6thrust23THRUST_200600_302600_NS11hip_rocprim14__parallel_for6kernelILj256ENS1_20__uninitialized_fill7functorINS0_10device_ptrIlEElEEmLj1EEEvT0_T1_SA_,comdat
.Lfunc_end1:
	.size	_ZN6thrust23THRUST_200600_302600_NS11hip_rocprim14__parallel_for6kernelILj256ENS1_20__uninitialized_fill7functorINS0_10device_ptrIlEElEEmLj1EEEvT0_T1_SA_, .Lfunc_end1-_ZN6thrust23THRUST_200600_302600_NS11hip_rocprim14__parallel_for6kernelILj256ENS1_20__uninitialized_fill7functorINS0_10device_ptrIlEElEEmLj1EEEvT0_T1_SA_
                                        ; -- End function
	.section	.AMDGPU.csdata,"",@progbits
; Kernel info:
; codeLenInByte = 160
; NumSgprs: 18
; NumVgprs: 4
; ScratchSize: 0
; MemoryBound: 0
; FloatMode: 240
; IeeeMode: 1
; LDSByteSize: 0 bytes/workgroup (compile time only)
; SGPRBlocks: 2
; VGPRBlocks: 0
; NumSGPRsForWavesPerEU: 18
; NumVGPRsForWavesPerEU: 4
; Occupancy: 16
; WaveLimiterHint : 0
; COMPUTE_PGM_RSRC2:SCRATCH_EN: 0
; COMPUTE_PGM_RSRC2:USER_SGPR: 15
; COMPUTE_PGM_RSRC2:TRAP_HANDLER: 0
; COMPUTE_PGM_RSRC2:TGID_X_EN: 1
; COMPUTE_PGM_RSRC2:TGID_Y_EN: 0
; COMPUTE_PGM_RSRC2:TGID_Z_EN: 0
; COMPUTE_PGM_RSRC2:TIDIG_COMP_CNT: 0
	.section	.text._Z18lower_bound_kernelIdEvmPT_Pl,"axG",@progbits,_Z18lower_bound_kernelIdEvmPT_Pl,comdat
	.protected	_Z18lower_bound_kernelIdEvmPT_Pl ; -- Begin function _Z18lower_bound_kernelIdEvmPT_Pl
	.globl	_Z18lower_bound_kernelIdEvmPT_Pl
	.p2align	8
	.type	_Z18lower_bound_kernelIdEvmPT_Pl,@function
_Z18lower_bound_kernelIdEvmPT_Pl:       ; @_Z18lower_bound_kernelIdEvmPT_Pl
; %bb.0:
	s_clause 0x1
	s_load_b128 s[4:7], s[0:1], 0x0
	s_load_b64 s[2:3], s[0:1], 0x10
	v_mov_b32_e32 v0, 0
	v_mov_b32_e32 v1, 0
	s_waitcnt lgkmcnt(0)
	v_cmp_gt_i64_e64 s0, s[4:5], 0
	s_delay_alu instid0(VALU_DEP_1) | instskip(NEXT) | instid1(VALU_DEP_1)
	v_cndmask_b32_e64 v2, 0, 1, s0
	v_cmp_ne_u32_e64 s0, 1, v2
	v_mov_b32_e32 v2, 0
	s_branch .LBB2_2
.LBB2_1:                                ;   in Loop: Header=BB2_2 Depth=1
	v_add_f64 v[0:1], v[0:1], 1.0
	s_delay_alu instid0(VALU_DEP_1) | instskip(NEXT) | instid1(VALU_DEP_1)
	v_add_f64 v[3:4], 0x40240000, -v[0:1]
	v_trunc_f64_e32 v[3:4], v[3:4]
	s_delay_alu instid0(VALU_DEP_1) | instskip(NEXT) | instid1(VALU_DEP_1)
	v_ldexp_f64 v[5:6], v[3:4], 0xffffffe0
	v_floor_f64_e32 v[5:6], v[5:6]
	s_delay_alu instid0(VALU_DEP_1) | instskip(NEXT) | instid1(VALU_DEP_1)
	v_fma_f64 v[3:4], 0xc1f00000, v[5:6], v[3:4]
	v_cvt_u32_f64_e32 v3, v[3:4]
	v_cvt_i32_f64_e32 v4, v[5:6]
	v_dual_mov_b32 v5, s8 :: v_dual_mov_b32 v6, s9
	global_store_b64 v2, v[5:6], s[2:3]
	s_add_u32 s2, s2, 8
	s_addc_u32 s3, s3, 0
	v_cmp_ne_u64_e32 vcc_lo, 0, v[3:4]
	s_cbranch_vccz .LBB2_5
.LBB2_2:                                ; =>This Loop Header: Depth=1
                                        ;     Child Loop BB2_4 Depth 2
	s_delay_alu instid0(VALU_DEP_2)
	s_and_b32 vcc_lo, exec_lo, s0
	s_mov_b64 s[8:9], 0
	s_cbranch_vccnz .LBB2_1
; %bb.3:                                ;   in Loop: Header=BB2_2 Depth=1
	s_mov_b64 s[10:11], s[4:5]
	.p2align	6
.LBB2_4:                                ;   Parent Loop BB2_2 Depth=1
                                        ; =>  This Inner Loop Header: Depth=2
	s_delay_alu instid0(SALU_CYCLE_1) | instskip(SKIP_1) | instid1(SALU_CYCLE_1)
	s_sub_u32 s1, s10, s8
	s_subb_u32 s13, s11, s9
	s_lshr_b32 s12, s13, 31
	s_delay_alu instid0(SALU_CYCLE_1) | instskip(SKIP_1) | instid1(SALU_CYCLE_1)
	s_add_u32 s12, s1, s12
	s_addc_u32 s13, s13, 0
	s_ashr_i64 s[12:13], s[12:13], 1
	s_delay_alu instid0(SALU_CYCLE_1) | instskip(SKIP_1) | instid1(SALU_CYCLE_1)
	s_add_u32 s12, s12, s8
	s_addc_u32 s13, s13, s9
	s_lshl_b64 s[14:15], s[12:13], 3
	s_delay_alu instid0(SALU_CYCLE_1)
	s_add_u32 s14, s6, s14
	s_addc_u32 s15, s7, s15
	s_add_u32 s1, s12, 1
	s_load_b64 s[14:15], s[14:15], 0x0
	s_waitcnt lgkmcnt(0)
	v_cmp_lt_f64_e32 vcc_lo, s[14:15], v[0:1]
	s_addc_u32 s14, s13, 0
	s_and_b32 s15, vcc_lo, exec_lo
	s_cselect_b32 s9, s14, s9
	s_cselect_b32 s8, s1, s8
	;; [unrolled: 1-line block ×4, first 2 shown]
	s_delay_alu instid0(SALU_CYCLE_1) | instskip(NEXT) | instid1(VALU_DEP_1)
	v_cmp_lt_i64_e64 s1, s[8:9], s[10:11]
	s_and_b32 vcc_lo, exec_lo, s1
	s_cbranch_vccnz .LBB2_4
	s_branch .LBB2_1
.LBB2_5:
	s_nop 0
	s_sendmsg sendmsg(MSG_DEALLOC_VGPRS)
	s_endpgm
	.section	.rodata,"a",@progbits
	.p2align	6, 0x0
	.amdhsa_kernel _Z18lower_bound_kernelIdEvmPT_Pl
		.amdhsa_group_segment_fixed_size 0
		.amdhsa_private_segment_fixed_size 0
		.amdhsa_kernarg_size 24
		.amdhsa_user_sgpr_count 15
		.amdhsa_user_sgpr_dispatch_ptr 0
		.amdhsa_user_sgpr_queue_ptr 0
		.amdhsa_user_sgpr_kernarg_segment_ptr 1
		.amdhsa_user_sgpr_dispatch_id 0
		.amdhsa_user_sgpr_private_segment_size 0
		.amdhsa_wavefront_size32 1
		.amdhsa_uses_dynamic_stack 0
		.amdhsa_enable_private_segment 0
		.amdhsa_system_sgpr_workgroup_id_x 1
		.amdhsa_system_sgpr_workgroup_id_y 0
		.amdhsa_system_sgpr_workgroup_id_z 0
		.amdhsa_system_sgpr_workgroup_info 0
		.amdhsa_system_vgpr_workitem_id 0
		.amdhsa_next_free_vgpr 7
		.amdhsa_next_free_sgpr 16
		.amdhsa_reserve_vcc 1
		.amdhsa_float_round_mode_32 0
		.amdhsa_float_round_mode_16_64 0
		.amdhsa_float_denorm_mode_32 3
		.amdhsa_float_denorm_mode_16_64 3
		.amdhsa_dx10_clamp 1
		.amdhsa_ieee_mode 1
		.amdhsa_fp16_overflow 0
		.amdhsa_workgroup_processor_mode 1
		.amdhsa_memory_ordered 1
		.amdhsa_forward_progress 0
		.amdhsa_shared_vgpr_count 0
		.amdhsa_exception_fp_ieee_invalid_op 0
		.amdhsa_exception_fp_denorm_src 0
		.amdhsa_exception_fp_ieee_div_zero 0
		.amdhsa_exception_fp_ieee_overflow 0
		.amdhsa_exception_fp_ieee_underflow 0
		.amdhsa_exception_fp_ieee_inexact 0
		.amdhsa_exception_int_div_zero 0
	.end_amdhsa_kernel
	.section	.text._Z18lower_bound_kernelIdEvmPT_Pl,"axG",@progbits,_Z18lower_bound_kernelIdEvmPT_Pl,comdat
.Lfunc_end2:
	.size	_Z18lower_bound_kernelIdEvmPT_Pl, .Lfunc_end2-_Z18lower_bound_kernelIdEvmPT_Pl
                                        ; -- End function
	.section	.AMDGPU.csdata,"",@progbits
; Kernel info:
; codeLenInByte = 332
; NumSgprs: 18
; NumVgprs: 7
; ScratchSize: 0
; MemoryBound: 0
; FloatMode: 240
; IeeeMode: 1
; LDSByteSize: 0 bytes/workgroup (compile time only)
; SGPRBlocks: 2
; VGPRBlocks: 0
; NumSGPRsForWavesPerEU: 18
; NumVGPRsForWavesPerEU: 7
; Occupancy: 16
; WaveLimiterHint : 0
; COMPUTE_PGM_RSRC2:SCRATCH_EN: 0
; COMPUTE_PGM_RSRC2:USER_SGPR: 15
; COMPUTE_PGM_RSRC2:TRAP_HANDLER: 0
; COMPUTE_PGM_RSRC2:TGID_X_EN: 1
; COMPUTE_PGM_RSRC2:TGID_Y_EN: 0
; COMPUTE_PGM_RSRC2:TGID_Z_EN: 0
; COMPUTE_PGM_RSRC2:TIDIG_COMP_CNT: 0
	.section	.text._ZN7rocprim17ROCPRIM_400000_NS6detail17trampoline_kernelINS0_14default_configENS1_27lower_bound_config_selectorIdlEEZNS1_14transform_implILb0ES3_S5_N6thrust23THRUST_200600_302600_NS17counting_iteratorIdNS8_11use_defaultESA_SA_EEPlZNS1_13binary_searchIS3_S5_PdSB_SC_NS1_21lower_bound_search_opENS8_6detail16wrapped_functionI11custom_lessbEEEE10hipError_tPvRmT1_T2_T3_mmT4_T5_P12ihipStream_tbEUlRKdE_EESK_SO_SP_mSQ_ST_bEUlT_E_NS1_11comp_targetILNS1_3genE0ELNS1_11target_archE4294967295ELNS1_3gpuE0ELNS1_3repE0EEENS1_30default_config_static_selectorELNS0_4arch9wavefront6targetE0EEEvSN_,"axG",@progbits,_ZN7rocprim17ROCPRIM_400000_NS6detail17trampoline_kernelINS0_14default_configENS1_27lower_bound_config_selectorIdlEEZNS1_14transform_implILb0ES3_S5_N6thrust23THRUST_200600_302600_NS17counting_iteratorIdNS8_11use_defaultESA_SA_EEPlZNS1_13binary_searchIS3_S5_PdSB_SC_NS1_21lower_bound_search_opENS8_6detail16wrapped_functionI11custom_lessbEEEE10hipError_tPvRmT1_T2_T3_mmT4_T5_P12ihipStream_tbEUlRKdE_EESK_SO_SP_mSQ_ST_bEUlT_E_NS1_11comp_targetILNS1_3genE0ELNS1_11target_archE4294967295ELNS1_3gpuE0ELNS1_3repE0EEENS1_30default_config_static_selectorELNS0_4arch9wavefront6targetE0EEEvSN_,comdat
	.protected	_ZN7rocprim17ROCPRIM_400000_NS6detail17trampoline_kernelINS0_14default_configENS1_27lower_bound_config_selectorIdlEEZNS1_14transform_implILb0ES3_S5_N6thrust23THRUST_200600_302600_NS17counting_iteratorIdNS8_11use_defaultESA_SA_EEPlZNS1_13binary_searchIS3_S5_PdSB_SC_NS1_21lower_bound_search_opENS8_6detail16wrapped_functionI11custom_lessbEEEE10hipError_tPvRmT1_T2_T3_mmT4_T5_P12ihipStream_tbEUlRKdE_EESK_SO_SP_mSQ_ST_bEUlT_E_NS1_11comp_targetILNS1_3genE0ELNS1_11target_archE4294967295ELNS1_3gpuE0ELNS1_3repE0EEENS1_30default_config_static_selectorELNS0_4arch9wavefront6targetE0EEEvSN_ ; -- Begin function _ZN7rocprim17ROCPRIM_400000_NS6detail17trampoline_kernelINS0_14default_configENS1_27lower_bound_config_selectorIdlEEZNS1_14transform_implILb0ES3_S5_N6thrust23THRUST_200600_302600_NS17counting_iteratorIdNS8_11use_defaultESA_SA_EEPlZNS1_13binary_searchIS3_S5_PdSB_SC_NS1_21lower_bound_search_opENS8_6detail16wrapped_functionI11custom_lessbEEEE10hipError_tPvRmT1_T2_T3_mmT4_T5_P12ihipStream_tbEUlRKdE_EESK_SO_SP_mSQ_ST_bEUlT_E_NS1_11comp_targetILNS1_3genE0ELNS1_11target_archE4294967295ELNS1_3gpuE0ELNS1_3repE0EEENS1_30default_config_static_selectorELNS0_4arch9wavefront6targetE0EEEvSN_
	.globl	_ZN7rocprim17ROCPRIM_400000_NS6detail17trampoline_kernelINS0_14default_configENS1_27lower_bound_config_selectorIdlEEZNS1_14transform_implILb0ES3_S5_N6thrust23THRUST_200600_302600_NS17counting_iteratorIdNS8_11use_defaultESA_SA_EEPlZNS1_13binary_searchIS3_S5_PdSB_SC_NS1_21lower_bound_search_opENS8_6detail16wrapped_functionI11custom_lessbEEEE10hipError_tPvRmT1_T2_T3_mmT4_T5_P12ihipStream_tbEUlRKdE_EESK_SO_SP_mSQ_ST_bEUlT_E_NS1_11comp_targetILNS1_3genE0ELNS1_11target_archE4294967295ELNS1_3gpuE0ELNS1_3repE0EEENS1_30default_config_static_selectorELNS0_4arch9wavefront6targetE0EEEvSN_
	.p2align	8
	.type	_ZN7rocprim17ROCPRIM_400000_NS6detail17trampoline_kernelINS0_14default_configENS1_27lower_bound_config_selectorIdlEEZNS1_14transform_implILb0ES3_S5_N6thrust23THRUST_200600_302600_NS17counting_iteratorIdNS8_11use_defaultESA_SA_EEPlZNS1_13binary_searchIS3_S5_PdSB_SC_NS1_21lower_bound_search_opENS8_6detail16wrapped_functionI11custom_lessbEEEE10hipError_tPvRmT1_T2_T3_mmT4_T5_P12ihipStream_tbEUlRKdE_EESK_SO_SP_mSQ_ST_bEUlT_E_NS1_11comp_targetILNS1_3genE0ELNS1_11target_archE4294967295ELNS1_3gpuE0ELNS1_3repE0EEENS1_30default_config_static_selectorELNS0_4arch9wavefront6targetE0EEEvSN_,@function
_ZN7rocprim17ROCPRIM_400000_NS6detail17trampoline_kernelINS0_14default_configENS1_27lower_bound_config_selectorIdlEEZNS1_14transform_implILb0ES3_S5_N6thrust23THRUST_200600_302600_NS17counting_iteratorIdNS8_11use_defaultESA_SA_EEPlZNS1_13binary_searchIS3_S5_PdSB_SC_NS1_21lower_bound_search_opENS8_6detail16wrapped_functionI11custom_lessbEEEE10hipError_tPvRmT1_T2_T3_mmT4_T5_P12ihipStream_tbEUlRKdE_EESK_SO_SP_mSQ_ST_bEUlT_E_NS1_11comp_targetILNS1_3genE0ELNS1_11target_archE4294967295ELNS1_3gpuE0ELNS1_3repE0EEENS1_30default_config_static_selectorELNS0_4arch9wavefront6targetE0EEEvSN_: ; @_ZN7rocprim17ROCPRIM_400000_NS6detail17trampoline_kernelINS0_14default_configENS1_27lower_bound_config_selectorIdlEEZNS1_14transform_implILb0ES3_S5_N6thrust23THRUST_200600_302600_NS17counting_iteratorIdNS8_11use_defaultESA_SA_EEPlZNS1_13binary_searchIS3_S5_PdSB_SC_NS1_21lower_bound_search_opENS8_6detail16wrapped_functionI11custom_lessbEEEE10hipError_tPvRmT1_T2_T3_mmT4_T5_P12ihipStream_tbEUlRKdE_EESK_SO_SP_mSQ_ST_bEUlT_E_NS1_11comp_targetILNS1_3genE0ELNS1_11target_archE4294967295ELNS1_3gpuE0ELNS1_3repE0EEENS1_30default_config_static_selectorELNS0_4arch9wavefront6targetE0EEEvSN_
; %bb.0:
	.section	.rodata,"a",@progbits
	.p2align	6, 0x0
	.amdhsa_kernel _ZN7rocprim17ROCPRIM_400000_NS6detail17trampoline_kernelINS0_14default_configENS1_27lower_bound_config_selectorIdlEEZNS1_14transform_implILb0ES3_S5_N6thrust23THRUST_200600_302600_NS17counting_iteratorIdNS8_11use_defaultESA_SA_EEPlZNS1_13binary_searchIS3_S5_PdSB_SC_NS1_21lower_bound_search_opENS8_6detail16wrapped_functionI11custom_lessbEEEE10hipError_tPvRmT1_T2_T3_mmT4_T5_P12ihipStream_tbEUlRKdE_EESK_SO_SP_mSQ_ST_bEUlT_E_NS1_11comp_targetILNS1_3genE0ELNS1_11target_archE4294967295ELNS1_3gpuE0ELNS1_3repE0EEENS1_30default_config_static_selectorELNS0_4arch9wavefront6targetE0EEEvSN_
		.amdhsa_group_segment_fixed_size 0
		.amdhsa_private_segment_fixed_size 0
		.amdhsa_kernarg_size 56
		.amdhsa_user_sgpr_count 15
		.amdhsa_user_sgpr_dispatch_ptr 0
		.amdhsa_user_sgpr_queue_ptr 0
		.amdhsa_user_sgpr_kernarg_segment_ptr 1
		.amdhsa_user_sgpr_dispatch_id 0
		.amdhsa_user_sgpr_private_segment_size 0
		.amdhsa_wavefront_size32 1
		.amdhsa_uses_dynamic_stack 0
		.amdhsa_enable_private_segment 0
		.amdhsa_system_sgpr_workgroup_id_x 1
		.amdhsa_system_sgpr_workgroup_id_y 0
		.amdhsa_system_sgpr_workgroup_id_z 0
		.amdhsa_system_sgpr_workgroup_info 0
		.amdhsa_system_vgpr_workitem_id 0
		.amdhsa_next_free_vgpr 1
		.amdhsa_next_free_sgpr 1
		.amdhsa_reserve_vcc 0
		.amdhsa_float_round_mode_32 0
		.amdhsa_float_round_mode_16_64 0
		.amdhsa_float_denorm_mode_32 3
		.amdhsa_float_denorm_mode_16_64 3
		.amdhsa_dx10_clamp 1
		.amdhsa_ieee_mode 1
		.amdhsa_fp16_overflow 0
		.amdhsa_workgroup_processor_mode 1
		.amdhsa_memory_ordered 1
		.amdhsa_forward_progress 0
		.amdhsa_shared_vgpr_count 0
		.amdhsa_exception_fp_ieee_invalid_op 0
		.amdhsa_exception_fp_denorm_src 0
		.amdhsa_exception_fp_ieee_div_zero 0
		.amdhsa_exception_fp_ieee_overflow 0
		.amdhsa_exception_fp_ieee_underflow 0
		.amdhsa_exception_fp_ieee_inexact 0
		.amdhsa_exception_int_div_zero 0
	.end_amdhsa_kernel
	.section	.text._ZN7rocprim17ROCPRIM_400000_NS6detail17trampoline_kernelINS0_14default_configENS1_27lower_bound_config_selectorIdlEEZNS1_14transform_implILb0ES3_S5_N6thrust23THRUST_200600_302600_NS17counting_iteratorIdNS8_11use_defaultESA_SA_EEPlZNS1_13binary_searchIS3_S5_PdSB_SC_NS1_21lower_bound_search_opENS8_6detail16wrapped_functionI11custom_lessbEEEE10hipError_tPvRmT1_T2_T3_mmT4_T5_P12ihipStream_tbEUlRKdE_EESK_SO_SP_mSQ_ST_bEUlT_E_NS1_11comp_targetILNS1_3genE0ELNS1_11target_archE4294967295ELNS1_3gpuE0ELNS1_3repE0EEENS1_30default_config_static_selectorELNS0_4arch9wavefront6targetE0EEEvSN_,"axG",@progbits,_ZN7rocprim17ROCPRIM_400000_NS6detail17trampoline_kernelINS0_14default_configENS1_27lower_bound_config_selectorIdlEEZNS1_14transform_implILb0ES3_S5_N6thrust23THRUST_200600_302600_NS17counting_iteratorIdNS8_11use_defaultESA_SA_EEPlZNS1_13binary_searchIS3_S5_PdSB_SC_NS1_21lower_bound_search_opENS8_6detail16wrapped_functionI11custom_lessbEEEE10hipError_tPvRmT1_T2_T3_mmT4_T5_P12ihipStream_tbEUlRKdE_EESK_SO_SP_mSQ_ST_bEUlT_E_NS1_11comp_targetILNS1_3genE0ELNS1_11target_archE4294967295ELNS1_3gpuE0ELNS1_3repE0EEENS1_30default_config_static_selectorELNS0_4arch9wavefront6targetE0EEEvSN_,comdat
.Lfunc_end3:
	.size	_ZN7rocprim17ROCPRIM_400000_NS6detail17trampoline_kernelINS0_14default_configENS1_27lower_bound_config_selectorIdlEEZNS1_14transform_implILb0ES3_S5_N6thrust23THRUST_200600_302600_NS17counting_iteratorIdNS8_11use_defaultESA_SA_EEPlZNS1_13binary_searchIS3_S5_PdSB_SC_NS1_21lower_bound_search_opENS8_6detail16wrapped_functionI11custom_lessbEEEE10hipError_tPvRmT1_T2_T3_mmT4_T5_P12ihipStream_tbEUlRKdE_EESK_SO_SP_mSQ_ST_bEUlT_E_NS1_11comp_targetILNS1_3genE0ELNS1_11target_archE4294967295ELNS1_3gpuE0ELNS1_3repE0EEENS1_30default_config_static_selectorELNS0_4arch9wavefront6targetE0EEEvSN_, .Lfunc_end3-_ZN7rocprim17ROCPRIM_400000_NS6detail17trampoline_kernelINS0_14default_configENS1_27lower_bound_config_selectorIdlEEZNS1_14transform_implILb0ES3_S5_N6thrust23THRUST_200600_302600_NS17counting_iteratorIdNS8_11use_defaultESA_SA_EEPlZNS1_13binary_searchIS3_S5_PdSB_SC_NS1_21lower_bound_search_opENS8_6detail16wrapped_functionI11custom_lessbEEEE10hipError_tPvRmT1_T2_T3_mmT4_T5_P12ihipStream_tbEUlRKdE_EESK_SO_SP_mSQ_ST_bEUlT_E_NS1_11comp_targetILNS1_3genE0ELNS1_11target_archE4294967295ELNS1_3gpuE0ELNS1_3repE0EEENS1_30default_config_static_selectorELNS0_4arch9wavefront6targetE0EEEvSN_
                                        ; -- End function
	.section	.AMDGPU.csdata,"",@progbits
; Kernel info:
; codeLenInByte = 0
; NumSgprs: 0
; NumVgprs: 0
; ScratchSize: 0
; MemoryBound: 0
; FloatMode: 240
; IeeeMode: 1
; LDSByteSize: 0 bytes/workgroup (compile time only)
; SGPRBlocks: 0
; VGPRBlocks: 0
; NumSGPRsForWavesPerEU: 1
; NumVGPRsForWavesPerEU: 1
; Occupancy: 16
; WaveLimiterHint : 0
; COMPUTE_PGM_RSRC2:SCRATCH_EN: 0
; COMPUTE_PGM_RSRC2:USER_SGPR: 15
; COMPUTE_PGM_RSRC2:TRAP_HANDLER: 0
; COMPUTE_PGM_RSRC2:TGID_X_EN: 1
; COMPUTE_PGM_RSRC2:TGID_Y_EN: 0
; COMPUTE_PGM_RSRC2:TGID_Z_EN: 0
; COMPUTE_PGM_RSRC2:TIDIG_COMP_CNT: 0
	.section	.text._ZN7rocprim17ROCPRIM_400000_NS6detail17trampoline_kernelINS0_14default_configENS1_27lower_bound_config_selectorIdlEEZNS1_14transform_implILb0ES3_S5_N6thrust23THRUST_200600_302600_NS17counting_iteratorIdNS8_11use_defaultESA_SA_EEPlZNS1_13binary_searchIS3_S5_PdSB_SC_NS1_21lower_bound_search_opENS8_6detail16wrapped_functionI11custom_lessbEEEE10hipError_tPvRmT1_T2_T3_mmT4_T5_P12ihipStream_tbEUlRKdE_EESK_SO_SP_mSQ_ST_bEUlT_E_NS1_11comp_targetILNS1_3genE5ELNS1_11target_archE942ELNS1_3gpuE9ELNS1_3repE0EEENS1_30default_config_static_selectorELNS0_4arch9wavefront6targetE0EEEvSN_,"axG",@progbits,_ZN7rocprim17ROCPRIM_400000_NS6detail17trampoline_kernelINS0_14default_configENS1_27lower_bound_config_selectorIdlEEZNS1_14transform_implILb0ES3_S5_N6thrust23THRUST_200600_302600_NS17counting_iteratorIdNS8_11use_defaultESA_SA_EEPlZNS1_13binary_searchIS3_S5_PdSB_SC_NS1_21lower_bound_search_opENS8_6detail16wrapped_functionI11custom_lessbEEEE10hipError_tPvRmT1_T2_T3_mmT4_T5_P12ihipStream_tbEUlRKdE_EESK_SO_SP_mSQ_ST_bEUlT_E_NS1_11comp_targetILNS1_3genE5ELNS1_11target_archE942ELNS1_3gpuE9ELNS1_3repE0EEENS1_30default_config_static_selectorELNS0_4arch9wavefront6targetE0EEEvSN_,comdat
	.protected	_ZN7rocprim17ROCPRIM_400000_NS6detail17trampoline_kernelINS0_14default_configENS1_27lower_bound_config_selectorIdlEEZNS1_14transform_implILb0ES3_S5_N6thrust23THRUST_200600_302600_NS17counting_iteratorIdNS8_11use_defaultESA_SA_EEPlZNS1_13binary_searchIS3_S5_PdSB_SC_NS1_21lower_bound_search_opENS8_6detail16wrapped_functionI11custom_lessbEEEE10hipError_tPvRmT1_T2_T3_mmT4_T5_P12ihipStream_tbEUlRKdE_EESK_SO_SP_mSQ_ST_bEUlT_E_NS1_11comp_targetILNS1_3genE5ELNS1_11target_archE942ELNS1_3gpuE9ELNS1_3repE0EEENS1_30default_config_static_selectorELNS0_4arch9wavefront6targetE0EEEvSN_ ; -- Begin function _ZN7rocprim17ROCPRIM_400000_NS6detail17trampoline_kernelINS0_14default_configENS1_27lower_bound_config_selectorIdlEEZNS1_14transform_implILb0ES3_S5_N6thrust23THRUST_200600_302600_NS17counting_iteratorIdNS8_11use_defaultESA_SA_EEPlZNS1_13binary_searchIS3_S5_PdSB_SC_NS1_21lower_bound_search_opENS8_6detail16wrapped_functionI11custom_lessbEEEE10hipError_tPvRmT1_T2_T3_mmT4_T5_P12ihipStream_tbEUlRKdE_EESK_SO_SP_mSQ_ST_bEUlT_E_NS1_11comp_targetILNS1_3genE5ELNS1_11target_archE942ELNS1_3gpuE9ELNS1_3repE0EEENS1_30default_config_static_selectorELNS0_4arch9wavefront6targetE0EEEvSN_
	.globl	_ZN7rocprim17ROCPRIM_400000_NS6detail17trampoline_kernelINS0_14default_configENS1_27lower_bound_config_selectorIdlEEZNS1_14transform_implILb0ES3_S5_N6thrust23THRUST_200600_302600_NS17counting_iteratorIdNS8_11use_defaultESA_SA_EEPlZNS1_13binary_searchIS3_S5_PdSB_SC_NS1_21lower_bound_search_opENS8_6detail16wrapped_functionI11custom_lessbEEEE10hipError_tPvRmT1_T2_T3_mmT4_T5_P12ihipStream_tbEUlRKdE_EESK_SO_SP_mSQ_ST_bEUlT_E_NS1_11comp_targetILNS1_3genE5ELNS1_11target_archE942ELNS1_3gpuE9ELNS1_3repE0EEENS1_30default_config_static_selectorELNS0_4arch9wavefront6targetE0EEEvSN_
	.p2align	8
	.type	_ZN7rocprim17ROCPRIM_400000_NS6detail17trampoline_kernelINS0_14default_configENS1_27lower_bound_config_selectorIdlEEZNS1_14transform_implILb0ES3_S5_N6thrust23THRUST_200600_302600_NS17counting_iteratorIdNS8_11use_defaultESA_SA_EEPlZNS1_13binary_searchIS3_S5_PdSB_SC_NS1_21lower_bound_search_opENS8_6detail16wrapped_functionI11custom_lessbEEEE10hipError_tPvRmT1_T2_T3_mmT4_T5_P12ihipStream_tbEUlRKdE_EESK_SO_SP_mSQ_ST_bEUlT_E_NS1_11comp_targetILNS1_3genE5ELNS1_11target_archE942ELNS1_3gpuE9ELNS1_3repE0EEENS1_30default_config_static_selectorELNS0_4arch9wavefront6targetE0EEEvSN_,@function
_ZN7rocprim17ROCPRIM_400000_NS6detail17trampoline_kernelINS0_14default_configENS1_27lower_bound_config_selectorIdlEEZNS1_14transform_implILb0ES3_S5_N6thrust23THRUST_200600_302600_NS17counting_iteratorIdNS8_11use_defaultESA_SA_EEPlZNS1_13binary_searchIS3_S5_PdSB_SC_NS1_21lower_bound_search_opENS8_6detail16wrapped_functionI11custom_lessbEEEE10hipError_tPvRmT1_T2_T3_mmT4_T5_P12ihipStream_tbEUlRKdE_EESK_SO_SP_mSQ_ST_bEUlT_E_NS1_11comp_targetILNS1_3genE5ELNS1_11target_archE942ELNS1_3gpuE9ELNS1_3repE0EEENS1_30default_config_static_selectorELNS0_4arch9wavefront6targetE0EEEvSN_: ; @_ZN7rocprim17ROCPRIM_400000_NS6detail17trampoline_kernelINS0_14default_configENS1_27lower_bound_config_selectorIdlEEZNS1_14transform_implILb0ES3_S5_N6thrust23THRUST_200600_302600_NS17counting_iteratorIdNS8_11use_defaultESA_SA_EEPlZNS1_13binary_searchIS3_S5_PdSB_SC_NS1_21lower_bound_search_opENS8_6detail16wrapped_functionI11custom_lessbEEEE10hipError_tPvRmT1_T2_T3_mmT4_T5_P12ihipStream_tbEUlRKdE_EESK_SO_SP_mSQ_ST_bEUlT_E_NS1_11comp_targetILNS1_3genE5ELNS1_11target_archE942ELNS1_3gpuE9ELNS1_3repE0EEENS1_30default_config_static_selectorELNS0_4arch9wavefront6targetE0EEEvSN_
; %bb.0:
	.section	.rodata,"a",@progbits
	.p2align	6, 0x0
	.amdhsa_kernel _ZN7rocprim17ROCPRIM_400000_NS6detail17trampoline_kernelINS0_14default_configENS1_27lower_bound_config_selectorIdlEEZNS1_14transform_implILb0ES3_S5_N6thrust23THRUST_200600_302600_NS17counting_iteratorIdNS8_11use_defaultESA_SA_EEPlZNS1_13binary_searchIS3_S5_PdSB_SC_NS1_21lower_bound_search_opENS8_6detail16wrapped_functionI11custom_lessbEEEE10hipError_tPvRmT1_T2_T3_mmT4_T5_P12ihipStream_tbEUlRKdE_EESK_SO_SP_mSQ_ST_bEUlT_E_NS1_11comp_targetILNS1_3genE5ELNS1_11target_archE942ELNS1_3gpuE9ELNS1_3repE0EEENS1_30default_config_static_selectorELNS0_4arch9wavefront6targetE0EEEvSN_
		.amdhsa_group_segment_fixed_size 0
		.amdhsa_private_segment_fixed_size 0
		.amdhsa_kernarg_size 56
		.amdhsa_user_sgpr_count 15
		.amdhsa_user_sgpr_dispatch_ptr 0
		.amdhsa_user_sgpr_queue_ptr 0
		.amdhsa_user_sgpr_kernarg_segment_ptr 1
		.amdhsa_user_sgpr_dispatch_id 0
		.amdhsa_user_sgpr_private_segment_size 0
		.amdhsa_wavefront_size32 1
		.amdhsa_uses_dynamic_stack 0
		.amdhsa_enable_private_segment 0
		.amdhsa_system_sgpr_workgroup_id_x 1
		.amdhsa_system_sgpr_workgroup_id_y 0
		.amdhsa_system_sgpr_workgroup_id_z 0
		.amdhsa_system_sgpr_workgroup_info 0
		.amdhsa_system_vgpr_workitem_id 0
		.amdhsa_next_free_vgpr 1
		.amdhsa_next_free_sgpr 1
		.amdhsa_reserve_vcc 0
		.amdhsa_float_round_mode_32 0
		.amdhsa_float_round_mode_16_64 0
		.amdhsa_float_denorm_mode_32 3
		.amdhsa_float_denorm_mode_16_64 3
		.amdhsa_dx10_clamp 1
		.amdhsa_ieee_mode 1
		.amdhsa_fp16_overflow 0
		.amdhsa_workgroup_processor_mode 1
		.amdhsa_memory_ordered 1
		.amdhsa_forward_progress 0
		.amdhsa_shared_vgpr_count 0
		.amdhsa_exception_fp_ieee_invalid_op 0
		.amdhsa_exception_fp_denorm_src 0
		.amdhsa_exception_fp_ieee_div_zero 0
		.amdhsa_exception_fp_ieee_overflow 0
		.amdhsa_exception_fp_ieee_underflow 0
		.amdhsa_exception_fp_ieee_inexact 0
		.amdhsa_exception_int_div_zero 0
	.end_amdhsa_kernel
	.section	.text._ZN7rocprim17ROCPRIM_400000_NS6detail17trampoline_kernelINS0_14default_configENS1_27lower_bound_config_selectorIdlEEZNS1_14transform_implILb0ES3_S5_N6thrust23THRUST_200600_302600_NS17counting_iteratorIdNS8_11use_defaultESA_SA_EEPlZNS1_13binary_searchIS3_S5_PdSB_SC_NS1_21lower_bound_search_opENS8_6detail16wrapped_functionI11custom_lessbEEEE10hipError_tPvRmT1_T2_T3_mmT4_T5_P12ihipStream_tbEUlRKdE_EESK_SO_SP_mSQ_ST_bEUlT_E_NS1_11comp_targetILNS1_3genE5ELNS1_11target_archE942ELNS1_3gpuE9ELNS1_3repE0EEENS1_30default_config_static_selectorELNS0_4arch9wavefront6targetE0EEEvSN_,"axG",@progbits,_ZN7rocprim17ROCPRIM_400000_NS6detail17trampoline_kernelINS0_14default_configENS1_27lower_bound_config_selectorIdlEEZNS1_14transform_implILb0ES3_S5_N6thrust23THRUST_200600_302600_NS17counting_iteratorIdNS8_11use_defaultESA_SA_EEPlZNS1_13binary_searchIS3_S5_PdSB_SC_NS1_21lower_bound_search_opENS8_6detail16wrapped_functionI11custom_lessbEEEE10hipError_tPvRmT1_T2_T3_mmT4_T5_P12ihipStream_tbEUlRKdE_EESK_SO_SP_mSQ_ST_bEUlT_E_NS1_11comp_targetILNS1_3genE5ELNS1_11target_archE942ELNS1_3gpuE9ELNS1_3repE0EEENS1_30default_config_static_selectorELNS0_4arch9wavefront6targetE0EEEvSN_,comdat
.Lfunc_end4:
	.size	_ZN7rocprim17ROCPRIM_400000_NS6detail17trampoline_kernelINS0_14default_configENS1_27lower_bound_config_selectorIdlEEZNS1_14transform_implILb0ES3_S5_N6thrust23THRUST_200600_302600_NS17counting_iteratorIdNS8_11use_defaultESA_SA_EEPlZNS1_13binary_searchIS3_S5_PdSB_SC_NS1_21lower_bound_search_opENS8_6detail16wrapped_functionI11custom_lessbEEEE10hipError_tPvRmT1_T2_T3_mmT4_T5_P12ihipStream_tbEUlRKdE_EESK_SO_SP_mSQ_ST_bEUlT_E_NS1_11comp_targetILNS1_3genE5ELNS1_11target_archE942ELNS1_3gpuE9ELNS1_3repE0EEENS1_30default_config_static_selectorELNS0_4arch9wavefront6targetE0EEEvSN_, .Lfunc_end4-_ZN7rocprim17ROCPRIM_400000_NS6detail17trampoline_kernelINS0_14default_configENS1_27lower_bound_config_selectorIdlEEZNS1_14transform_implILb0ES3_S5_N6thrust23THRUST_200600_302600_NS17counting_iteratorIdNS8_11use_defaultESA_SA_EEPlZNS1_13binary_searchIS3_S5_PdSB_SC_NS1_21lower_bound_search_opENS8_6detail16wrapped_functionI11custom_lessbEEEE10hipError_tPvRmT1_T2_T3_mmT4_T5_P12ihipStream_tbEUlRKdE_EESK_SO_SP_mSQ_ST_bEUlT_E_NS1_11comp_targetILNS1_3genE5ELNS1_11target_archE942ELNS1_3gpuE9ELNS1_3repE0EEENS1_30default_config_static_selectorELNS0_4arch9wavefront6targetE0EEEvSN_
                                        ; -- End function
	.section	.AMDGPU.csdata,"",@progbits
; Kernel info:
; codeLenInByte = 0
; NumSgprs: 0
; NumVgprs: 0
; ScratchSize: 0
; MemoryBound: 0
; FloatMode: 240
; IeeeMode: 1
; LDSByteSize: 0 bytes/workgroup (compile time only)
; SGPRBlocks: 0
; VGPRBlocks: 0
; NumSGPRsForWavesPerEU: 1
; NumVGPRsForWavesPerEU: 1
; Occupancy: 16
; WaveLimiterHint : 0
; COMPUTE_PGM_RSRC2:SCRATCH_EN: 0
; COMPUTE_PGM_RSRC2:USER_SGPR: 15
; COMPUTE_PGM_RSRC2:TRAP_HANDLER: 0
; COMPUTE_PGM_RSRC2:TGID_X_EN: 1
; COMPUTE_PGM_RSRC2:TGID_Y_EN: 0
; COMPUTE_PGM_RSRC2:TGID_Z_EN: 0
; COMPUTE_PGM_RSRC2:TIDIG_COMP_CNT: 0
	.section	.text._ZN7rocprim17ROCPRIM_400000_NS6detail17trampoline_kernelINS0_14default_configENS1_27lower_bound_config_selectorIdlEEZNS1_14transform_implILb0ES3_S5_N6thrust23THRUST_200600_302600_NS17counting_iteratorIdNS8_11use_defaultESA_SA_EEPlZNS1_13binary_searchIS3_S5_PdSB_SC_NS1_21lower_bound_search_opENS8_6detail16wrapped_functionI11custom_lessbEEEE10hipError_tPvRmT1_T2_T3_mmT4_T5_P12ihipStream_tbEUlRKdE_EESK_SO_SP_mSQ_ST_bEUlT_E_NS1_11comp_targetILNS1_3genE4ELNS1_11target_archE910ELNS1_3gpuE8ELNS1_3repE0EEENS1_30default_config_static_selectorELNS0_4arch9wavefront6targetE0EEEvSN_,"axG",@progbits,_ZN7rocprim17ROCPRIM_400000_NS6detail17trampoline_kernelINS0_14default_configENS1_27lower_bound_config_selectorIdlEEZNS1_14transform_implILb0ES3_S5_N6thrust23THRUST_200600_302600_NS17counting_iteratorIdNS8_11use_defaultESA_SA_EEPlZNS1_13binary_searchIS3_S5_PdSB_SC_NS1_21lower_bound_search_opENS8_6detail16wrapped_functionI11custom_lessbEEEE10hipError_tPvRmT1_T2_T3_mmT4_T5_P12ihipStream_tbEUlRKdE_EESK_SO_SP_mSQ_ST_bEUlT_E_NS1_11comp_targetILNS1_3genE4ELNS1_11target_archE910ELNS1_3gpuE8ELNS1_3repE0EEENS1_30default_config_static_selectorELNS0_4arch9wavefront6targetE0EEEvSN_,comdat
	.protected	_ZN7rocprim17ROCPRIM_400000_NS6detail17trampoline_kernelINS0_14default_configENS1_27lower_bound_config_selectorIdlEEZNS1_14transform_implILb0ES3_S5_N6thrust23THRUST_200600_302600_NS17counting_iteratorIdNS8_11use_defaultESA_SA_EEPlZNS1_13binary_searchIS3_S5_PdSB_SC_NS1_21lower_bound_search_opENS8_6detail16wrapped_functionI11custom_lessbEEEE10hipError_tPvRmT1_T2_T3_mmT4_T5_P12ihipStream_tbEUlRKdE_EESK_SO_SP_mSQ_ST_bEUlT_E_NS1_11comp_targetILNS1_3genE4ELNS1_11target_archE910ELNS1_3gpuE8ELNS1_3repE0EEENS1_30default_config_static_selectorELNS0_4arch9wavefront6targetE0EEEvSN_ ; -- Begin function _ZN7rocprim17ROCPRIM_400000_NS6detail17trampoline_kernelINS0_14default_configENS1_27lower_bound_config_selectorIdlEEZNS1_14transform_implILb0ES3_S5_N6thrust23THRUST_200600_302600_NS17counting_iteratorIdNS8_11use_defaultESA_SA_EEPlZNS1_13binary_searchIS3_S5_PdSB_SC_NS1_21lower_bound_search_opENS8_6detail16wrapped_functionI11custom_lessbEEEE10hipError_tPvRmT1_T2_T3_mmT4_T5_P12ihipStream_tbEUlRKdE_EESK_SO_SP_mSQ_ST_bEUlT_E_NS1_11comp_targetILNS1_3genE4ELNS1_11target_archE910ELNS1_3gpuE8ELNS1_3repE0EEENS1_30default_config_static_selectorELNS0_4arch9wavefront6targetE0EEEvSN_
	.globl	_ZN7rocprim17ROCPRIM_400000_NS6detail17trampoline_kernelINS0_14default_configENS1_27lower_bound_config_selectorIdlEEZNS1_14transform_implILb0ES3_S5_N6thrust23THRUST_200600_302600_NS17counting_iteratorIdNS8_11use_defaultESA_SA_EEPlZNS1_13binary_searchIS3_S5_PdSB_SC_NS1_21lower_bound_search_opENS8_6detail16wrapped_functionI11custom_lessbEEEE10hipError_tPvRmT1_T2_T3_mmT4_T5_P12ihipStream_tbEUlRKdE_EESK_SO_SP_mSQ_ST_bEUlT_E_NS1_11comp_targetILNS1_3genE4ELNS1_11target_archE910ELNS1_3gpuE8ELNS1_3repE0EEENS1_30default_config_static_selectorELNS0_4arch9wavefront6targetE0EEEvSN_
	.p2align	8
	.type	_ZN7rocprim17ROCPRIM_400000_NS6detail17trampoline_kernelINS0_14default_configENS1_27lower_bound_config_selectorIdlEEZNS1_14transform_implILb0ES3_S5_N6thrust23THRUST_200600_302600_NS17counting_iteratorIdNS8_11use_defaultESA_SA_EEPlZNS1_13binary_searchIS3_S5_PdSB_SC_NS1_21lower_bound_search_opENS8_6detail16wrapped_functionI11custom_lessbEEEE10hipError_tPvRmT1_T2_T3_mmT4_T5_P12ihipStream_tbEUlRKdE_EESK_SO_SP_mSQ_ST_bEUlT_E_NS1_11comp_targetILNS1_3genE4ELNS1_11target_archE910ELNS1_3gpuE8ELNS1_3repE0EEENS1_30default_config_static_selectorELNS0_4arch9wavefront6targetE0EEEvSN_,@function
_ZN7rocprim17ROCPRIM_400000_NS6detail17trampoline_kernelINS0_14default_configENS1_27lower_bound_config_selectorIdlEEZNS1_14transform_implILb0ES3_S5_N6thrust23THRUST_200600_302600_NS17counting_iteratorIdNS8_11use_defaultESA_SA_EEPlZNS1_13binary_searchIS3_S5_PdSB_SC_NS1_21lower_bound_search_opENS8_6detail16wrapped_functionI11custom_lessbEEEE10hipError_tPvRmT1_T2_T3_mmT4_T5_P12ihipStream_tbEUlRKdE_EESK_SO_SP_mSQ_ST_bEUlT_E_NS1_11comp_targetILNS1_3genE4ELNS1_11target_archE910ELNS1_3gpuE8ELNS1_3repE0EEENS1_30default_config_static_selectorELNS0_4arch9wavefront6targetE0EEEvSN_: ; @_ZN7rocprim17ROCPRIM_400000_NS6detail17trampoline_kernelINS0_14default_configENS1_27lower_bound_config_selectorIdlEEZNS1_14transform_implILb0ES3_S5_N6thrust23THRUST_200600_302600_NS17counting_iteratorIdNS8_11use_defaultESA_SA_EEPlZNS1_13binary_searchIS3_S5_PdSB_SC_NS1_21lower_bound_search_opENS8_6detail16wrapped_functionI11custom_lessbEEEE10hipError_tPvRmT1_T2_T3_mmT4_T5_P12ihipStream_tbEUlRKdE_EESK_SO_SP_mSQ_ST_bEUlT_E_NS1_11comp_targetILNS1_3genE4ELNS1_11target_archE910ELNS1_3gpuE8ELNS1_3repE0EEENS1_30default_config_static_selectorELNS0_4arch9wavefront6targetE0EEEvSN_
; %bb.0:
	.section	.rodata,"a",@progbits
	.p2align	6, 0x0
	.amdhsa_kernel _ZN7rocprim17ROCPRIM_400000_NS6detail17trampoline_kernelINS0_14default_configENS1_27lower_bound_config_selectorIdlEEZNS1_14transform_implILb0ES3_S5_N6thrust23THRUST_200600_302600_NS17counting_iteratorIdNS8_11use_defaultESA_SA_EEPlZNS1_13binary_searchIS3_S5_PdSB_SC_NS1_21lower_bound_search_opENS8_6detail16wrapped_functionI11custom_lessbEEEE10hipError_tPvRmT1_T2_T3_mmT4_T5_P12ihipStream_tbEUlRKdE_EESK_SO_SP_mSQ_ST_bEUlT_E_NS1_11comp_targetILNS1_3genE4ELNS1_11target_archE910ELNS1_3gpuE8ELNS1_3repE0EEENS1_30default_config_static_selectorELNS0_4arch9wavefront6targetE0EEEvSN_
		.amdhsa_group_segment_fixed_size 0
		.amdhsa_private_segment_fixed_size 0
		.amdhsa_kernarg_size 56
		.amdhsa_user_sgpr_count 15
		.amdhsa_user_sgpr_dispatch_ptr 0
		.amdhsa_user_sgpr_queue_ptr 0
		.amdhsa_user_sgpr_kernarg_segment_ptr 1
		.amdhsa_user_sgpr_dispatch_id 0
		.amdhsa_user_sgpr_private_segment_size 0
		.amdhsa_wavefront_size32 1
		.amdhsa_uses_dynamic_stack 0
		.amdhsa_enable_private_segment 0
		.amdhsa_system_sgpr_workgroup_id_x 1
		.amdhsa_system_sgpr_workgroup_id_y 0
		.amdhsa_system_sgpr_workgroup_id_z 0
		.amdhsa_system_sgpr_workgroup_info 0
		.amdhsa_system_vgpr_workitem_id 0
		.amdhsa_next_free_vgpr 1
		.amdhsa_next_free_sgpr 1
		.amdhsa_reserve_vcc 0
		.amdhsa_float_round_mode_32 0
		.amdhsa_float_round_mode_16_64 0
		.amdhsa_float_denorm_mode_32 3
		.amdhsa_float_denorm_mode_16_64 3
		.amdhsa_dx10_clamp 1
		.amdhsa_ieee_mode 1
		.amdhsa_fp16_overflow 0
		.amdhsa_workgroup_processor_mode 1
		.amdhsa_memory_ordered 1
		.amdhsa_forward_progress 0
		.amdhsa_shared_vgpr_count 0
		.amdhsa_exception_fp_ieee_invalid_op 0
		.amdhsa_exception_fp_denorm_src 0
		.amdhsa_exception_fp_ieee_div_zero 0
		.amdhsa_exception_fp_ieee_overflow 0
		.amdhsa_exception_fp_ieee_underflow 0
		.amdhsa_exception_fp_ieee_inexact 0
		.amdhsa_exception_int_div_zero 0
	.end_amdhsa_kernel
	.section	.text._ZN7rocprim17ROCPRIM_400000_NS6detail17trampoline_kernelINS0_14default_configENS1_27lower_bound_config_selectorIdlEEZNS1_14transform_implILb0ES3_S5_N6thrust23THRUST_200600_302600_NS17counting_iteratorIdNS8_11use_defaultESA_SA_EEPlZNS1_13binary_searchIS3_S5_PdSB_SC_NS1_21lower_bound_search_opENS8_6detail16wrapped_functionI11custom_lessbEEEE10hipError_tPvRmT1_T2_T3_mmT4_T5_P12ihipStream_tbEUlRKdE_EESK_SO_SP_mSQ_ST_bEUlT_E_NS1_11comp_targetILNS1_3genE4ELNS1_11target_archE910ELNS1_3gpuE8ELNS1_3repE0EEENS1_30default_config_static_selectorELNS0_4arch9wavefront6targetE0EEEvSN_,"axG",@progbits,_ZN7rocprim17ROCPRIM_400000_NS6detail17trampoline_kernelINS0_14default_configENS1_27lower_bound_config_selectorIdlEEZNS1_14transform_implILb0ES3_S5_N6thrust23THRUST_200600_302600_NS17counting_iteratorIdNS8_11use_defaultESA_SA_EEPlZNS1_13binary_searchIS3_S5_PdSB_SC_NS1_21lower_bound_search_opENS8_6detail16wrapped_functionI11custom_lessbEEEE10hipError_tPvRmT1_T2_T3_mmT4_T5_P12ihipStream_tbEUlRKdE_EESK_SO_SP_mSQ_ST_bEUlT_E_NS1_11comp_targetILNS1_3genE4ELNS1_11target_archE910ELNS1_3gpuE8ELNS1_3repE0EEENS1_30default_config_static_selectorELNS0_4arch9wavefront6targetE0EEEvSN_,comdat
.Lfunc_end5:
	.size	_ZN7rocprim17ROCPRIM_400000_NS6detail17trampoline_kernelINS0_14default_configENS1_27lower_bound_config_selectorIdlEEZNS1_14transform_implILb0ES3_S5_N6thrust23THRUST_200600_302600_NS17counting_iteratorIdNS8_11use_defaultESA_SA_EEPlZNS1_13binary_searchIS3_S5_PdSB_SC_NS1_21lower_bound_search_opENS8_6detail16wrapped_functionI11custom_lessbEEEE10hipError_tPvRmT1_T2_T3_mmT4_T5_P12ihipStream_tbEUlRKdE_EESK_SO_SP_mSQ_ST_bEUlT_E_NS1_11comp_targetILNS1_3genE4ELNS1_11target_archE910ELNS1_3gpuE8ELNS1_3repE0EEENS1_30default_config_static_selectorELNS0_4arch9wavefront6targetE0EEEvSN_, .Lfunc_end5-_ZN7rocprim17ROCPRIM_400000_NS6detail17trampoline_kernelINS0_14default_configENS1_27lower_bound_config_selectorIdlEEZNS1_14transform_implILb0ES3_S5_N6thrust23THRUST_200600_302600_NS17counting_iteratorIdNS8_11use_defaultESA_SA_EEPlZNS1_13binary_searchIS3_S5_PdSB_SC_NS1_21lower_bound_search_opENS8_6detail16wrapped_functionI11custom_lessbEEEE10hipError_tPvRmT1_T2_T3_mmT4_T5_P12ihipStream_tbEUlRKdE_EESK_SO_SP_mSQ_ST_bEUlT_E_NS1_11comp_targetILNS1_3genE4ELNS1_11target_archE910ELNS1_3gpuE8ELNS1_3repE0EEENS1_30default_config_static_selectorELNS0_4arch9wavefront6targetE0EEEvSN_
                                        ; -- End function
	.section	.AMDGPU.csdata,"",@progbits
; Kernel info:
; codeLenInByte = 0
; NumSgprs: 0
; NumVgprs: 0
; ScratchSize: 0
; MemoryBound: 0
; FloatMode: 240
; IeeeMode: 1
; LDSByteSize: 0 bytes/workgroup (compile time only)
; SGPRBlocks: 0
; VGPRBlocks: 0
; NumSGPRsForWavesPerEU: 1
; NumVGPRsForWavesPerEU: 1
; Occupancy: 16
; WaveLimiterHint : 0
; COMPUTE_PGM_RSRC2:SCRATCH_EN: 0
; COMPUTE_PGM_RSRC2:USER_SGPR: 15
; COMPUTE_PGM_RSRC2:TRAP_HANDLER: 0
; COMPUTE_PGM_RSRC2:TGID_X_EN: 1
; COMPUTE_PGM_RSRC2:TGID_Y_EN: 0
; COMPUTE_PGM_RSRC2:TGID_Z_EN: 0
; COMPUTE_PGM_RSRC2:TIDIG_COMP_CNT: 0
	.section	.text._ZN7rocprim17ROCPRIM_400000_NS6detail17trampoline_kernelINS0_14default_configENS1_27lower_bound_config_selectorIdlEEZNS1_14transform_implILb0ES3_S5_N6thrust23THRUST_200600_302600_NS17counting_iteratorIdNS8_11use_defaultESA_SA_EEPlZNS1_13binary_searchIS3_S5_PdSB_SC_NS1_21lower_bound_search_opENS8_6detail16wrapped_functionI11custom_lessbEEEE10hipError_tPvRmT1_T2_T3_mmT4_T5_P12ihipStream_tbEUlRKdE_EESK_SO_SP_mSQ_ST_bEUlT_E_NS1_11comp_targetILNS1_3genE3ELNS1_11target_archE908ELNS1_3gpuE7ELNS1_3repE0EEENS1_30default_config_static_selectorELNS0_4arch9wavefront6targetE0EEEvSN_,"axG",@progbits,_ZN7rocprim17ROCPRIM_400000_NS6detail17trampoline_kernelINS0_14default_configENS1_27lower_bound_config_selectorIdlEEZNS1_14transform_implILb0ES3_S5_N6thrust23THRUST_200600_302600_NS17counting_iteratorIdNS8_11use_defaultESA_SA_EEPlZNS1_13binary_searchIS3_S5_PdSB_SC_NS1_21lower_bound_search_opENS8_6detail16wrapped_functionI11custom_lessbEEEE10hipError_tPvRmT1_T2_T3_mmT4_T5_P12ihipStream_tbEUlRKdE_EESK_SO_SP_mSQ_ST_bEUlT_E_NS1_11comp_targetILNS1_3genE3ELNS1_11target_archE908ELNS1_3gpuE7ELNS1_3repE0EEENS1_30default_config_static_selectorELNS0_4arch9wavefront6targetE0EEEvSN_,comdat
	.protected	_ZN7rocprim17ROCPRIM_400000_NS6detail17trampoline_kernelINS0_14default_configENS1_27lower_bound_config_selectorIdlEEZNS1_14transform_implILb0ES3_S5_N6thrust23THRUST_200600_302600_NS17counting_iteratorIdNS8_11use_defaultESA_SA_EEPlZNS1_13binary_searchIS3_S5_PdSB_SC_NS1_21lower_bound_search_opENS8_6detail16wrapped_functionI11custom_lessbEEEE10hipError_tPvRmT1_T2_T3_mmT4_T5_P12ihipStream_tbEUlRKdE_EESK_SO_SP_mSQ_ST_bEUlT_E_NS1_11comp_targetILNS1_3genE3ELNS1_11target_archE908ELNS1_3gpuE7ELNS1_3repE0EEENS1_30default_config_static_selectorELNS0_4arch9wavefront6targetE0EEEvSN_ ; -- Begin function _ZN7rocprim17ROCPRIM_400000_NS6detail17trampoline_kernelINS0_14default_configENS1_27lower_bound_config_selectorIdlEEZNS1_14transform_implILb0ES3_S5_N6thrust23THRUST_200600_302600_NS17counting_iteratorIdNS8_11use_defaultESA_SA_EEPlZNS1_13binary_searchIS3_S5_PdSB_SC_NS1_21lower_bound_search_opENS8_6detail16wrapped_functionI11custom_lessbEEEE10hipError_tPvRmT1_T2_T3_mmT4_T5_P12ihipStream_tbEUlRKdE_EESK_SO_SP_mSQ_ST_bEUlT_E_NS1_11comp_targetILNS1_3genE3ELNS1_11target_archE908ELNS1_3gpuE7ELNS1_3repE0EEENS1_30default_config_static_selectorELNS0_4arch9wavefront6targetE0EEEvSN_
	.globl	_ZN7rocprim17ROCPRIM_400000_NS6detail17trampoline_kernelINS0_14default_configENS1_27lower_bound_config_selectorIdlEEZNS1_14transform_implILb0ES3_S5_N6thrust23THRUST_200600_302600_NS17counting_iteratorIdNS8_11use_defaultESA_SA_EEPlZNS1_13binary_searchIS3_S5_PdSB_SC_NS1_21lower_bound_search_opENS8_6detail16wrapped_functionI11custom_lessbEEEE10hipError_tPvRmT1_T2_T3_mmT4_T5_P12ihipStream_tbEUlRKdE_EESK_SO_SP_mSQ_ST_bEUlT_E_NS1_11comp_targetILNS1_3genE3ELNS1_11target_archE908ELNS1_3gpuE7ELNS1_3repE0EEENS1_30default_config_static_selectorELNS0_4arch9wavefront6targetE0EEEvSN_
	.p2align	8
	.type	_ZN7rocprim17ROCPRIM_400000_NS6detail17trampoline_kernelINS0_14default_configENS1_27lower_bound_config_selectorIdlEEZNS1_14transform_implILb0ES3_S5_N6thrust23THRUST_200600_302600_NS17counting_iteratorIdNS8_11use_defaultESA_SA_EEPlZNS1_13binary_searchIS3_S5_PdSB_SC_NS1_21lower_bound_search_opENS8_6detail16wrapped_functionI11custom_lessbEEEE10hipError_tPvRmT1_T2_T3_mmT4_T5_P12ihipStream_tbEUlRKdE_EESK_SO_SP_mSQ_ST_bEUlT_E_NS1_11comp_targetILNS1_3genE3ELNS1_11target_archE908ELNS1_3gpuE7ELNS1_3repE0EEENS1_30default_config_static_selectorELNS0_4arch9wavefront6targetE0EEEvSN_,@function
_ZN7rocprim17ROCPRIM_400000_NS6detail17trampoline_kernelINS0_14default_configENS1_27lower_bound_config_selectorIdlEEZNS1_14transform_implILb0ES3_S5_N6thrust23THRUST_200600_302600_NS17counting_iteratorIdNS8_11use_defaultESA_SA_EEPlZNS1_13binary_searchIS3_S5_PdSB_SC_NS1_21lower_bound_search_opENS8_6detail16wrapped_functionI11custom_lessbEEEE10hipError_tPvRmT1_T2_T3_mmT4_T5_P12ihipStream_tbEUlRKdE_EESK_SO_SP_mSQ_ST_bEUlT_E_NS1_11comp_targetILNS1_3genE3ELNS1_11target_archE908ELNS1_3gpuE7ELNS1_3repE0EEENS1_30default_config_static_selectorELNS0_4arch9wavefront6targetE0EEEvSN_: ; @_ZN7rocprim17ROCPRIM_400000_NS6detail17trampoline_kernelINS0_14default_configENS1_27lower_bound_config_selectorIdlEEZNS1_14transform_implILb0ES3_S5_N6thrust23THRUST_200600_302600_NS17counting_iteratorIdNS8_11use_defaultESA_SA_EEPlZNS1_13binary_searchIS3_S5_PdSB_SC_NS1_21lower_bound_search_opENS8_6detail16wrapped_functionI11custom_lessbEEEE10hipError_tPvRmT1_T2_T3_mmT4_T5_P12ihipStream_tbEUlRKdE_EESK_SO_SP_mSQ_ST_bEUlT_E_NS1_11comp_targetILNS1_3genE3ELNS1_11target_archE908ELNS1_3gpuE7ELNS1_3repE0EEENS1_30default_config_static_selectorELNS0_4arch9wavefront6targetE0EEEvSN_
; %bb.0:
	.section	.rodata,"a",@progbits
	.p2align	6, 0x0
	.amdhsa_kernel _ZN7rocprim17ROCPRIM_400000_NS6detail17trampoline_kernelINS0_14default_configENS1_27lower_bound_config_selectorIdlEEZNS1_14transform_implILb0ES3_S5_N6thrust23THRUST_200600_302600_NS17counting_iteratorIdNS8_11use_defaultESA_SA_EEPlZNS1_13binary_searchIS3_S5_PdSB_SC_NS1_21lower_bound_search_opENS8_6detail16wrapped_functionI11custom_lessbEEEE10hipError_tPvRmT1_T2_T3_mmT4_T5_P12ihipStream_tbEUlRKdE_EESK_SO_SP_mSQ_ST_bEUlT_E_NS1_11comp_targetILNS1_3genE3ELNS1_11target_archE908ELNS1_3gpuE7ELNS1_3repE0EEENS1_30default_config_static_selectorELNS0_4arch9wavefront6targetE0EEEvSN_
		.amdhsa_group_segment_fixed_size 0
		.amdhsa_private_segment_fixed_size 0
		.amdhsa_kernarg_size 56
		.amdhsa_user_sgpr_count 15
		.amdhsa_user_sgpr_dispatch_ptr 0
		.amdhsa_user_sgpr_queue_ptr 0
		.amdhsa_user_sgpr_kernarg_segment_ptr 1
		.amdhsa_user_sgpr_dispatch_id 0
		.amdhsa_user_sgpr_private_segment_size 0
		.amdhsa_wavefront_size32 1
		.amdhsa_uses_dynamic_stack 0
		.amdhsa_enable_private_segment 0
		.amdhsa_system_sgpr_workgroup_id_x 1
		.amdhsa_system_sgpr_workgroup_id_y 0
		.amdhsa_system_sgpr_workgroup_id_z 0
		.amdhsa_system_sgpr_workgroup_info 0
		.amdhsa_system_vgpr_workitem_id 0
		.amdhsa_next_free_vgpr 1
		.amdhsa_next_free_sgpr 1
		.amdhsa_reserve_vcc 0
		.amdhsa_float_round_mode_32 0
		.amdhsa_float_round_mode_16_64 0
		.amdhsa_float_denorm_mode_32 3
		.amdhsa_float_denorm_mode_16_64 3
		.amdhsa_dx10_clamp 1
		.amdhsa_ieee_mode 1
		.amdhsa_fp16_overflow 0
		.amdhsa_workgroup_processor_mode 1
		.amdhsa_memory_ordered 1
		.amdhsa_forward_progress 0
		.amdhsa_shared_vgpr_count 0
		.amdhsa_exception_fp_ieee_invalid_op 0
		.amdhsa_exception_fp_denorm_src 0
		.amdhsa_exception_fp_ieee_div_zero 0
		.amdhsa_exception_fp_ieee_overflow 0
		.amdhsa_exception_fp_ieee_underflow 0
		.amdhsa_exception_fp_ieee_inexact 0
		.amdhsa_exception_int_div_zero 0
	.end_amdhsa_kernel
	.section	.text._ZN7rocprim17ROCPRIM_400000_NS6detail17trampoline_kernelINS0_14default_configENS1_27lower_bound_config_selectorIdlEEZNS1_14transform_implILb0ES3_S5_N6thrust23THRUST_200600_302600_NS17counting_iteratorIdNS8_11use_defaultESA_SA_EEPlZNS1_13binary_searchIS3_S5_PdSB_SC_NS1_21lower_bound_search_opENS8_6detail16wrapped_functionI11custom_lessbEEEE10hipError_tPvRmT1_T2_T3_mmT4_T5_P12ihipStream_tbEUlRKdE_EESK_SO_SP_mSQ_ST_bEUlT_E_NS1_11comp_targetILNS1_3genE3ELNS1_11target_archE908ELNS1_3gpuE7ELNS1_3repE0EEENS1_30default_config_static_selectorELNS0_4arch9wavefront6targetE0EEEvSN_,"axG",@progbits,_ZN7rocprim17ROCPRIM_400000_NS6detail17trampoline_kernelINS0_14default_configENS1_27lower_bound_config_selectorIdlEEZNS1_14transform_implILb0ES3_S5_N6thrust23THRUST_200600_302600_NS17counting_iteratorIdNS8_11use_defaultESA_SA_EEPlZNS1_13binary_searchIS3_S5_PdSB_SC_NS1_21lower_bound_search_opENS8_6detail16wrapped_functionI11custom_lessbEEEE10hipError_tPvRmT1_T2_T3_mmT4_T5_P12ihipStream_tbEUlRKdE_EESK_SO_SP_mSQ_ST_bEUlT_E_NS1_11comp_targetILNS1_3genE3ELNS1_11target_archE908ELNS1_3gpuE7ELNS1_3repE0EEENS1_30default_config_static_selectorELNS0_4arch9wavefront6targetE0EEEvSN_,comdat
.Lfunc_end6:
	.size	_ZN7rocprim17ROCPRIM_400000_NS6detail17trampoline_kernelINS0_14default_configENS1_27lower_bound_config_selectorIdlEEZNS1_14transform_implILb0ES3_S5_N6thrust23THRUST_200600_302600_NS17counting_iteratorIdNS8_11use_defaultESA_SA_EEPlZNS1_13binary_searchIS3_S5_PdSB_SC_NS1_21lower_bound_search_opENS8_6detail16wrapped_functionI11custom_lessbEEEE10hipError_tPvRmT1_T2_T3_mmT4_T5_P12ihipStream_tbEUlRKdE_EESK_SO_SP_mSQ_ST_bEUlT_E_NS1_11comp_targetILNS1_3genE3ELNS1_11target_archE908ELNS1_3gpuE7ELNS1_3repE0EEENS1_30default_config_static_selectorELNS0_4arch9wavefront6targetE0EEEvSN_, .Lfunc_end6-_ZN7rocprim17ROCPRIM_400000_NS6detail17trampoline_kernelINS0_14default_configENS1_27lower_bound_config_selectorIdlEEZNS1_14transform_implILb0ES3_S5_N6thrust23THRUST_200600_302600_NS17counting_iteratorIdNS8_11use_defaultESA_SA_EEPlZNS1_13binary_searchIS3_S5_PdSB_SC_NS1_21lower_bound_search_opENS8_6detail16wrapped_functionI11custom_lessbEEEE10hipError_tPvRmT1_T2_T3_mmT4_T5_P12ihipStream_tbEUlRKdE_EESK_SO_SP_mSQ_ST_bEUlT_E_NS1_11comp_targetILNS1_3genE3ELNS1_11target_archE908ELNS1_3gpuE7ELNS1_3repE0EEENS1_30default_config_static_selectorELNS0_4arch9wavefront6targetE0EEEvSN_
                                        ; -- End function
	.section	.AMDGPU.csdata,"",@progbits
; Kernel info:
; codeLenInByte = 0
; NumSgprs: 0
; NumVgprs: 0
; ScratchSize: 0
; MemoryBound: 0
; FloatMode: 240
; IeeeMode: 1
; LDSByteSize: 0 bytes/workgroup (compile time only)
; SGPRBlocks: 0
; VGPRBlocks: 0
; NumSGPRsForWavesPerEU: 1
; NumVGPRsForWavesPerEU: 1
; Occupancy: 16
; WaveLimiterHint : 0
; COMPUTE_PGM_RSRC2:SCRATCH_EN: 0
; COMPUTE_PGM_RSRC2:USER_SGPR: 15
; COMPUTE_PGM_RSRC2:TRAP_HANDLER: 0
; COMPUTE_PGM_RSRC2:TGID_X_EN: 1
; COMPUTE_PGM_RSRC2:TGID_Y_EN: 0
; COMPUTE_PGM_RSRC2:TGID_Z_EN: 0
; COMPUTE_PGM_RSRC2:TIDIG_COMP_CNT: 0
	.section	.text._ZN7rocprim17ROCPRIM_400000_NS6detail17trampoline_kernelINS0_14default_configENS1_27lower_bound_config_selectorIdlEEZNS1_14transform_implILb0ES3_S5_N6thrust23THRUST_200600_302600_NS17counting_iteratorIdNS8_11use_defaultESA_SA_EEPlZNS1_13binary_searchIS3_S5_PdSB_SC_NS1_21lower_bound_search_opENS8_6detail16wrapped_functionI11custom_lessbEEEE10hipError_tPvRmT1_T2_T3_mmT4_T5_P12ihipStream_tbEUlRKdE_EESK_SO_SP_mSQ_ST_bEUlT_E_NS1_11comp_targetILNS1_3genE2ELNS1_11target_archE906ELNS1_3gpuE6ELNS1_3repE0EEENS1_30default_config_static_selectorELNS0_4arch9wavefront6targetE0EEEvSN_,"axG",@progbits,_ZN7rocprim17ROCPRIM_400000_NS6detail17trampoline_kernelINS0_14default_configENS1_27lower_bound_config_selectorIdlEEZNS1_14transform_implILb0ES3_S5_N6thrust23THRUST_200600_302600_NS17counting_iteratorIdNS8_11use_defaultESA_SA_EEPlZNS1_13binary_searchIS3_S5_PdSB_SC_NS1_21lower_bound_search_opENS8_6detail16wrapped_functionI11custom_lessbEEEE10hipError_tPvRmT1_T2_T3_mmT4_T5_P12ihipStream_tbEUlRKdE_EESK_SO_SP_mSQ_ST_bEUlT_E_NS1_11comp_targetILNS1_3genE2ELNS1_11target_archE906ELNS1_3gpuE6ELNS1_3repE0EEENS1_30default_config_static_selectorELNS0_4arch9wavefront6targetE0EEEvSN_,comdat
	.protected	_ZN7rocprim17ROCPRIM_400000_NS6detail17trampoline_kernelINS0_14default_configENS1_27lower_bound_config_selectorIdlEEZNS1_14transform_implILb0ES3_S5_N6thrust23THRUST_200600_302600_NS17counting_iteratorIdNS8_11use_defaultESA_SA_EEPlZNS1_13binary_searchIS3_S5_PdSB_SC_NS1_21lower_bound_search_opENS8_6detail16wrapped_functionI11custom_lessbEEEE10hipError_tPvRmT1_T2_T3_mmT4_T5_P12ihipStream_tbEUlRKdE_EESK_SO_SP_mSQ_ST_bEUlT_E_NS1_11comp_targetILNS1_3genE2ELNS1_11target_archE906ELNS1_3gpuE6ELNS1_3repE0EEENS1_30default_config_static_selectorELNS0_4arch9wavefront6targetE0EEEvSN_ ; -- Begin function _ZN7rocprim17ROCPRIM_400000_NS6detail17trampoline_kernelINS0_14default_configENS1_27lower_bound_config_selectorIdlEEZNS1_14transform_implILb0ES3_S5_N6thrust23THRUST_200600_302600_NS17counting_iteratorIdNS8_11use_defaultESA_SA_EEPlZNS1_13binary_searchIS3_S5_PdSB_SC_NS1_21lower_bound_search_opENS8_6detail16wrapped_functionI11custom_lessbEEEE10hipError_tPvRmT1_T2_T3_mmT4_T5_P12ihipStream_tbEUlRKdE_EESK_SO_SP_mSQ_ST_bEUlT_E_NS1_11comp_targetILNS1_3genE2ELNS1_11target_archE906ELNS1_3gpuE6ELNS1_3repE0EEENS1_30default_config_static_selectorELNS0_4arch9wavefront6targetE0EEEvSN_
	.globl	_ZN7rocprim17ROCPRIM_400000_NS6detail17trampoline_kernelINS0_14default_configENS1_27lower_bound_config_selectorIdlEEZNS1_14transform_implILb0ES3_S5_N6thrust23THRUST_200600_302600_NS17counting_iteratorIdNS8_11use_defaultESA_SA_EEPlZNS1_13binary_searchIS3_S5_PdSB_SC_NS1_21lower_bound_search_opENS8_6detail16wrapped_functionI11custom_lessbEEEE10hipError_tPvRmT1_T2_T3_mmT4_T5_P12ihipStream_tbEUlRKdE_EESK_SO_SP_mSQ_ST_bEUlT_E_NS1_11comp_targetILNS1_3genE2ELNS1_11target_archE906ELNS1_3gpuE6ELNS1_3repE0EEENS1_30default_config_static_selectorELNS0_4arch9wavefront6targetE0EEEvSN_
	.p2align	8
	.type	_ZN7rocprim17ROCPRIM_400000_NS6detail17trampoline_kernelINS0_14default_configENS1_27lower_bound_config_selectorIdlEEZNS1_14transform_implILb0ES3_S5_N6thrust23THRUST_200600_302600_NS17counting_iteratorIdNS8_11use_defaultESA_SA_EEPlZNS1_13binary_searchIS3_S5_PdSB_SC_NS1_21lower_bound_search_opENS8_6detail16wrapped_functionI11custom_lessbEEEE10hipError_tPvRmT1_T2_T3_mmT4_T5_P12ihipStream_tbEUlRKdE_EESK_SO_SP_mSQ_ST_bEUlT_E_NS1_11comp_targetILNS1_3genE2ELNS1_11target_archE906ELNS1_3gpuE6ELNS1_3repE0EEENS1_30default_config_static_selectorELNS0_4arch9wavefront6targetE0EEEvSN_,@function
_ZN7rocprim17ROCPRIM_400000_NS6detail17trampoline_kernelINS0_14default_configENS1_27lower_bound_config_selectorIdlEEZNS1_14transform_implILb0ES3_S5_N6thrust23THRUST_200600_302600_NS17counting_iteratorIdNS8_11use_defaultESA_SA_EEPlZNS1_13binary_searchIS3_S5_PdSB_SC_NS1_21lower_bound_search_opENS8_6detail16wrapped_functionI11custom_lessbEEEE10hipError_tPvRmT1_T2_T3_mmT4_T5_P12ihipStream_tbEUlRKdE_EESK_SO_SP_mSQ_ST_bEUlT_E_NS1_11comp_targetILNS1_3genE2ELNS1_11target_archE906ELNS1_3gpuE6ELNS1_3repE0EEENS1_30default_config_static_selectorELNS0_4arch9wavefront6targetE0EEEvSN_: ; @_ZN7rocprim17ROCPRIM_400000_NS6detail17trampoline_kernelINS0_14default_configENS1_27lower_bound_config_selectorIdlEEZNS1_14transform_implILb0ES3_S5_N6thrust23THRUST_200600_302600_NS17counting_iteratorIdNS8_11use_defaultESA_SA_EEPlZNS1_13binary_searchIS3_S5_PdSB_SC_NS1_21lower_bound_search_opENS8_6detail16wrapped_functionI11custom_lessbEEEE10hipError_tPvRmT1_T2_T3_mmT4_T5_P12ihipStream_tbEUlRKdE_EESK_SO_SP_mSQ_ST_bEUlT_E_NS1_11comp_targetILNS1_3genE2ELNS1_11target_archE906ELNS1_3gpuE6ELNS1_3repE0EEENS1_30default_config_static_selectorELNS0_4arch9wavefront6targetE0EEEvSN_
; %bb.0:
	.section	.rodata,"a",@progbits
	.p2align	6, 0x0
	.amdhsa_kernel _ZN7rocprim17ROCPRIM_400000_NS6detail17trampoline_kernelINS0_14default_configENS1_27lower_bound_config_selectorIdlEEZNS1_14transform_implILb0ES3_S5_N6thrust23THRUST_200600_302600_NS17counting_iteratorIdNS8_11use_defaultESA_SA_EEPlZNS1_13binary_searchIS3_S5_PdSB_SC_NS1_21lower_bound_search_opENS8_6detail16wrapped_functionI11custom_lessbEEEE10hipError_tPvRmT1_T2_T3_mmT4_T5_P12ihipStream_tbEUlRKdE_EESK_SO_SP_mSQ_ST_bEUlT_E_NS1_11comp_targetILNS1_3genE2ELNS1_11target_archE906ELNS1_3gpuE6ELNS1_3repE0EEENS1_30default_config_static_selectorELNS0_4arch9wavefront6targetE0EEEvSN_
		.amdhsa_group_segment_fixed_size 0
		.amdhsa_private_segment_fixed_size 0
		.amdhsa_kernarg_size 56
		.amdhsa_user_sgpr_count 15
		.amdhsa_user_sgpr_dispatch_ptr 0
		.amdhsa_user_sgpr_queue_ptr 0
		.amdhsa_user_sgpr_kernarg_segment_ptr 1
		.amdhsa_user_sgpr_dispatch_id 0
		.amdhsa_user_sgpr_private_segment_size 0
		.amdhsa_wavefront_size32 1
		.amdhsa_uses_dynamic_stack 0
		.amdhsa_enable_private_segment 0
		.amdhsa_system_sgpr_workgroup_id_x 1
		.amdhsa_system_sgpr_workgroup_id_y 0
		.amdhsa_system_sgpr_workgroup_id_z 0
		.amdhsa_system_sgpr_workgroup_info 0
		.amdhsa_system_vgpr_workitem_id 0
		.amdhsa_next_free_vgpr 1
		.amdhsa_next_free_sgpr 1
		.amdhsa_reserve_vcc 0
		.amdhsa_float_round_mode_32 0
		.amdhsa_float_round_mode_16_64 0
		.amdhsa_float_denorm_mode_32 3
		.amdhsa_float_denorm_mode_16_64 3
		.amdhsa_dx10_clamp 1
		.amdhsa_ieee_mode 1
		.amdhsa_fp16_overflow 0
		.amdhsa_workgroup_processor_mode 1
		.amdhsa_memory_ordered 1
		.amdhsa_forward_progress 0
		.amdhsa_shared_vgpr_count 0
		.amdhsa_exception_fp_ieee_invalid_op 0
		.amdhsa_exception_fp_denorm_src 0
		.amdhsa_exception_fp_ieee_div_zero 0
		.amdhsa_exception_fp_ieee_overflow 0
		.amdhsa_exception_fp_ieee_underflow 0
		.amdhsa_exception_fp_ieee_inexact 0
		.amdhsa_exception_int_div_zero 0
	.end_amdhsa_kernel
	.section	.text._ZN7rocprim17ROCPRIM_400000_NS6detail17trampoline_kernelINS0_14default_configENS1_27lower_bound_config_selectorIdlEEZNS1_14transform_implILb0ES3_S5_N6thrust23THRUST_200600_302600_NS17counting_iteratorIdNS8_11use_defaultESA_SA_EEPlZNS1_13binary_searchIS3_S5_PdSB_SC_NS1_21lower_bound_search_opENS8_6detail16wrapped_functionI11custom_lessbEEEE10hipError_tPvRmT1_T2_T3_mmT4_T5_P12ihipStream_tbEUlRKdE_EESK_SO_SP_mSQ_ST_bEUlT_E_NS1_11comp_targetILNS1_3genE2ELNS1_11target_archE906ELNS1_3gpuE6ELNS1_3repE0EEENS1_30default_config_static_selectorELNS0_4arch9wavefront6targetE0EEEvSN_,"axG",@progbits,_ZN7rocprim17ROCPRIM_400000_NS6detail17trampoline_kernelINS0_14default_configENS1_27lower_bound_config_selectorIdlEEZNS1_14transform_implILb0ES3_S5_N6thrust23THRUST_200600_302600_NS17counting_iteratorIdNS8_11use_defaultESA_SA_EEPlZNS1_13binary_searchIS3_S5_PdSB_SC_NS1_21lower_bound_search_opENS8_6detail16wrapped_functionI11custom_lessbEEEE10hipError_tPvRmT1_T2_T3_mmT4_T5_P12ihipStream_tbEUlRKdE_EESK_SO_SP_mSQ_ST_bEUlT_E_NS1_11comp_targetILNS1_3genE2ELNS1_11target_archE906ELNS1_3gpuE6ELNS1_3repE0EEENS1_30default_config_static_selectorELNS0_4arch9wavefront6targetE0EEEvSN_,comdat
.Lfunc_end7:
	.size	_ZN7rocprim17ROCPRIM_400000_NS6detail17trampoline_kernelINS0_14default_configENS1_27lower_bound_config_selectorIdlEEZNS1_14transform_implILb0ES3_S5_N6thrust23THRUST_200600_302600_NS17counting_iteratorIdNS8_11use_defaultESA_SA_EEPlZNS1_13binary_searchIS3_S5_PdSB_SC_NS1_21lower_bound_search_opENS8_6detail16wrapped_functionI11custom_lessbEEEE10hipError_tPvRmT1_T2_T3_mmT4_T5_P12ihipStream_tbEUlRKdE_EESK_SO_SP_mSQ_ST_bEUlT_E_NS1_11comp_targetILNS1_3genE2ELNS1_11target_archE906ELNS1_3gpuE6ELNS1_3repE0EEENS1_30default_config_static_selectorELNS0_4arch9wavefront6targetE0EEEvSN_, .Lfunc_end7-_ZN7rocprim17ROCPRIM_400000_NS6detail17trampoline_kernelINS0_14default_configENS1_27lower_bound_config_selectorIdlEEZNS1_14transform_implILb0ES3_S5_N6thrust23THRUST_200600_302600_NS17counting_iteratorIdNS8_11use_defaultESA_SA_EEPlZNS1_13binary_searchIS3_S5_PdSB_SC_NS1_21lower_bound_search_opENS8_6detail16wrapped_functionI11custom_lessbEEEE10hipError_tPvRmT1_T2_T3_mmT4_T5_P12ihipStream_tbEUlRKdE_EESK_SO_SP_mSQ_ST_bEUlT_E_NS1_11comp_targetILNS1_3genE2ELNS1_11target_archE906ELNS1_3gpuE6ELNS1_3repE0EEENS1_30default_config_static_selectorELNS0_4arch9wavefront6targetE0EEEvSN_
                                        ; -- End function
	.section	.AMDGPU.csdata,"",@progbits
; Kernel info:
; codeLenInByte = 0
; NumSgprs: 0
; NumVgprs: 0
; ScratchSize: 0
; MemoryBound: 0
; FloatMode: 240
; IeeeMode: 1
; LDSByteSize: 0 bytes/workgroup (compile time only)
; SGPRBlocks: 0
; VGPRBlocks: 0
; NumSGPRsForWavesPerEU: 1
; NumVGPRsForWavesPerEU: 1
; Occupancy: 16
; WaveLimiterHint : 0
; COMPUTE_PGM_RSRC2:SCRATCH_EN: 0
; COMPUTE_PGM_RSRC2:USER_SGPR: 15
; COMPUTE_PGM_RSRC2:TRAP_HANDLER: 0
; COMPUTE_PGM_RSRC2:TGID_X_EN: 1
; COMPUTE_PGM_RSRC2:TGID_Y_EN: 0
; COMPUTE_PGM_RSRC2:TGID_Z_EN: 0
; COMPUTE_PGM_RSRC2:TIDIG_COMP_CNT: 0
	.section	.text._ZN7rocprim17ROCPRIM_400000_NS6detail17trampoline_kernelINS0_14default_configENS1_27lower_bound_config_selectorIdlEEZNS1_14transform_implILb0ES3_S5_N6thrust23THRUST_200600_302600_NS17counting_iteratorIdNS8_11use_defaultESA_SA_EEPlZNS1_13binary_searchIS3_S5_PdSB_SC_NS1_21lower_bound_search_opENS8_6detail16wrapped_functionI11custom_lessbEEEE10hipError_tPvRmT1_T2_T3_mmT4_T5_P12ihipStream_tbEUlRKdE_EESK_SO_SP_mSQ_ST_bEUlT_E_NS1_11comp_targetILNS1_3genE10ELNS1_11target_archE1201ELNS1_3gpuE5ELNS1_3repE0EEENS1_30default_config_static_selectorELNS0_4arch9wavefront6targetE0EEEvSN_,"axG",@progbits,_ZN7rocprim17ROCPRIM_400000_NS6detail17trampoline_kernelINS0_14default_configENS1_27lower_bound_config_selectorIdlEEZNS1_14transform_implILb0ES3_S5_N6thrust23THRUST_200600_302600_NS17counting_iteratorIdNS8_11use_defaultESA_SA_EEPlZNS1_13binary_searchIS3_S5_PdSB_SC_NS1_21lower_bound_search_opENS8_6detail16wrapped_functionI11custom_lessbEEEE10hipError_tPvRmT1_T2_T3_mmT4_T5_P12ihipStream_tbEUlRKdE_EESK_SO_SP_mSQ_ST_bEUlT_E_NS1_11comp_targetILNS1_3genE10ELNS1_11target_archE1201ELNS1_3gpuE5ELNS1_3repE0EEENS1_30default_config_static_selectorELNS0_4arch9wavefront6targetE0EEEvSN_,comdat
	.protected	_ZN7rocprim17ROCPRIM_400000_NS6detail17trampoline_kernelINS0_14default_configENS1_27lower_bound_config_selectorIdlEEZNS1_14transform_implILb0ES3_S5_N6thrust23THRUST_200600_302600_NS17counting_iteratorIdNS8_11use_defaultESA_SA_EEPlZNS1_13binary_searchIS3_S5_PdSB_SC_NS1_21lower_bound_search_opENS8_6detail16wrapped_functionI11custom_lessbEEEE10hipError_tPvRmT1_T2_T3_mmT4_T5_P12ihipStream_tbEUlRKdE_EESK_SO_SP_mSQ_ST_bEUlT_E_NS1_11comp_targetILNS1_3genE10ELNS1_11target_archE1201ELNS1_3gpuE5ELNS1_3repE0EEENS1_30default_config_static_selectorELNS0_4arch9wavefront6targetE0EEEvSN_ ; -- Begin function _ZN7rocprim17ROCPRIM_400000_NS6detail17trampoline_kernelINS0_14default_configENS1_27lower_bound_config_selectorIdlEEZNS1_14transform_implILb0ES3_S5_N6thrust23THRUST_200600_302600_NS17counting_iteratorIdNS8_11use_defaultESA_SA_EEPlZNS1_13binary_searchIS3_S5_PdSB_SC_NS1_21lower_bound_search_opENS8_6detail16wrapped_functionI11custom_lessbEEEE10hipError_tPvRmT1_T2_T3_mmT4_T5_P12ihipStream_tbEUlRKdE_EESK_SO_SP_mSQ_ST_bEUlT_E_NS1_11comp_targetILNS1_3genE10ELNS1_11target_archE1201ELNS1_3gpuE5ELNS1_3repE0EEENS1_30default_config_static_selectorELNS0_4arch9wavefront6targetE0EEEvSN_
	.globl	_ZN7rocprim17ROCPRIM_400000_NS6detail17trampoline_kernelINS0_14default_configENS1_27lower_bound_config_selectorIdlEEZNS1_14transform_implILb0ES3_S5_N6thrust23THRUST_200600_302600_NS17counting_iteratorIdNS8_11use_defaultESA_SA_EEPlZNS1_13binary_searchIS3_S5_PdSB_SC_NS1_21lower_bound_search_opENS8_6detail16wrapped_functionI11custom_lessbEEEE10hipError_tPvRmT1_T2_T3_mmT4_T5_P12ihipStream_tbEUlRKdE_EESK_SO_SP_mSQ_ST_bEUlT_E_NS1_11comp_targetILNS1_3genE10ELNS1_11target_archE1201ELNS1_3gpuE5ELNS1_3repE0EEENS1_30default_config_static_selectorELNS0_4arch9wavefront6targetE0EEEvSN_
	.p2align	8
	.type	_ZN7rocprim17ROCPRIM_400000_NS6detail17trampoline_kernelINS0_14default_configENS1_27lower_bound_config_selectorIdlEEZNS1_14transform_implILb0ES3_S5_N6thrust23THRUST_200600_302600_NS17counting_iteratorIdNS8_11use_defaultESA_SA_EEPlZNS1_13binary_searchIS3_S5_PdSB_SC_NS1_21lower_bound_search_opENS8_6detail16wrapped_functionI11custom_lessbEEEE10hipError_tPvRmT1_T2_T3_mmT4_T5_P12ihipStream_tbEUlRKdE_EESK_SO_SP_mSQ_ST_bEUlT_E_NS1_11comp_targetILNS1_3genE10ELNS1_11target_archE1201ELNS1_3gpuE5ELNS1_3repE0EEENS1_30default_config_static_selectorELNS0_4arch9wavefront6targetE0EEEvSN_,@function
_ZN7rocprim17ROCPRIM_400000_NS6detail17trampoline_kernelINS0_14default_configENS1_27lower_bound_config_selectorIdlEEZNS1_14transform_implILb0ES3_S5_N6thrust23THRUST_200600_302600_NS17counting_iteratorIdNS8_11use_defaultESA_SA_EEPlZNS1_13binary_searchIS3_S5_PdSB_SC_NS1_21lower_bound_search_opENS8_6detail16wrapped_functionI11custom_lessbEEEE10hipError_tPvRmT1_T2_T3_mmT4_T5_P12ihipStream_tbEUlRKdE_EESK_SO_SP_mSQ_ST_bEUlT_E_NS1_11comp_targetILNS1_3genE10ELNS1_11target_archE1201ELNS1_3gpuE5ELNS1_3repE0EEENS1_30default_config_static_selectorELNS0_4arch9wavefront6targetE0EEEvSN_: ; @_ZN7rocprim17ROCPRIM_400000_NS6detail17trampoline_kernelINS0_14default_configENS1_27lower_bound_config_selectorIdlEEZNS1_14transform_implILb0ES3_S5_N6thrust23THRUST_200600_302600_NS17counting_iteratorIdNS8_11use_defaultESA_SA_EEPlZNS1_13binary_searchIS3_S5_PdSB_SC_NS1_21lower_bound_search_opENS8_6detail16wrapped_functionI11custom_lessbEEEE10hipError_tPvRmT1_T2_T3_mmT4_T5_P12ihipStream_tbEUlRKdE_EESK_SO_SP_mSQ_ST_bEUlT_E_NS1_11comp_targetILNS1_3genE10ELNS1_11target_archE1201ELNS1_3gpuE5ELNS1_3repE0EEENS1_30default_config_static_selectorELNS0_4arch9wavefront6targetE0EEEvSN_
; %bb.0:
	.section	.rodata,"a",@progbits
	.p2align	6, 0x0
	.amdhsa_kernel _ZN7rocprim17ROCPRIM_400000_NS6detail17trampoline_kernelINS0_14default_configENS1_27lower_bound_config_selectorIdlEEZNS1_14transform_implILb0ES3_S5_N6thrust23THRUST_200600_302600_NS17counting_iteratorIdNS8_11use_defaultESA_SA_EEPlZNS1_13binary_searchIS3_S5_PdSB_SC_NS1_21lower_bound_search_opENS8_6detail16wrapped_functionI11custom_lessbEEEE10hipError_tPvRmT1_T2_T3_mmT4_T5_P12ihipStream_tbEUlRKdE_EESK_SO_SP_mSQ_ST_bEUlT_E_NS1_11comp_targetILNS1_3genE10ELNS1_11target_archE1201ELNS1_3gpuE5ELNS1_3repE0EEENS1_30default_config_static_selectorELNS0_4arch9wavefront6targetE0EEEvSN_
		.amdhsa_group_segment_fixed_size 0
		.amdhsa_private_segment_fixed_size 0
		.amdhsa_kernarg_size 56
		.amdhsa_user_sgpr_count 15
		.amdhsa_user_sgpr_dispatch_ptr 0
		.amdhsa_user_sgpr_queue_ptr 0
		.amdhsa_user_sgpr_kernarg_segment_ptr 1
		.amdhsa_user_sgpr_dispatch_id 0
		.amdhsa_user_sgpr_private_segment_size 0
		.amdhsa_wavefront_size32 1
		.amdhsa_uses_dynamic_stack 0
		.amdhsa_enable_private_segment 0
		.amdhsa_system_sgpr_workgroup_id_x 1
		.amdhsa_system_sgpr_workgroup_id_y 0
		.amdhsa_system_sgpr_workgroup_id_z 0
		.amdhsa_system_sgpr_workgroup_info 0
		.amdhsa_system_vgpr_workitem_id 0
		.amdhsa_next_free_vgpr 1
		.amdhsa_next_free_sgpr 1
		.amdhsa_reserve_vcc 0
		.amdhsa_float_round_mode_32 0
		.amdhsa_float_round_mode_16_64 0
		.amdhsa_float_denorm_mode_32 3
		.amdhsa_float_denorm_mode_16_64 3
		.amdhsa_dx10_clamp 1
		.amdhsa_ieee_mode 1
		.amdhsa_fp16_overflow 0
		.amdhsa_workgroup_processor_mode 1
		.amdhsa_memory_ordered 1
		.amdhsa_forward_progress 0
		.amdhsa_shared_vgpr_count 0
		.amdhsa_exception_fp_ieee_invalid_op 0
		.amdhsa_exception_fp_denorm_src 0
		.amdhsa_exception_fp_ieee_div_zero 0
		.amdhsa_exception_fp_ieee_overflow 0
		.amdhsa_exception_fp_ieee_underflow 0
		.amdhsa_exception_fp_ieee_inexact 0
		.amdhsa_exception_int_div_zero 0
	.end_amdhsa_kernel
	.section	.text._ZN7rocprim17ROCPRIM_400000_NS6detail17trampoline_kernelINS0_14default_configENS1_27lower_bound_config_selectorIdlEEZNS1_14transform_implILb0ES3_S5_N6thrust23THRUST_200600_302600_NS17counting_iteratorIdNS8_11use_defaultESA_SA_EEPlZNS1_13binary_searchIS3_S5_PdSB_SC_NS1_21lower_bound_search_opENS8_6detail16wrapped_functionI11custom_lessbEEEE10hipError_tPvRmT1_T2_T3_mmT4_T5_P12ihipStream_tbEUlRKdE_EESK_SO_SP_mSQ_ST_bEUlT_E_NS1_11comp_targetILNS1_3genE10ELNS1_11target_archE1201ELNS1_3gpuE5ELNS1_3repE0EEENS1_30default_config_static_selectorELNS0_4arch9wavefront6targetE0EEEvSN_,"axG",@progbits,_ZN7rocprim17ROCPRIM_400000_NS6detail17trampoline_kernelINS0_14default_configENS1_27lower_bound_config_selectorIdlEEZNS1_14transform_implILb0ES3_S5_N6thrust23THRUST_200600_302600_NS17counting_iteratorIdNS8_11use_defaultESA_SA_EEPlZNS1_13binary_searchIS3_S5_PdSB_SC_NS1_21lower_bound_search_opENS8_6detail16wrapped_functionI11custom_lessbEEEE10hipError_tPvRmT1_T2_T3_mmT4_T5_P12ihipStream_tbEUlRKdE_EESK_SO_SP_mSQ_ST_bEUlT_E_NS1_11comp_targetILNS1_3genE10ELNS1_11target_archE1201ELNS1_3gpuE5ELNS1_3repE0EEENS1_30default_config_static_selectorELNS0_4arch9wavefront6targetE0EEEvSN_,comdat
.Lfunc_end8:
	.size	_ZN7rocprim17ROCPRIM_400000_NS6detail17trampoline_kernelINS0_14default_configENS1_27lower_bound_config_selectorIdlEEZNS1_14transform_implILb0ES3_S5_N6thrust23THRUST_200600_302600_NS17counting_iteratorIdNS8_11use_defaultESA_SA_EEPlZNS1_13binary_searchIS3_S5_PdSB_SC_NS1_21lower_bound_search_opENS8_6detail16wrapped_functionI11custom_lessbEEEE10hipError_tPvRmT1_T2_T3_mmT4_T5_P12ihipStream_tbEUlRKdE_EESK_SO_SP_mSQ_ST_bEUlT_E_NS1_11comp_targetILNS1_3genE10ELNS1_11target_archE1201ELNS1_3gpuE5ELNS1_3repE0EEENS1_30default_config_static_selectorELNS0_4arch9wavefront6targetE0EEEvSN_, .Lfunc_end8-_ZN7rocprim17ROCPRIM_400000_NS6detail17trampoline_kernelINS0_14default_configENS1_27lower_bound_config_selectorIdlEEZNS1_14transform_implILb0ES3_S5_N6thrust23THRUST_200600_302600_NS17counting_iteratorIdNS8_11use_defaultESA_SA_EEPlZNS1_13binary_searchIS3_S5_PdSB_SC_NS1_21lower_bound_search_opENS8_6detail16wrapped_functionI11custom_lessbEEEE10hipError_tPvRmT1_T2_T3_mmT4_T5_P12ihipStream_tbEUlRKdE_EESK_SO_SP_mSQ_ST_bEUlT_E_NS1_11comp_targetILNS1_3genE10ELNS1_11target_archE1201ELNS1_3gpuE5ELNS1_3repE0EEENS1_30default_config_static_selectorELNS0_4arch9wavefront6targetE0EEEvSN_
                                        ; -- End function
	.section	.AMDGPU.csdata,"",@progbits
; Kernel info:
; codeLenInByte = 0
; NumSgprs: 0
; NumVgprs: 0
; ScratchSize: 0
; MemoryBound: 0
; FloatMode: 240
; IeeeMode: 1
; LDSByteSize: 0 bytes/workgroup (compile time only)
; SGPRBlocks: 0
; VGPRBlocks: 0
; NumSGPRsForWavesPerEU: 1
; NumVGPRsForWavesPerEU: 1
; Occupancy: 16
; WaveLimiterHint : 0
; COMPUTE_PGM_RSRC2:SCRATCH_EN: 0
; COMPUTE_PGM_RSRC2:USER_SGPR: 15
; COMPUTE_PGM_RSRC2:TRAP_HANDLER: 0
; COMPUTE_PGM_RSRC2:TGID_X_EN: 1
; COMPUTE_PGM_RSRC2:TGID_Y_EN: 0
; COMPUTE_PGM_RSRC2:TGID_Z_EN: 0
; COMPUTE_PGM_RSRC2:TIDIG_COMP_CNT: 0
	.section	.text._ZN7rocprim17ROCPRIM_400000_NS6detail17trampoline_kernelINS0_14default_configENS1_27lower_bound_config_selectorIdlEEZNS1_14transform_implILb0ES3_S5_N6thrust23THRUST_200600_302600_NS17counting_iteratorIdNS8_11use_defaultESA_SA_EEPlZNS1_13binary_searchIS3_S5_PdSB_SC_NS1_21lower_bound_search_opENS8_6detail16wrapped_functionI11custom_lessbEEEE10hipError_tPvRmT1_T2_T3_mmT4_T5_P12ihipStream_tbEUlRKdE_EESK_SO_SP_mSQ_ST_bEUlT_E_NS1_11comp_targetILNS1_3genE10ELNS1_11target_archE1200ELNS1_3gpuE4ELNS1_3repE0EEENS1_30default_config_static_selectorELNS0_4arch9wavefront6targetE0EEEvSN_,"axG",@progbits,_ZN7rocprim17ROCPRIM_400000_NS6detail17trampoline_kernelINS0_14default_configENS1_27lower_bound_config_selectorIdlEEZNS1_14transform_implILb0ES3_S5_N6thrust23THRUST_200600_302600_NS17counting_iteratorIdNS8_11use_defaultESA_SA_EEPlZNS1_13binary_searchIS3_S5_PdSB_SC_NS1_21lower_bound_search_opENS8_6detail16wrapped_functionI11custom_lessbEEEE10hipError_tPvRmT1_T2_T3_mmT4_T5_P12ihipStream_tbEUlRKdE_EESK_SO_SP_mSQ_ST_bEUlT_E_NS1_11comp_targetILNS1_3genE10ELNS1_11target_archE1200ELNS1_3gpuE4ELNS1_3repE0EEENS1_30default_config_static_selectorELNS0_4arch9wavefront6targetE0EEEvSN_,comdat
	.protected	_ZN7rocprim17ROCPRIM_400000_NS6detail17trampoline_kernelINS0_14default_configENS1_27lower_bound_config_selectorIdlEEZNS1_14transform_implILb0ES3_S5_N6thrust23THRUST_200600_302600_NS17counting_iteratorIdNS8_11use_defaultESA_SA_EEPlZNS1_13binary_searchIS3_S5_PdSB_SC_NS1_21lower_bound_search_opENS8_6detail16wrapped_functionI11custom_lessbEEEE10hipError_tPvRmT1_T2_T3_mmT4_T5_P12ihipStream_tbEUlRKdE_EESK_SO_SP_mSQ_ST_bEUlT_E_NS1_11comp_targetILNS1_3genE10ELNS1_11target_archE1200ELNS1_3gpuE4ELNS1_3repE0EEENS1_30default_config_static_selectorELNS0_4arch9wavefront6targetE0EEEvSN_ ; -- Begin function _ZN7rocprim17ROCPRIM_400000_NS6detail17trampoline_kernelINS0_14default_configENS1_27lower_bound_config_selectorIdlEEZNS1_14transform_implILb0ES3_S5_N6thrust23THRUST_200600_302600_NS17counting_iteratorIdNS8_11use_defaultESA_SA_EEPlZNS1_13binary_searchIS3_S5_PdSB_SC_NS1_21lower_bound_search_opENS8_6detail16wrapped_functionI11custom_lessbEEEE10hipError_tPvRmT1_T2_T3_mmT4_T5_P12ihipStream_tbEUlRKdE_EESK_SO_SP_mSQ_ST_bEUlT_E_NS1_11comp_targetILNS1_3genE10ELNS1_11target_archE1200ELNS1_3gpuE4ELNS1_3repE0EEENS1_30default_config_static_selectorELNS0_4arch9wavefront6targetE0EEEvSN_
	.globl	_ZN7rocprim17ROCPRIM_400000_NS6detail17trampoline_kernelINS0_14default_configENS1_27lower_bound_config_selectorIdlEEZNS1_14transform_implILb0ES3_S5_N6thrust23THRUST_200600_302600_NS17counting_iteratorIdNS8_11use_defaultESA_SA_EEPlZNS1_13binary_searchIS3_S5_PdSB_SC_NS1_21lower_bound_search_opENS8_6detail16wrapped_functionI11custom_lessbEEEE10hipError_tPvRmT1_T2_T3_mmT4_T5_P12ihipStream_tbEUlRKdE_EESK_SO_SP_mSQ_ST_bEUlT_E_NS1_11comp_targetILNS1_3genE10ELNS1_11target_archE1200ELNS1_3gpuE4ELNS1_3repE0EEENS1_30default_config_static_selectorELNS0_4arch9wavefront6targetE0EEEvSN_
	.p2align	8
	.type	_ZN7rocprim17ROCPRIM_400000_NS6detail17trampoline_kernelINS0_14default_configENS1_27lower_bound_config_selectorIdlEEZNS1_14transform_implILb0ES3_S5_N6thrust23THRUST_200600_302600_NS17counting_iteratorIdNS8_11use_defaultESA_SA_EEPlZNS1_13binary_searchIS3_S5_PdSB_SC_NS1_21lower_bound_search_opENS8_6detail16wrapped_functionI11custom_lessbEEEE10hipError_tPvRmT1_T2_T3_mmT4_T5_P12ihipStream_tbEUlRKdE_EESK_SO_SP_mSQ_ST_bEUlT_E_NS1_11comp_targetILNS1_3genE10ELNS1_11target_archE1200ELNS1_3gpuE4ELNS1_3repE0EEENS1_30default_config_static_selectorELNS0_4arch9wavefront6targetE0EEEvSN_,@function
_ZN7rocprim17ROCPRIM_400000_NS6detail17trampoline_kernelINS0_14default_configENS1_27lower_bound_config_selectorIdlEEZNS1_14transform_implILb0ES3_S5_N6thrust23THRUST_200600_302600_NS17counting_iteratorIdNS8_11use_defaultESA_SA_EEPlZNS1_13binary_searchIS3_S5_PdSB_SC_NS1_21lower_bound_search_opENS8_6detail16wrapped_functionI11custom_lessbEEEE10hipError_tPvRmT1_T2_T3_mmT4_T5_P12ihipStream_tbEUlRKdE_EESK_SO_SP_mSQ_ST_bEUlT_E_NS1_11comp_targetILNS1_3genE10ELNS1_11target_archE1200ELNS1_3gpuE4ELNS1_3repE0EEENS1_30default_config_static_selectorELNS0_4arch9wavefront6targetE0EEEvSN_: ; @_ZN7rocprim17ROCPRIM_400000_NS6detail17trampoline_kernelINS0_14default_configENS1_27lower_bound_config_selectorIdlEEZNS1_14transform_implILb0ES3_S5_N6thrust23THRUST_200600_302600_NS17counting_iteratorIdNS8_11use_defaultESA_SA_EEPlZNS1_13binary_searchIS3_S5_PdSB_SC_NS1_21lower_bound_search_opENS8_6detail16wrapped_functionI11custom_lessbEEEE10hipError_tPvRmT1_T2_T3_mmT4_T5_P12ihipStream_tbEUlRKdE_EESK_SO_SP_mSQ_ST_bEUlT_E_NS1_11comp_targetILNS1_3genE10ELNS1_11target_archE1200ELNS1_3gpuE4ELNS1_3repE0EEENS1_30default_config_static_selectorELNS0_4arch9wavefront6targetE0EEEvSN_
; %bb.0:
	.section	.rodata,"a",@progbits
	.p2align	6, 0x0
	.amdhsa_kernel _ZN7rocprim17ROCPRIM_400000_NS6detail17trampoline_kernelINS0_14default_configENS1_27lower_bound_config_selectorIdlEEZNS1_14transform_implILb0ES3_S5_N6thrust23THRUST_200600_302600_NS17counting_iteratorIdNS8_11use_defaultESA_SA_EEPlZNS1_13binary_searchIS3_S5_PdSB_SC_NS1_21lower_bound_search_opENS8_6detail16wrapped_functionI11custom_lessbEEEE10hipError_tPvRmT1_T2_T3_mmT4_T5_P12ihipStream_tbEUlRKdE_EESK_SO_SP_mSQ_ST_bEUlT_E_NS1_11comp_targetILNS1_3genE10ELNS1_11target_archE1200ELNS1_3gpuE4ELNS1_3repE0EEENS1_30default_config_static_selectorELNS0_4arch9wavefront6targetE0EEEvSN_
		.amdhsa_group_segment_fixed_size 0
		.amdhsa_private_segment_fixed_size 0
		.amdhsa_kernarg_size 56
		.amdhsa_user_sgpr_count 15
		.amdhsa_user_sgpr_dispatch_ptr 0
		.amdhsa_user_sgpr_queue_ptr 0
		.amdhsa_user_sgpr_kernarg_segment_ptr 1
		.amdhsa_user_sgpr_dispatch_id 0
		.amdhsa_user_sgpr_private_segment_size 0
		.amdhsa_wavefront_size32 1
		.amdhsa_uses_dynamic_stack 0
		.amdhsa_enable_private_segment 0
		.amdhsa_system_sgpr_workgroup_id_x 1
		.amdhsa_system_sgpr_workgroup_id_y 0
		.amdhsa_system_sgpr_workgroup_id_z 0
		.amdhsa_system_sgpr_workgroup_info 0
		.amdhsa_system_vgpr_workitem_id 0
		.amdhsa_next_free_vgpr 1
		.amdhsa_next_free_sgpr 1
		.amdhsa_reserve_vcc 0
		.amdhsa_float_round_mode_32 0
		.amdhsa_float_round_mode_16_64 0
		.amdhsa_float_denorm_mode_32 3
		.amdhsa_float_denorm_mode_16_64 3
		.amdhsa_dx10_clamp 1
		.amdhsa_ieee_mode 1
		.amdhsa_fp16_overflow 0
		.amdhsa_workgroup_processor_mode 1
		.amdhsa_memory_ordered 1
		.amdhsa_forward_progress 0
		.amdhsa_shared_vgpr_count 0
		.amdhsa_exception_fp_ieee_invalid_op 0
		.amdhsa_exception_fp_denorm_src 0
		.amdhsa_exception_fp_ieee_div_zero 0
		.amdhsa_exception_fp_ieee_overflow 0
		.amdhsa_exception_fp_ieee_underflow 0
		.amdhsa_exception_fp_ieee_inexact 0
		.amdhsa_exception_int_div_zero 0
	.end_amdhsa_kernel
	.section	.text._ZN7rocprim17ROCPRIM_400000_NS6detail17trampoline_kernelINS0_14default_configENS1_27lower_bound_config_selectorIdlEEZNS1_14transform_implILb0ES3_S5_N6thrust23THRUST_200600_302600_NS17counting_iteratorIdNS8_11use_defaultESA_SA_EEPlZNS1_13binary_searchIS3_S5_PdSB_SC_NS1_21lower_bound_search_opENS8_6detail16wrapped_functionI11custom_lessbEEEE10hipError_tPvRmT1_T2_T3_mmT4_T5_P12ihipStream_tbEUlRKdE_EESK_SO_SP_mSQ_ST_bEUlT_E_NS1_11comp_targetILNS1_3genE10ELNS1_11target_archE1200ELNS1_3gpuE4ELNS1_3repE0EEENS1_30default_config_static_selectorELNS0_4arch9wavefront6targetE0EEEvSN_,"axG",@progbits,_ZN7rocprim17ROCPRIM_400000_NS6detail17trampoline_kernelINS0_14default_configENS1_27lower_bound_config_selectorIdlEEZNS1_14transform_implILb0ES3_S5_N6thrust23THRUST_200600_302600_NS17counting_iteratorIdNS8_11use_defaultESA_SA_EEPlZNS1_13binary_searchIS3_S5_PdSB_SC_NS1_21lower_bound_search_opENS8_6detail16wrapped_functionI11custom_lessbEEEE10hipError_tPvRmT1_T2_T3_mmT4_T5_P12ihipStream_tbEUlRKdE_EESK_SO_SP_mSQ_ST_bEUlT_E_NS1_11comp_targetILNS1_3genE10ELNS1_11target_archE1200ELNS1_3gpuE4ELNS1_3repE0EEENS1_30default_config_static_selectorELNS0_4arch9wavefront6targetE0EEEvSN_,comdat
.Lfunc_end9:
	.size	_ZN7rocprim17ROCPRIM_400000_NS6detail17trampoline_kernelINS0_14default_configENS1_27lower_bound_config_selectorIdlEEZNS1_14transform_implILb0ES3_S5_N6thrust23THRUST_200600_302600_NS17counting_iteratorIdNS8_11use_defaultESA_SA_EEPlZNS1_13binary_searchIS3_S5_PdSB_SC_NS1_21lower_bound_search_opENS8_6detail16wrapped_functionI11custom_lessbEEEE10hipError_tPvRmT1_T2_T3_mmT4_T5_P12ihipStream_tbEUlRKdE_EESK_SO_SP_mSQ_ST_bEUlT_E_NS1_11comp_targetILNS1_3genE10ELNS1_11target_archE1200ELNS1_3gpuE4ELNS1_3repE0EEENS1_30default_config_static_selectorELNS0_4arch9wavefront6targetE0EEEvSN_, .Lfunc_end9-_ZN7rocprim17ROCPRIM_400000_NS6detail17trampoline_kernelINS0_14default_configENS1_27lower_bound_config_selectorIdlEEZNS1_14transform_implILb0ES3_S5_N6thrust23THRUST_200600_302600_NS17counting_iteratorIdNS8_11use_defaultESA_SA_EEPlZNS1_13binary_searchIS3_S5_PdSB_SC_NS1_21lower_bound_search_opENS8_6detail16wrapped_functionI11custom_lessbEEEE10hipError_tPvRmT1_T2_T3_mmT4_T5_P12ihipStream_tbEUlRKdE_EESK_SO_SP_mSQ_ST_bEUlT_E_NS1_11comp_targetILNS1_3genE10ELNS1_11target_archE1200ELNS1_3gpuE4ELNS1_3repE0EEENS1_30default_config_static_selectorELNS0_4arch9wavefront6targetE0EEEvSN_
                                        ; -- End function
	.section	.AMDGPU.csdata,"",@progbits
; Kernel info:
; codeLenInByte = 0
; NumSgprs: 0
; NumVgprs: 0
; ScratchSize: 0
; MemoryBound: 0
; FloatMode: 240
; IeeeMode: 1
; LDSByteSize: 0 bytes/workgroup (compile time only)
; SGPRBlocks: 0
; VGPRBlocks: 0
; NumSGPRsForWavesPerEU: 1
; NumVGPRsForWavesPerEU: 1
; Occupancy: 16
; WaveLimiterHint : 0
; COMPUTE_PGM_RSRC2:SCRATCH_EN: 0
; COMPUTE_PGM_RSRC2:USER_SGPR: 15
; COMPUTE_PGM_RSRC2:TRAP_HANDLER: 0
; COMPUTE_PGM_RSRC2:TGID_X_EN: 1
; COMPUTE_PGM_RSRC2:TGID_Y_EN: 0
; COMPUTE_PGM_RSRC2:TGID_Z_EN: 0
; COMPUTE_PGM_RSRC2:TIDIG_COMP_CNT: 0
	.section	.text._ZN7rocprim17ROCPRIM_400000_NS6detail17trampoline_kernelINS0_14default_configENS1_27lower_bound_config_selectorIdlEEZNS1_14transform_implILb0ES3_S5_N6thrust23THRUST_200600_302600_NS17counting_iteratorIdNS8_11use_defaultESA_SA_EEPlZNS1_13binary_searchIS3_S5_PdSB_SC_NS1_21lower_bound_search_opENS8_6detail16wrapped_functionI11custom_lessbEEEE10hipError_tPvRmT1_T2_T3_mmT4_T5_P12ihipStream_tbEUlRKdE_EESK_SO_SP_mSQ_ST_bEUlT_E_NS1_11comp_targetILNS1_3genE9ELNS1_11target_archE1100ELNS1_3gpuE3ELNS1_3repE0EEENS1_30default_config_static_selectorELNS0_4arch9wavefront6targetE0EEEvSN_,"axG",@progbits,_ZN7rocprim17ROCPRIM_400000_NS6detail17trampoline_kernelINS0_14default_configENS1_27lower_bound_config_selectorIdlEEZNS1_14transform_implILb0ES3_S5_N6thrust23THRUST_200600_302600_NS17counting_iteratorIdNS8_11use_defaultESA_SA_EEPlZNS1_13binary_searchIS3_S5_PdSB_SC_NS1_21lower_bound_search_opENS8_6detail16wrapped_functionI11custom_lessbEEEE10hipError_tPvRmT1_T2_T3_mmT4_T5_P12ihipStream_tbEUlRKdE_EESK_SO_SP_mSQ_ST_bEUlT_E_NS1_11comp_targetILNS1_3genE9ELNS1_11target_archE1100ELNS1_3gpuE3ELNS1_3repE0EEENS1_30default_config_static_selectorELNS0_4arch9wavefront6targetE0EEEvSN_,comdat
	.protected	_ZN7rocprim17ROCPRIM_400000_NS6detail17trampoline_kernelINS0_14default_configENS1_27lower_bound_config_selectorIdlEEZNS1_14transform_implILb0ES3_S5_N6thrust23THRUST_200600_302600_NS17counting_iteratorIdNS8_11use_defaultESA_SA_EEPlZNS1_13binary_searchIS3_S5_PdSB_SC_NS1_21lower_bound_search_opENS8_6detail16wrapped_functionI11custom_lessbEEEE10hipError_tPvRmT1_T2_T3_mmT4_T5_P12ihipStream_tbEUlRKdE_EESK_SO_SP_mSQ_ST_bEUlT_E_NS1_11comp_targetILNS1_3genE9ELNS1_11target_archE1100ELNS1_3gpuE3ELNS1_3repE0EEENS1_30default_config_static_selectorELNS0_4arch9wavefront6targetE0EEEvSN_ ; -- Begin function _ZN7rocprim17ROCPRIM_400000_NS6detail17trampoline_kernelINS0_14default_configENS1_27lower_bound_config_selectorIdlEEZNS1_14transform_implILb0ES3_S5_N6thrust23THRUST_200600_302600_NS17counting_iteratorIdNS8_11use_defaultESA_SA_EEPlZNS1_13binary_searchIS3_S5_PdSB_SC_NS1_21lower_bound_search_opENS8_6detail16wrapped_functionI11custom_lessbEEEE10hipError_tPvRmT1_T2_T3_mmT4_T5_P12ihipStream_tbEUlRKdE_EESK_SO_SP_mSQ_ST_bEUlT_E_NS1_11comp_targetILNS1_3genE9ELNS1_11target_archE1100ELNS1_3gpuE3ELNS1_3repE0EEENS1_30default_config_static_selectorELNS0_4arch9wavefront6targetE0EEEvSN_
	.globl	_ZN7rocprim17ROCPRIM_400000_NS6detail17trampoline_kernelINS0_14default_configENS1_27lower_bound_config_selectorIdlEEZNS1_14transform_implILb0ES3_S5_N6thrust23THRUST_200600_302600_NS17counting_iteratorIdNS8_11use_defaultESA_SA_EEPlZNS1_13binary_searchIS3_S5_PdSB_SC_NS1_21lower_bound_search_opENS8_6detail16wrapped_functionI11custom_lessbEEEE10hipError_tPvRmT1_T2_T3_mmT4_T5_P12ihipStream_tbEUlRKdE_EESK_SO_SP_mSQ_ST_bEUlT_E_NS1_11comp_targetILNS1_3genE9ELNS1_11target_archE1100ELNS1_3gpuE3ELNS1_3repE0EEENS1_30default_config_static_selectorELNS0_4arch9wavefront6targetE0EEEvSN_
	.p2align	8
	.type	_ZN7rocprim17ROCPRIM_400000_NS6detail17trampoline_kernelINS0_14default_configENS1_27lower_bound_config_selectorIdlEEZNS1_14transform_implILb0ES3_S5_N6thrust23THRUST_200600_302600_NS17counting_iteratorIdNS8_11use_defaultESA_SA_EEPlZNS1_13binary_searchIS3_S5_PdSB_SC_NS1_21lower_bound_search_opENS8_6detail16wrapped_functionI11custom_lessbEEEE10hipError_tPvRmT1_T2_T3_mmT4_T5_P12ihipStream_tbEUlRKdE_EESK_SO_SP_mSQ_ST_bEUlT_E_NS1_11comp_targetILNS1_3genE9ELNS1_11target_archE1100ELNS1_3gpuE3ELNS1_3repE0EEENS1_30default_config_static_selectorELNS0_4arch9wavefront6targetE0EEEvSN_,@function
_ZN7rocprim17ROCPRIM_400000_NS6detail17trampoline_kernelINS0_14default_configENS1_27lower_bound_config_selectorIdlEEZNS1_14transform_implILb0ES3_S5_N6thrust23THRUST_200600_302600_NS17counting_iteratorIdNS8_11use_defaultESA_SA_EEPlZNS1_13binary_searchIS3_S5_PdSB_SC_NS1_21lower_bound_search_opENS8_6detail16wrapped_functionI11custom_lessbEEEE10hipError_tPvRmT1_T2_T3_mmT4_T5_P12ihipStream_tbEUlRKdE_EESK_SO_SP_mSQ_ST_bEUlT_E_NS1_11comp_targetILNS1_3genE9ELNS1_11target_archE1100ELNS1_3gpuE3ELNS1_3repE0EEENS1_30default_config_static_selectorELNS0_4arch9wavefront6targetE0EEEvSN_: ; @_ZN7rocprim17ROCPRIM_400000_NS6detail17trampoline_kernelINS0_14default_configENS1_27lower_bound_config_selectorIdlEEZNS1_14transform_implILb0ES3_S5_N6thrust23THRUST_200600_302600_NS17counting_iteratorIdNS8_11use_defaultESA_SA_EEPlZNS1_13binary_searchIS3_S5_PdSB_SC_NS1_21lower_bound_search_opENS8_6detail16wrapped_functionI11custom_lessbEEEE10hipError_tPvRmT1_T2_T3_mmT4_T5_P12ihipStream_tbEUlRKdE_EESK_SO_SP_mSQ_ST_bEUlT_E_NS1_11comp_targetILNS1_3genE9ELNS1_11target_archE1100ELNS1_3gpuE3ELNS1_3repE0EEENS1_30default_config_static_selectorELNS0_4arch9wavefront6targetE0EEEvSN_
; %bb.0:
	s_clause 0x3
	s_load_b128 s[8:11], s[0:1], 0x0
	s_load_b128 s[4:7], s[0:1], 0x18
	s_load_b32 s2, s[0:1], 0x38
	s_load_b64 s[12:13], s[0:1], 0x28
	s_mov_b32 s3, -1
	s_waitcnt lgkmcnt(0)
	v_cvt_f64_i32_e32 v[1:2], s11
	v_cvt_f64_u32_e32 v[3:4], s10
	s_add_i32 s2, s2, -1
	s_delay_alu instid0(VALU_DEP_2) | instskip(NEXT) | instid1(VALU_DEP_1)
	v_ldexp_f64 v[1:2], v[1:2], 32
	v_add_f64 v[1:2], v[1:2], v[3:4]
	s_delay_alu instid0(VALU_DEP_1)
	v_add_f64 v[3:4], s[8:9], v[1:2]
	s_lshl_b32 s8, s15, 8
	s_mov_b32 s9, 0
	s_cmp_lg_u32 s15, s2
	s_cbranch_scc0 .LBB10_6
; %bb.1:
	v_mov_b32_e32 v1, 0
	v_mov_b32_e32 v2, 0
	s_cmp_eq_u64 s[12:13], 0
	s_cbranch_scc1 .LBB10_5
; %bb.2:
	v_cvt_f64_u32_e32 v[1:2], s8
	v_cvt_f64_u32_e32 v[5:6], v0
	s_mov_b32 s3, 0
	v_dual_mov_b32 v7, s12 :: v_dual_mov_b32 v8, s13
	s_delay_alu instid0(VALU_DEP_3) | instskip(NEXT) | instid1(VALU_DEP_1)
	v_add_f64 v[1:2], v[3:4], v[1:2]
	v_add_f64 v[5:6], v[1:2], v[5:6]
	v_mov_b32_e32 v1, 0
	v_mov_b32_e32 v2, 0
	s_set_inst_prefetch_distance 0x1
	.p2align	6
.LBB10_3:                               ; =>This Inner Loop Header: Depth=1
	s_delay_alu instid0(VALU_DEP_2) | instskip(NEXT) | instid1(VALU_DEP_2)
	v_sub_co_u32 v9, vcc_lo, v7, v1
	v_sub_co_ci_u32_e32 v10, vcc_lo, v8, v2, vcc_lo
	s_delay_alu instid0(VALU_DEP_1) | instskip(SKIP_1) | instid1(VALU_DEP_2)
	v_lshrrev_b64 v[11:12], 1, v[9:10]
	v_lshrrev_b64 v[9:10], 6, v[9:10]
	v_add_co_u32 v11, vcc_lo, v11, v1
	s_delay_alu instid0(VALU_DEP_3) | instskip(NEXT) | instid1(VALU_DEP_2)
	v_add_co_ci_u32_e32 v12, vcc_lo, v12, v2, vcc_lo
	v_add_co_u32 v9, vcc_lo, v11, v9
	s_delay_alu instid0(VALU_DEP_2) | instskip(NEXT) | instid1(VALU_DEP_1)
	v_add_co_ci_u32_e32 v10, vcc_lo, v12, v10, vcc_lo
	v_lshlrev_b64 v[11:12], 3, v[9:10]
	s_delay_alu instid0(VALU_DEP_1) | instskip(NEXT) | instid1(VALU_DEP_2)
	v_add_co_u32 v11, vcc_lo, s6, v11
	v_add_co_ci_u32_e32 v12, vcc_lo, s7, v12, vcc_lo
	global_load_b64 v[11:12], v[11:12], off
	s_waitcnt vmcnt(0)
	v_cmp_lt_f64_e32 vcc_lo, v[11:12], v[5:6]
	v_add_co_u32 v11, s2, v9, 1
	s_delay_alu instid0(VALU_DEP_1) | instskip(SKIP_1) | instid1(VALU_DEP_2)
	v_add_co_ci_u32_e64 v12, s2, 0, v10, s2
	v_dual_cndmask_b32 v8, v10, v8 :: v_dual_cndmask_b32 v7, v9, v7
	v_dual_cndmask_b32 v2, v2, v12 :: v_dual_cndmask_b32 v1, v1, v11
	s_delay_alu instid0(VALU_DEP_1) | instskip(SKIP_1) | instid1(SALU_CYCLE_1)
	v_cmp_ge_u64_e32 vcc_lo, v[1:2], v[7:8]
	s_or_b32 s3, vcc_lo, s3
	s_and_not1_b32 exec_lo, exec_lo, s3
	s_cbranch_execnz .LBB10_3
; %bb.4:
	s_set_inst_prefetch_distance 0x2
	s_or_b32 exec_lo, exec_lo, s3
.LBB10_5:
	s_mov_b32 s2, -1
	s_cbranch_execz .LBB10_7
	s_branch .LBB10_13
.LBB10_6:
	s_mov_b32 s2, s9
                                        ; implicit-def: $vgpr1_vgpr2
	s_and_not1_b32 vcc_lo, exec_lo, s3
	s_cbranch_vccnz .LBB10_13
.LBB10_7:
	s_load_b32 s0, s[0:1], 0x10
                                        ; implicit-def: $vgpr1_vgpr2
	s_waitcnt lgkmcnt(0)
	s_sub_i32 s0, s0, s8
	s_delay_alu instid0(SALU_CYCLE_1) | instskip(NEXT) | instid1(VALU_DEP_1)
	v_cmp_gt_u32_e64 s2, s0, v0
	s_and_saveexec_b32 s1, s2
	s_cbranch_execz .LBB10_12
; %bb.8:
	v_mov_b32_e32 v1, 0
	v_mov_b32_e32 v2, 0
	s_cmp_eq_u64 s[12:13], 0
	s_cbranch_scc1 .LBB10_12
; %bb.9:
	v_cvt_f64_u32_e32 v[1:2], s8
	s_mov_b32 s3, 0
	v_dual_mov_b32 v5, s12 :: v_dual_mov_b32 v6, s13
	s_delay_alu instid0(VALU_DEP_2) | instskip(SKIP_1) | instid1(VALU_DEP_1)
	v_add_f64 v[1:2], v[3:4], v[1:2]
	v_cvt_f64_u32_e32 v[3:4], v0
	v_add_f64 v[3:4], v[1:2], v[3:4]
	v_mov_b32_e32 v1, 0
	v_mov_b32_e32 v2, 0
	s_set_inst_prefetch_distance 0x1
	.p2align	6
.LBB10_10:                              ; =>This Inner Loop Header: Depth=1
	s_delay_alu instid0(VALU_DEP_2) | instskip(NEXT) | instid1(VALU_DEP_2)
	v_sub_co_u32 v7, vcc_lo, v5, v1
	v_sub_co_ci_u32_e32 v8, vcc_lo, v6, v2, vcc_lo
	s_delay_alu instid0(VALU_DEP_1) | instskip(SKIP_1) | instid1(VALU_DEP_2)
	v_lshrrev_b64 v[9:10], 1, v[7:8]
	v_lshrrev_b64 v[7:8], 6, v[7:8]
	v_add_co_u32 v9, vcc_lo, v9, v1
	s_delay_alu instid0(VALU_DEP_3) | instskip(NEXT) | instid1(VALU_DEP_2)
	v_add_co_ci_u32_e32 v10, vcc_lo, v10, v2, vcc_lo
	v_add_co_u32 v7, vcc_lo, v9, v7
	s_delay_alu instid0(VALU_DEP_2) | instskip(NEXT) | instid1(VALU_DEP_1)
	v_add_co_ci_u32_e32 v8, vcc_lo, v10, v8, vcc_lo
	v_lshlrev_b64 v[9:10], 3, v[7:8]
	s_delay_alu instid0(VALU_DEP_1) | instskip(NEXT) | instid1(VALU_DEP_2)
	v_add_co_u32 v9, vcc_lo, s6, v9
	v_add_co_ci_u32_e32 v10, vcc_lo, s7, v10, vcc_lo
	global_load_b64 v[9:10], v[9:10], off
	s_waitcnt vmcnt(0)
	v_cmp_lt_f64_e32 vcc_lo, v[9:10], v[3:4]
	v_add_co_u32 v9, s0, v7, 1
	s_delay_alu instid0(VALU_DEP_1) | instskip(SKIP_1) | instid1(VALU_DEP_2)
	v_add_co_ci_u32_e64 v10, s0, 0, v8, s0
	v_dual_cndmask_b32 v6, v8, v6 :: v_dual_cndmask_b32 v5, v7, v5
	v_dual_cndmask_b32 v2, v2, v10 :: v_dual_cndmask_b32 v1, v1, v9
	s_delay_alu instid0(VALU_DEP_1) | instskip(SKIP_1) | instid1(SALU_CYCLE_1)
	v_cmp_ge_u64_e32 vcc_lo, v[1:2], v[5:6]
	s_or_b32 s3, vcc_lo, s3
	s_and_not1_b32 exec_lo, exec_lo, s3
	s_cbranch_execnz .LBB10_10
; %bb.11:
	s_set_inst_prefetch_distance 0x2
	s_or_b32 exec_lo, exec_lo, s3
.LBB10_12:
	s_delay_alu instid0(SALU_CYCLE_1)
	s_or_b32 exec_lo, exec_lo, s1
.LBB10_13:
	s_and_saveexec_b32 s0, s2
	s_cbranch_execnz .LBB10_15
; %bb.14:
	s_endpgm
.LBB10_15:
	s_lshl_b64 s[0:1], s[10:11], 3
	v_lshlrev_b32_e32 v0, 3, v0
	s_add_u32 s2, s4, s0
	s_addc_u32 s3, s5, s1
	s_lshl_b64 s[0:1], s[8:9], 3
	s_delay_alu instid0(SALU_CYCLE_1)
	s_add_u32 s0, s2, s0
	s_addc_u32 s1, s3, s1
	global_store_b64 v0, v[1:2], s[0:1]
	s_nop 0
	s_sendmsg sendmsg(MSG_DEALLOC_VGPRS)
	s_endpgm
	.section	.rodata,"a",@progbits
	.p2align	6, 0x0
	.amdhsa_kernel _ZN7rocprim17ROCPRIM_400000_NS6detail17trampoline_kernelINS0_14default_configENS1_27lower_bound_config_selectorIdlEEZNS1_14transform_implILb0ES3_S5_N6thrust23THRUST_200600_302600_NS17counting_iteratorIdNS8_11use_defaultESA_SA_EEPlZNS1_13binary_searchIS3_S5_PdSB_SC_NS1_21lower_bound_search_opENS8_6detail16wrapped_functionI11custom_lessbEEEE10hipError_tPvRmT1_T2_T3_mmT4_T5_P12ihipStream_tbEUlRKdE_EESK_SO_SP_mSQ_ST_bEUlT_E_NS1_11comp_targetILNS1_3genE9ELNS1_11target_archE1100ELNS1_3gpuE3ELNS1_3repE0EEENS1_30default_config_static_selectorELNS0_4arch9wavefront6targetE0EEEvSN_
		.amdhsa_group_segment_fixed_size 0
		.amdhsa_private_segment_fixed_size 0
		.amdhsa_kernarg_size 312
		.amdhsa_user_sgpr_count 15
		.amdhsa_user_sgpr_dispatch_ptr 0
		.amdhsa_user_sgpr_queue_ptr 0
		.amdhsa_user_sgpr_kernarg_segment_ptr 1
		.amdhsa_user_sgpr_dispatch_id 0
		.amdhsa_user_sgpr_private_segment_size 0
		.amdhsa_wavefront_size32 1
		.amdhsa_uses_dynamic_stack 0
		.amdhsa_enable_private_segment 0
		.amdhsa_system_sgpr_workgroup_id_x 1
		.amdhsa_system_sgpr_workgroup_id_y 0
		.amdhsa_system_sgpr_workgroup_id_z 0
		.amdhsa_system_sgpr_workgroup_info 0
		.amdhsa_system_vgpr_workitem_id 0
		.amdhsa_next_free_vgpr 13
		.amdhsa_next_free_sgpr 16
		.amdhsa_reserve_vcc 1
		.amdhsa_float_round_mode_32 0
		.amdhsa_float_round_mode_16_64 0
		.amdhsa_float_denorm_mode_32 3
		.amdhsa_float_denorm_mode_16_64 3
		.amdhsa_dx10_clamp 1
		.amdhsa_ieee_mode 1
		.amdhsa_fp16_overflow 0
		.amdhsa_workgroup_processor_mode 1
		.amdhsa_memory_ordered 1
		.amdhsa_forward_progress 0
		.amdhsa_shared_vgpr_count 0
		.amdhsa_exception_fp_ieee_invalid_op 0
		.amdhsa_exception_fp_denorm_src 0
		.amdhsa_exception_fp_ieee_div_zero 0
		.amdhsa_exception_fp_ieee_overflow 0
		.amdhsa_exception_fp_ieee_underflow 0
		.amdhsa_exception_fp_ieee_inexact 0
		.amdhsa_exception_int_div_zero 0
	.end_amdhsa_kernel
	.section	.text._ZN7rocprim17ROCPRIM_400000_NS6detail17trampoline_kernelINS0_14default_configENS1_27lower_bound_config_selectorIdlEEZNS1_14transform_implILb0ES3_S5_N6thrust23THRUST_200600_302600_NS17counting_iteratorIdNS8_11use_defaultESA_SA_EEPlZNS1_13binary_searchIS3_S5_PdSB_SC_NS1_21lower_bound_search_opENS8_6detail16wrapped_functionI11custom_lessbEEEE10hipError_tPvRmT1_T2_T3_mmT4_T5_P12ihipStream_tbEUlRKdE_EESK_SO_SP_mSQ_ST_bEUlT_E_NS1_11comp_targetILNS1_3genE9ELNS1_11target_archE1100ELNS1_3gpuE3ELNS1_3repE0EEENS1_30default_config_static_selectorELNS0_4arch9wavefront6targetE0EEEvSN_,"axG",@progbits,_ZN7rocprim17ROCPRIM_400000_NS6detail17trampoline_kernelINS0_14default_configENS1_27lower_bound_config_selectorIdlEEZNS1_14transform_implILb0ES3_S5_N6thrust23THRUST_200600_302600_NS17counting_iteratorIdNS8_11use_defaultESA_SA_EEPlZNS1_13binary_searchIS3_S5_PdSB_SC_NS1_21lower_bound_search_opENS8_6detail16wrapped_functionI11custom_lessbEEEE10hipError_tPvRmT1_T2_T3_mmT4_T5_P12ihipStream_tbEUlRKdE_EESK_SO_SP_mSQ_ST_bEUlT_E_NS1_11comp_targetILNS1_3genE9ELNS1_11target_archE1100ELNS1_3gpuE3ELNS1_3repE0EEENS1_30default_config_static_selectorELNS0_4arch9wavefront6targetE0EEEvSN_,comdat
.Lfunc_end10:
	.size	_ZN7rocprim17ROCPRIM_400000_NS6detail17trampoline_kernelINS0_14default_configENS1_27lower_bound_config_selectorIdlEEZNS1_14transform_implILb0ES3_S5_N6thrust23THRUST_200600_302600_NS17counting_iteratorIdNS8_11use_defaultESA_SA_EEPlZNS1_13binary_searchIS3_S5_PdSB_SC_NS1_21lower_bound_search_opENS8_6detail16wrapped_functionI11custom_lessbEEEE10hipError_tPvRmT1_T2_T3_mmT4_T5_P12ihipStream_tbEUlRKdE_EESK_SO_SP_mSQ_ST_bEUlT_E_NS1_11comp_targetILNS1_3genE9ELNS1_11target_archE1100ELNS1_3gpuE3ELNS1_3repE0EEENS1_30default_config_static_selectorELNS0_4arch9wavefront6targetE0EEEvSN_, .Lfunc_end10-_ZN7rocprim17ROCPRIM_400000_NS6detail17trampoline_kernelINS0_14default_configENS1_27lower_bound_config_selectorIdlEEZNS1_14transform_implILb0ES3_S5_N6thrust23THRUST_200600_302600_NS17counting_iteratorIdNS8_11use_defaultESA_SA_EEPlZNS1_13binary_searchIS3_S5_PdSB_SC_NS1_21lower_bound_search_opENS8_6detail16wrapped_functionI11custom_lessbEEEE10hipError_tPvRmT1_T2_T3_mmT4_T5_P12ihipStream_tbEUlRKdE_EESK_SO_SP_mSQ_ST_bEUlT_E_NS1_11comp_targetILNS1_3genE9ELNS1_11target_archE1100ELNS1_3gpuE3ELNS1_3repE0EEENS1_30default_config_static_selectorELNS0_4arch9wavefront6targetE0EEEvSN_
                                        ; -- End function
	.section	.AMDGPU.csdata,"",@progbits
; Kernel info:
; codeLenInByte = 716
; NumSgprs: 18
; NumVgprs: 13
; ScratchSize: 0
; MemoryBound: 0
; FloatMode: 240
; IeeeMode: 1
; LDSByteSize: 0 bytes/workgroup (compile time only)
; SGPRBlocks: 2
; VGPRBlocks: 1
; NumSGPRsForWavesPerEU: 18
; NumVGPRsForWavesPerEU: 13
; Occupancy: 16
; WaveLimiterHint : 0
; COMPUTE_PGM_RSRC2:SCRATCH_EN: 0
; COMPUTE_PGM_RSRC2:USER_SGPR: 15
; COMPUTE_PGM_RSRC2:TRAP_HANDLER: 0
; COMPUTE_PGM_RSRC2:TGID_X_EN: 1
; COMPUTE_PGM_RSRC2:TGID_Y_EN: 0
; COMPUTE_PGM_RSRC2:TGID_Z_EN: 0
; COMPUTE_PGM_RSRC2:TIDIG_COMP_CNT: 0
	.section	.text._ZN7rocprim17ROCPRIM_400000_NS6detail17trampoline_kernelINS0_14default_configENS1_27lower_bound_config_selectorIdlEEZNS1_14transform_implILb0ES3_S5_N6thrust23THRUST_200600_302600_NS17counting_iteratorIdNS8_11use_defaultESA_SA_EEPlZNS1_13binary_searchIS3_S5_PdSB_SC_NS1_21lower_bound_search_opENS8_6detail16wrapped_functionI11custom_lessbEEEE10hipError_tPvRmT1_T2_T3_mmT4_T5_P12ihipStream_tbEUlRKdE_EESK_SO_SP_mSQ_ST_bEUlT_E_NS1_11comp_targetILNS1_3genE8ELNS1_11target_archE1030ELNS1_3gpuE2ELNS1_3repE0EEENS1_30default_config_static_selectorELNS0_4arch9wavefront6targetE0EEEvSN_,"axG",@progbits,_ZN7rocprim17ROCPRIM_400000_NS6detail17trampoline_kernelINS0_14default_configENS1_27lower_bound_config_selectorIdlEEZNS1_14transform_implILb0ES3_S5_N6thrust23THRUST_200600_302600_NS17counting_iteratorIdNS8_11use_defaultESA_SA_EEPlZNS1_13binary_searchIS3_S5_PdSB_SC_NS1_21lower_bound_search_opENS8_6detail16wrapped_functionI11custom_lessbEEEE10hipError_tPvRmT1_T2_T3_mmT4_T5_P12ihipStream_tbEUlRKdE_EESK_SO_SP_mSQ_ST_bEUlT_E_NS1_11comp_targetILNS1_3genE8ELNS1_11target_archE1030ELNS1_3gpuE2ELNS1_3repE0EEENS1_30default_config_static_selectorELNS0_4arch9wavefront6targetE0EEEvSN_,comdat
	.protected	_ZN7rocprim17ROCPRIM_400000_NS6detail17trampoline_kernelINS0_14default_configENS1_27lower_bound_config_selectorIdlEEZNS1_14transform_implILb0ES3_S5_N6thrust23THRUST_200600_302600_NS17counting_iteratorIdNS8_11use_defaultESA_SA_EEPlZNS1_13binary_searchIS3_S5_PdSB_SC_NS1_21lower_bound_search_opENS8_6detail16wrapped_functionI11custom_lessbEEEE10hipError_tPvRmT1_T2_T3_mmT4_T5_P12ihipStream_tbEUlRKdE_EESK_SO_SP_mSQ_ST_bEUlT_E_NS1_11comp_targetILNS1_3genE8ELNS1_11target_archE1030ELNS1_3gpuE2ELNS1_3repE0EEENS1_30default_config_static_selectorELNS0_4arch9wavefront6targetE0EEEvSN_ ; -- Begin function _ZN7rocprim17ROCPRIM_400000_NS6detail17trampoline_kernelINS0_14default_configENS1_27lower_bound_config_selectorIdlEEZNS1_14transform_implILb0ES3_S5_N6thrust23THRUST_200600_302600_NS17counting_iteratorIdNS8_11use_defaultESA_SA_EEPlZNS1_13binary_searchIS3_S5_PdSB_SC_NS1_21lower_bound_search_opENS8_6detail16wrapped_functionI11custom_lessbEEEE10hipError_tPvRmT1_T2_T3_mmT4_T5_P12ihipStream_tbEUlRKdE_EESK_SO_SP_mSQ_ST_bEUlT_E_NS1_11comp_targetILNS1_3genE8ELNS1_11target_archE1030ELNS1_3gpuE2ELNS1_3repE0EEENS1_30default_config_static_selectorELNS0_4arch9wavefront6targetE0EEEvSN_
	.globl	_ZN7rocprim17ROCPRIM_400000_NS6detail17trampoline_kernelINS0_14default_configENS1_27lower_bound_config_selectorIdlEEZNS1_14transform_implILb0ES3_S5_N6thrust23THRUST_200600_302600_NS17counting_iteratorIdNS8_11use_defaultESA_SA_EEPlZNS1_13binary_searchIS3_S5_PdSB_SC_NS1_21lower_bound_search_opENS8_6detail16wrapped_functionI11custom_lessbEEEE10hipError_tPvRmT1_T2_T3_mmT4_T5_P12ihipStream_tbEUlRKdE_EESK_SO_SP_mSQ_ST_bEUlT_E_NS1_11comp_targetILNS1_3genE8ELNS1_11target_archE1030ELNS1_3gpuE2ELNS1_3repE0EEENS1_30default_config_static_selectorELNS0_4arch9wavefront6targetE0EEEvSN_
	.p2align	8
	.type	_ZN7rocprim17ROCPRIM_400000_NS6detail17trampoline_kernelINS0_14default_configENS1_27lower_bound_config_selectorIdlEEZNS1_14transform_implILb0ES3_S5_N6thrust23THRUST_200600_302600_NS17counting_iteratorIdNS8_11use_defaultESA_SA_EEPlZNS1_13binary_searchIS3_S5_PdSB_SC_NS1_21lower_bound_search_opENS8_6detail16wrapped_functionI11custom_lessbEEEE10hipError_tPvRmT1_T2_T3_mmT4_T5_P12ihipStream_tbEUlRKdE_EESK_SO_SP_mSQ_ST_bEUlT_E_NS1_11comp_targetILNS1_3genE8ELNS1_11target_archE1030ELNS1_3gpuE2ELNS1_3repE0EEENS1_30default_config_static_selectorELNS0_4arch9wavefront6targetE0EEEvSN_,@function
_ZN7rocprim17ROCPRIM_400000_NS6detail17trampoline_kernelINS0_14default_configENS1_27lower_bound_config_selectorIdlEEZNS1_14transform_implILb0ES3_S5_N6thrust23THRUST_200600_302600_NS17counting_iteratorIdNS8_11use_defaultESA_SA_EEPlZNS1_13binary_searchIS3_S5_PdSB_SC_NS1_21lower_bound_search_opENS8_6detail16wrapped_functionI11custom_lessbEEEE10hipError_tPvRmT1_T2_T3_mmT4_T5_P12ihipStream_tbEUlRKdE_EESK_SO_SP_mSQ_ST_bEUlT_E_NS1_11comp_targetILNS1_3genE8ELNS1_11target_archE1030ELNS1_3gpuE2ELNS1_3repE0EEENS1_30default_config_static_selectorELNS0_4arch9wavefront6targetE0EEEvSN_: ; @_ZN7rocprim17ROCPRIM_400000_NS6detail17trampoline_kernelINS0_14default_configENS1_27lower_bound_config_selectorIdlEEZNS1_14transform_implILb0ES3_S5_N6thrust23THRUST_200600_302600_NS17counting_iteratorIdNS8_11use_defaultESA_SA_EEPlZNS1_13binary_searchIS3_S5_PdSB_SC_NS1_21lower_bound_search_opENS8_6detail16wrapped_functionI11custom_lessbEEEE10hipError_tPvRmT1_T2_T3_mmT4_T5_P12ihipStream_tbEUlRKdE_EESK_SO_SP_mSQ_ST_bEUlT_E_NS1_11comp_targetILNS1_3genE8ELNS1_11target_archE1030ELNS1_3gpuE2ELNS1_3repE0EEENS1_30default_config_static_selectorELNS0_4arch9wavefront6targetE0EEEvSN_
; %bb.0:
	.section	.rodata,"a",@progbits
	.p2align	6, 0x0
	.amdhsa_kernel _ZN7rocprim17ROCPRIM_400000_NS6detail17trampoline_kernelINS0_14default_configENS1_27lower_bound_config_selectorIdlEEZNS1_14transform_implILb0ES3_S5_N6thrust23THRUST_200600_302600_NS17counting_iteratorIdNS8_11use_defaultESA_SA_EEPlZNS1_13binary_searchIS3_S5_PdSB_SC_NS1_21lower_bound_search_opENS8_6detail16wrapped_functionI11custom_lessbEEEE10hipError_tPvRmT1_T2_T3_mmT4_T5_P12ihipStream_tbEUlRKdE_EESK_SO_SP_mSQ_ST_bEUlT_E_NS1_11comp_targetILNS1_3genE8ELNS1_11target_archE1030ELNS1_3gpuE2ELNS1_3repE0EEENS1_30default_config_static_selectorELNS0_4arch9wavefront6targetE0EEEvSN_
		.amdhsa_group_segment_fixed_size 0
		.amdhsa_private_segment_fixed_size 0
		.amdhsa_kernarg_size 56
		.amdhsa_user_sgpr_count 15
		.amdhsa_user_sgpr_dispatch_ptr 0
		.amdhsa_user_sgpr_queue_ptr 0
		.amdhsa_user_sgpr_kernarg_segment_ptr 1
		.amdhsa_user_sgpr_dispatch_id 0
		.amdhsa_user_sgpr_private_segment_size 0
		.amdhsa_wavefront_size32 1
		.amdhsa_uses_dynamic_stack 0
		.amdhsa_enable_private_segment 0
		.amdhsa_system_sgpr_workgroup_id_x 1
		.amdhsa_system_sgpr_workgroup_id_y 0
		.amdhsa_system_sgpr_workgroup_id_z 0
		.amdhsa_system_sgpr_workgroup_info 0
		.amdhsa_system_vgpr_workitem_id 0
		.amdhsa_next_free_vgpr 1
		.amdhsa_next_free_sgpr 1
		.amdhsa_reserve_vcc 0
		.amdhsa_float_round_mode_32 0
		.amdhsa_float_round_mode_16_64 0
		.amdhsa_float_denorm_mode_32 3
		.amdhsa_float_denorm_mode_16_64 3
		.amdhsa_dx10_clamp 1
		.amdhsa_ieee_mode 1
		.amdhsa_fp16_overflow 0
		.amdhsa_workgroup_processor_mode 1
		.amdhsa_memory_ordered 1
		.amdhsa_forward_progress 0
		.amdhsa_shared_vgpr_count 0
		.amdhsa_exception_fp_ieee_invalid_op 0
		.amdhsa_exception_fp_denorm_src 0
		.amdhsa_exception_fp_ieee_div_zero 0
		.amdhsa_exception_fp_ieee_overflow 0
		.amdhsa_exception_fp_ieee_underflow 0
		.amdhsa_exception_fp_ieee_inexact 0
		.amdhsa_exception_int_div_zero 0
	.end_amdhsa_kernel
	.section	.text._ZN7rocprim17ROCPRIM_400000_NS6detail17trampoline_kernelINS0_14default_configENS1_27lower_bound_config_selectorIdlEEZNS1_14transform_implILb0ES3_S5_N6thrust23THRUST_200600_302600_NS17counting_iteratorIdNS8_11use_defaultESA_SA_EEPlZNS1_13binary_searchIS3_S5_PdSB_SC_NS1_21lower_bound_search_opENS8_6detail16wrapped_functionI11custom_lessbEEEE10hipError_tPvRmT1_T2_T3_mmT4_T5_P12ihipStream_tbEUlRKdE_EESK_SO_SP_mSQ_ST_bEUlT_E_NS1_11comp_targetILNS1_3genE8ELNS1_11target_archE1030ELNS1_3gpuE2ELNS1_3repE0EEENS1_30default_config_static_selectorELNS0_4arch9wavefront6targetE0EEEvSN_,"axG",@progbits,_ZN7rocprim17ROCPRIM_400000_NS6detail17trampoline_kernelINS0_14default_configENS1_27lower_bound_config_selectorIdlEEZNS1_14transform_implILb0ES3_S5_N6thrust23THRUST_200600_302600_NS17counting_iteratorIdNS8_11use_defaultESA_SA_EEPlZNS1_13binary_searchIS3_S5_PdSB_SC_NS1_21lower_bound_search_opENS8_6detail16wrapped_functionI11custom_lessbEEEE10hipError_tPvRmT1_T2_T3_mmT4_T5_P12ihipStream_tbEUlRKdE_EESK_SO_SP_mSQ_ST_bEUlT_E_NS1_11comp_targetILNS1_3genE8ELNS1_11target_archE1030ELNS1_3gpuE2ELNS1_3repE0EEENS1_30default_config_static_selectorELNS0_4arch9wavefront6targetE0EEEvSN_,comdat
.Lfunc_end11:
	.size	_ZN7rocprim17ROCPRIM_400000_NS6detail17trampoline_kernelINS0_14default_configENS1_27lower_bound_config_selectorIdlEEZNS1_14transform_implILb0ES3_S5_N6thrust23THRUST_200600_302600_NS17counting_iteratorIdNS8_11use_defaultESA_SA_EEPlZNS1_13binary_searchIS3_S5_PdSB_SC_NS1_21lower_bound_search_opENS8_6detail16wrapped_functionI11custom_lessbEEEE10hipError_tPvRmT1_T2_T3_mmT4_T5_P12ihipStream_tbEUlRKdE_EESK_SO_SP_mSQ_ST_bEUlT_E_NS1_11comp_targetILNS1_3genE8ELNS1_11target_archE1030ELNS1_3gpuE2ELNS1_3repE0EEENS1_30default_config_static_selectorELNS0_4arch9wavefront6targetE0EEEvSN_, .Lfunc_end11-_ZN7rocprim17ROCPRIM_400000_NS6detail17trampoline_kernelINS0_14default_configENS1_27lower_bound_config_selectorIdlEEZNS1_14transform_implILb0ES3_S5_N6thrust23THRUST_200600_302600_NS17counting_iteratorIdNS8_11use_defaultESA_SA_EEPlZNS1_13binary_searchIS3_S5_PdSB_SC_NS1_21lower_bound_search_opENS8_6detail16wrapped_functionI11custom_lessbEEEE10hipError_tPvRmT1_T2_T3_mmT4_T5_P12ihipStream_tbEUlRKdE_EESK_SO_SP_mSQ_ST_bEUlT_E_NS1_11comp_targetILNS1_3genE8ELNS1_11target_archE1030ELNS1_3gpuE2ELNS1_3repE0EEENS1_30default_config_static_selectorELNS0_4arch9wavefront6targetE0EEEvSN_
                                        ; -- End function
	.section	.AMDGPU.csdata,"",@progbits
; Kernel info:
; codeLenInByte = 0
; NumSgprs: 0
; NumVgprs: 0
; ScratchSize: 0
; MemoryBound: 0
; FloatMode: 240
; IeeeMode: 1
; LDSByteSize: 0 bytes/workgroup (compile time only)
; SGPRBlocks: 0
; VGPRBlocks: 0
; NumSGPRsForWavesPerEU: 1
; NumVGPRsForWavesPerEU: 1
; Occupancy: 16
; WaveLimiterHint : 0
; COMPUTE_PGM_RSRC2:SCRATCH_EN: 0
; COMPUTE_PGM_RSRC2:USER_SGPR: 15
; COMPUTE_PGM_RSRC2:TRAP_HANDLER: 0
; COMPUTE_PGM_RSRC2:TGID_X_EN: 1
; COMPUTE_PGM_RSRC2:TGID_Y_EN: 0
; COMPUTE_PGM_RSRC2:TGID_Z_EN: 0
; COMPUTE_PGM_RSRC2:TIDIG_COMP_CNT: 0
	.section	.text._ZN6thrust23THRUST_200600_302600_NS11hip_rocprim14__parallel_for6kernelILj256ENS1_20__uninitialized_fill7functorINS0_10device_ptrIfEEfEEmLj1EEEvT0_T1_SA_,"axG",@progbits,_ZN6thrust23THRUST_200600_302600_NS11hip_rocprim14__parallel_for6kernelILj256ENS1_20__uninitialized_fill7functorINS0_10device_ptrIfEEfEEmLj1EEEvT0_T1_SA_,comdat
	.protected	_ZN6thrust23THRUST_200600_302600_NS11hip_rocprim14__parallel_for6kernelILj256ENS1_20__uninitialized_fill7functorINS0_10device_ptrIfEEfEEmLj1EEEvT0_T1_SA_ ; -- Begin function _ZN6thrust23THRUST_200600_302600_NS11hip_rocprim14__parallel_for6kernelILj256ENS1_20__uninitialized_fill7functorINS0_10device_ptrIfEEfEEmLj1EEEvT0_T1_SA_
	.globl	_ZN6thrust23THRUST_200600_302600_NS11hip_rocprim14__parallel_for6kernelILj256ENS1_20__uninitialized_fill7functorINS0_10device_ptrIfEEfEEmLj1EEEvT0_T1_SA_
	.p2align	8
	.type	_ZN6thrust23THRUST_200600_302600_NS11hip_rocprim14__parallel_for6kernelILj256ENS1_20__uninitialized_fill7functorINS0_10device_ptrIfEEfEEmLj1EEEvT0_T1_SA_,@function
_ZN6thrust23THRUST_200600_302600_NS11hip_rocprim14__parallel_for6kernelILj256ENS1_20__uninitialized_fill7functorINS0_10device_ptrIfEEfEEmLj1EEEvT0_T1_SA_: ; @_ZN6thrust23THRUST_200600_302600_NS11hip_rocprim14__parallel_for6kernelILj256ENS1_20__uninitialized_fill7functorINS0_10device_ptrIfEEfEEmLj1EEEvT0_T1_SA_
; %bb.0:
	s_load_b128 s[4:7], s[0:1], 0x10
	s_lshl_b32 s2, s15, 8
	s_waitcnt lgkmcnt(0)
	s_add_u32 s2, s2, s6
	s_addc_u32 s3, 0, s7
	s_sub_u32 s4, s4, s2
	s_subb_u32 s5, s5, s3
	s_delay_alu instid0(SALU_CYCLE_1) | instskip(NEXT) | instid1(VALU_DEP_1)
	v_cmp_gt_u64_e64 s5, 0x100, s[4:5]
	s_and_b32 vcc_lo, exec_lo, s5
	s_mov_b32 s5, 0
	s_cbranch_vccz .LBB12_2
; %bb.1:
	v_cmp_gt_u32_e32 vcc_lo, s4, v0
	s_and_b32 s5, vcc_lo, exec_lo
	s_cbranch_execz .LBB12_3
	s_branch .LBB12_4
.LBB12_2:
.LBB12_3:
	s_or_b32 s5, s5, exec_lo
.LBB12_4:
	s_delay_alu instid0(SALU_CYCLE_1)
	s_and_saveexec_b32 s4, s5
	s_cbranch_execnz .LBB12_6
; %bb.5:
	s_endpgm
.LBB12_6:
	s_clause 0x1
	s_load_b64 s[4:5], s[0:1], 0x0
	s_load_b32 s6, s[0:1], 0x8
	v_mov_b32_e32 v1, 0
	s_lshl_b64 s[0:1], s[2:3], 2
	s_waitcnt lgkmcnt(0)
	s_add_u32 s0, s4, s0
	v_mov_b32_e32 v2, s6
	v_lshlrev_b64 v[0:1], 2, v[0:1]
	s_addc_u32 s1, s5, s1
	s_delay_alu instid0(VALU_DEP_1) | instskip(NEXT) | instid1(VALU_DEP_2)
	v_add_co_u32 v0, vcc_lo, s0, v0
	v_add_co_ci_u32_e32 v1, vcc_lo, s1, v1, vcc_lo
	flat_store_b32 v[0:1], v2
	s_endpgm
	.section	.rodata,"a",@progbits
	.p2align	6, 0x0
	.amdhsa_kernel _ZN6thrust23THRUST_200600_302600_NS11hip_rocprim14__parallel_for6kernelILj256ENS1_20__uninitialized_fill7functorINS0_10device_ptrIfEEfEEmLj1EEEvT0_T1_SA_
		.amdhsa_group_segment_fixed_size 0
		.amdhsa_private_segment_fixed_size 0
		.amdhsa_kernarg_size 32
		.amdhsa_user_sgpr_count 15
		.amdhsa_user_sgpr_dispatch_ptr 0
		.amdhsa_user_sgpr_queue_ptr 0
		.amdhsa_user_sgpr_kernarg_segment_ptr 1
		.amdhsa_user_sgpr_dispatch_id 0
		.amdhsa_user_sgpr_private_segment_size 0
		.amdhsa_wavefront_size32 1
		.amdhsa_uses_dynamic_stack 0
		.amdhsa_enable_private_segment 0
		.amdhsa_system_sgpr_workgroup_id_x 1
		.amdhsa_system_sgpr_workgroup_id_y 0
		.amdhsa_system_sgpr_workgroup_id_z 0
		.amdhsa_system_sgpr_workgroup_info 0
		.amdhsa_system_vgpr_workitem_id 0
		.amdhsa_next_free_vgpr 3
		.amdhsa_next_free_sgpr 16
		.amdhsa_reserve_vcc 1
		.amdhsa_float_round_mode_32 0
		.amdhsa_float_round_mode_16_64 0
		.amdhsa_float_denorm_mode_32 3
		.amdhsa_float_denorm_mode_16_64 3
		.amdhsa_dx10_clamp 1
		.amdhsa_ieee_mode 1
		.amdhsa_fp16_overflow 0
		.amdhsa_workgroup_processor_mode 1
		.amdhsa_memory_ordered 1
		.amdhsa_forward_progress 0
		.amdhsa_shared_vgpr_count 0
		.amdhsa_exception_fp_ieee_invalid_op 0
		.amdhsa_exception_fp_denorm_src 0
		.amdhsa_exception_fp_ieee_div_zero 0
		.amdhsa_exception_fp_ieee_overflow 0
		.amdhsa_exception_fp_ieee_underflow 0
		.amdhsa_exception_fp_ieee_inexact 0
		.amdhsa_exception_int_div_zero 0
	.end_amdhsa_kernel
	.section	.text._ZN6thrust23THRUST_200600_302600_NS11hip_rocprim14__parallel_for6kernelILj256ENS1_20__uninitialized_fill7functorINS0_10device_ptrIfEEfEEmLj1EEEvT0_T1_SA_,"axG",@progbits,_ZN6thrust23THRUST_200600_302600_NS11hip_rocprim14__parallel_for6kernelILj256ENS1_20__uninitialized_fill7functorINS0_10device_ptrIfEEfEEmLj1EEEvT0_T1_SA_,comdat
.Lfunc_end12:
	.size	_ZN6thrust23THRUST_200600_302600_NS11hip_rocprim14__parallel_for6kernelILj256ENS1_20__uninitialized_fill7functorINS0_10device_ptrIfEEfEEmLj1EEEvT0_T1_SA_, .Lfunc_end12-_ZN6thrust23THRUST_200600_302600_NS11hip_rocprim14__parallel_for6kernelILj256ENS1_20__uninitialized_fill7functorINS0_10device_ptrIfEEfEEmLj1EEEvT0_T1_SA_
                                        ; -- End function
	.section	.AMDGPU.csdata,"",@progbits
; Kernel info:
; codeLenInByte = 176
; NumSgprs: 18
; NumVgprs: 3
; ScratchSize: 0
; MemoryBound: 0
; FloatMode: 240
; IeeeMode: 1
; LDSByteSize: 0 bytes/workgroup (compile time only)
; SGPRBlocks: 2
; VGPRBlocks: 0
; NumSGPRsForWavesPerEU: 18
; NumVGPRsForWavesPerEU: 3
; Occupancy: 16
; WaveLimiterHint : 0
; COMPUTE_PGM_RSRC2:SCRATCH_EN: 0
; COMPUTE_PGM_RSRC2:USER_SGPR: 15
; COMPUTE_PGM_RSRC2:TRAP_HANDLER: 0
; COMPUTE_PGM_RSRC2:TGID_X_EN: 1
; COMPUTE_PGM_RSRC2:TGID_Y_EN: 0
; COMPUTE_PGM_RSRC2:TGID_Z_EN: 0
; COMPUTE_PGM_RSRC2:TIDIG_COMP_CNT: 0
	.section	.text._Z18lower_bound_kernelIfEvmPT_Pl,"axG",@progbits,_Z18lower_bound_kernelIfEvmPT_Pl,comdat
	.protected	_Z18lower_bound_kernelIfEvmPT_Pl ; -- Begin function _Z18lower_bound_kernelIfEvmPT_Pl
	.globl	_Z18lower_bound_kernelIfEvmPT_Pl
	.p2align	8
	.type	_Z18lower_bound_kernelIfEvmPT_Pl,@function
_Z18lower_bound_kernelIfEvmPT_Pl:       ; @_Z18lower_bound_kernelIfEvmPT_Pl
; %bb.0:
	s_clause 0x1
	s_load_b128 s[4:7], s[0:1], 0x0
	s_load_b64 s[2:3], s[0:1], 0x10
	v_mov_b32_e32 v0, 0
	s_waitcnt lgkmcnt(0)
	v_cmp_gt_i64_e64 s0, s[4:5], 0
	s_delay_alu instid0(VALU_DEP_1) | instskip(NEXT) | instid1(VALU_DEP_1)
	v_cndmask_b32_e64 v1, 0, 1, s0
	v_cmp_ne_u32_e64 s0, 1, v1
	v_mov_b32_e32 v1, 0
	s_branch .LBB13_2
.LBB13_1:                               ;   in Loop: Header=BB13_2 Depth=1
	v_add_f32_e32 v1, 1.0, v1
	s_delay_alu instid0(VALU_DEP_1) | instskip(NEXT) | instid1(VALU_DEP_1)
	v_sub_f32_e32 v2, 0x41200000, v1
	v_trunc_f32_e32 v2, v2
	s_delay_alu instid0(VALU_DEP_1) | instskip(SKIP_1) | instid1(VALU_DEP_2)
	v_mul_f32_e64 v3, 0x2f800000, |v2|
	v_ashrrev_i32_e32 v5, 31, v2
	v_floor_f32_e32 v3, v3
	s_delay_alu instid0(VALU_DEP_1) | instskip(SKIP_1) | instid1(VALU_DEP_2)
	v_fma_f32 v4, 0xcf800000, v3, |v2|
	v_cvt_u32_f32_e32 v3, v3
	v_cvt_u32_f32_e32 v2, v4
	s_delay_alu instid0(VALU_DEP_2) | instskip(NEXT) | instid1(VALU_DEP_2)
	v_xor_b32_e32 v3, v3, v5
	v_xor_b32_e32 v2, v2, v5
	s_delay_alu instid0(VALU_DEP_1) | instskip(NEXT) | instid1(VALU_DEP_3)
	v_sub_co_u32 v2, vcc_lo, v2, v5
	v_sub_co_ci_u32_e32 v3, vcc_lo, v3, v5, vcc_lo
	v_dual_mov_b32 v4, s8 :: v_dual_mov_b32 v5, s9
	s_delay_alu instid0(VALU_DEP_2)
	v_cmp_ne_u64_e32 vcc_lo, 0, v[2:3]
	global_store_b64 v0, v[4:5], s[2:3]
	s_add_u32 s2, s2, 8
	s_addc_u32 s3, s3, 0
	s_cbranch_vccz .LBB13_5
.LBB13_2:                               ; =>This Loop Header: Depth=1
                                        ;     Child Loop BB13_4 Depth 2
	s_delay_alu instid0(VALU_DEP_2)
	s_and_b32 vcc_lo, exec_lo, s0
	s_mov_b64 s[8:9], 0
	s_cbranch_vccnz .LBB13_1
; %bb.3:                                ;   in Loop: Header=BB13_2 Depth=1
	s_mov_b64 s[10:11], s[4:5]
	.p2align	6
.LBB13_4:                               ;   Parent Loop BB13_2 Depth=1
                                        ; =>  This Inner Loop Header: Depth=2
	s_delay_alu instid0(SALU_CYCLE_1) | instskip(SKIP_1) | instid1(SALU_CYCLE_1)
	s_sub_u32 s1, s10, s8
	s_subb_u32 s13, s11, s9
	s_lshr_b32 s12, s13, 31
	s_delay_alu instid0(SALU_CYCLE_1) | instskip(SKIP_1) | instid1(SALU_CYCLE_1)
	s_add_u32 s12, s1, s12
	s_addc_u32 s13, s13, 0
	s_ashr_i64 s[12:13], s[12:13], 1
	s_delay_alu instid0(SALU_CYCLE_1) | instskip(SKIP_1) | instid1(SALU_CYCLE_1)
	s_add_u32 s12, s12, s8
	s_addc_u32 s13, s13, s9
	s_lshl_b64 s[14:15], s[12:13], 2
	s_delay_alu instid0(SALU_CYCLE_1)
	s_add_u32 s14, s6, s14
	s_addc_u32 s15, s7, s15
	s_load_b32 s1, s[14:15], 0x0
	s_add_u32 s14, s12, 1
	s_waitcnt lgkmcnt(0)
	v_cmp_lt_f32_e32 vcc_lo, s1, v1
	s_addc_u32 s1, s13, 0
	s_and_b32 s15, vcc_lo, exec_lo
	s_cselect_b32 s9, s1, s9
	s_cselect_b32 s8, s14, s8
	;; [unrolled: 1-line block ×4, first 2 shown]
	s_delay_alu instid0(SALU_CYCLE_1) | instskip(NEXT) | instid1(VALU_DEP_1)
	v_cmp_lt_i64_e64 s1, s[8:9], s[10:11]
	s_and_b32 vcc_lo, exec_lo, s1
	s_cbranch_vccnz .LBB13_4
	s_branch .LBB13_1
.LBB13_5:
	s_nop 0
	s_sendmsg sendmsg(MSG_DEALLOC_VGPRS)
	s_endpgm
	.section	.rodata,"a",@progbits
	.p2align	6, 0x0
	.amdhsa_kernel _Z18lower_bound_kernelIfEvmPT_Pl
		.amdhsa_group_segment_fixed_size 0
		.amdhsa_private_segment_fixed_size 0
		.amdhsa_kernarg_size 24
		.amdhsa_user_sgpr_count 15
		.amdhsa_user_sgpr_dispatch_ptr 0
		.amdhsa_user_sgpr_queue_ptr 0
		.amdhsa_user_sgpr_kernarg_segment_ptr 1
		.amdhsa_user_sgpr_dispatch_id 0
		.amdhsa_user_sgpr_private_segment_size 0
		.amdhsa_wavefront_size32 1
		.amdhsa_uses_dynamic_stack 0
		.amdhsa_enable_private_segment 0
		.amdhsa_system_sgpr_workgroup_id_x 1
		.amdhsa_system_sgpr_workgroup_id_y 0
		.amdhsa_system_sgpr_workgroup_id_z 0
		.amdhsa_system_sgpr_workgroup_info 0
		.amdhsa_system_vgpr_workitem_id 0
		.amdhsa_next_free_vgpr 6
		.amdhsa_next_free_sgpr 16
		.amdhsa_reserve_vcc 1
		.amdhsa_float_round_mode_32 0
		.amdhsa_float_round_mode_16_64 0
		.amdhsa_float_denorm_mode_32 3
		.amdhsa_float_denorm_mode_16_64 3
		.amdhsa_dx10_clamp 1
		.amdhsa_ieee_mode 1
		.amdhsa_fp16_overflow 0
		.amdhsa_workgroup_processor_mode 1
		.amdhsa_memory_ordered 1
		.amdhsa_forward_progress 0
		.amdhsa_shared_vgpr_count 0
		.amdhsa_exception_fp_ieee_invalid_op 0
		.amdhsa_exception_fp_denorm_src 0
		.amdhsa_exception_fp_ieee_div_zero 0
		.amdhsa_exception_fp_ieee_overflow 0
		.amdhsa_exception_fp_ieee_underflow 0
		.amdhsa_exception_fp_ieee_inexact 0
		.amdhsa_exception_int_div_zero 0
	.end_amdhsa_kernel
	.section	.text._Z18lower_bound_kernelIfEvmPT_Pl,"axG",@progbits,_Z18lower_bound_kernelIfEvmPT_Pl,comdat
.Lfunc_end13:
	.size	_Z18lower_bound_kernelIfEvmPT_Pl, .Lfunc_end13-_Z18lower_bound_kernelIfEvmPT_Pl
                                        ; -- End function
	.section	.AMDGPU.csdata,"",@progbits
; Kernel info:
; codeLenInByte = 356
; NumSgprs: 18
; NumVgprs: 6
; ScratchSize: 0
; MemoryBound: 0
; FloatMode: 240
; IeeeMode: 1
; LDSByteSize: 0 bytes/workgroup (compile time only)
; SGPRBlocks: 2
; VGPRBlocks: 0
; NumSGPRsForWavesPerEU: 18
; NumVGPRsForWavesPerEU: 6
; Occupancy: 16
; WaveLimiterHint : 0
; COMPUTE_PGM_RSRC2:SCRATCH_EN: 0
; COMPUTE_PGM_RSRC2:USER_SGPR: 15
; COMPUTE_PGM_RSRC2:TRAP_HANDLER: 0
; COMPUTE_PGM_RSRC2:TGID_X_EN: 1
; COMPUTE_PGM_RSRC2:TGID_Y_EN: 0
; COMPUTE_PGM_RSRC2:TGID_Z_EN: 0
; COMPUTE_PGM_RSRC2:TIDIG_COMP_CNT: 0
	.section	.text._ZN7rocprim17ROCPRIM_400000_NS6detail17trampoline_kernelINS0_14default_configENS1_27lower_bound_config_selectorIflEEZNS1_14transform_implILb0ES3_S5_N6thrust23THRUST_200600_302600_NS17counting_iteratorIfNS8_11use_defaultESA_SA_EEPlZNS1_13binary_searchIS3_S5_PfSB_SC_NS1_21lower_bound_search_opENS8_6detail16wrapped_functionI11custom_lessbEEEE10hipError_tPvRmT1_T2_T3_mmT4_T5_P12ihipStream_tbEUlRKfE_EESK_SO_SP_mSQ_ST_bEUlT_E_NS1_11comp_targetILNS1_3genE0ELNS1_11target_archE4294967295ELNS1_3gpuE0ELNS1_3repE0EEENS1_30default_config_static_selectorELNS0_4arch9wavefront6targetE0EEEvSN_,"axG",@progbits,_ZN7rocprim17ROCPRIM_400000_NS6detail17trampoline_kernelINS0_14default_configENS1_27lower_bound_config_selectorIflEEZNS1_14transform_implILb0ES3_S5_N6thrust23THRUST_200600_302600_NS17counting_iteratorIfNS8_11use_defaultESA_SA_EEPlZNS1_13binary_searchIS3_S5_PfSB_SC_NS1_21lower_bound_search_opENS8_6detail16wrapped_functionI11custom_lessbEEEE10hipError_tPvRmT1_T2_T3_mmT4_T5_P12ihipStream_tbEUlRKfE_EESK_SO_SP_mSQ_ST_bEUlT_E_NS1_11comp_targetILNS1_3genE0ELNS1_11target_archE4294967295ELNS1_3gpuE0ELNS1_3repE0EEENS1_30default_config_static_selectorELNS0_4arch9wavefront6targetE0EEEvSN_,comdat
	.protected	_ZN7rocprim17ROCPRIM_400000_NS6detail17trampoline_kernelINS0_14default_configENS1_27lower_bound_config_selectorIflEEZNS1_14transform_implILb0ES3_S5_N6thrust23THRUST_200600_302600_NS17counting_iteratorIfNS8_11use_defaultESA_SA_EEPlZNS1_13binary_searchIS3_S5_PfSB_SC_NS1_21lower_bound_search_opENS8_6detail16wrapped_functionI11custom_lessbEEEE10hipError_tPvRmT1_T2_T3_mmT4_T5_P12ihipStream_tbEUlRKfE_EESK_SO_SP_mSQ_ST_bEUlT_E_NS1_11comp_targetILNS1_3genE0ELNS1_11target_archE4294967295ELNS1_3gpuE0ELNS1_3repE0EEENS1_30default_config_static_selectorELNS0_4arch9wavefront6targetE0EEEvSN_ ; -- Begin function _ZN7rocprim17ROCPRIM_400000_NS6detail17trampoline_kernelINS0_14default_configENS1_27lower_bound_config_selectorIflEEZNS1_14transform_implILb0ES3_S5_N6thrust23THRUST_200600_302600_NS17counting_iteratorIfNS8_11use_defaultESA_SA_EEPlZNS1_13binary_searchIS3_S5_PfSB_SC_NS1_21lower_bound_search_opENS8_6detail16wrapped_functionI11custom_lessbEEEE10hipError_tPvRmT1_T2_T3_mmT4_T5_P12ihipStream_tbEUlRKfE_EESK_SO_SP_mSQ_ST_bEUlT_E_NS1_11comp_targetILNS1_3genE0ELNS1_11target_archE4294967295ELNS1_3gpuE0ELNS1_3repE0EEENS1_30default_config_static_selectorELNS0_4arch9wavefront6targetE0EEEvSN_
	.globl	_ZN7rocprim17ROCPRIM_400000_NS6detail17trampoline_kernelINS0_14default_configENS1_27lower_bound_config_selectorIflEEZNS1_14transform_implILb0ES3_S5_N6thrust23THRUST_200600_302600_NS17counting_iteratorIfNS8_11use_defaultESA_SA_EEPlZNS1_13binary_searchIS3_S5_PfSB_SC_NS1_21lower_bound_search_opENS8_6detail16wrapped_functionI11custom_lessbEEEE10hipError_tPvRmT1_T2_T3_mmT4_T5_P12ihipStream_tbEUlRKfE_EESK_SO_SP_mSQ_ST_bEUlT_E_NS1_11comp_targetILNS1_3genE0ELNS1_11target_archE4294967295ELNS1_3gpuE0ELNS1_3repE0EEENS1_30default_config_static_selectorELNS0_4arch9wavefront6targetE0EEEvSN_
	.p2align	8
	.type	_ZN7rocprim17ROCPRIM_400000_NS6detail17trampoline_kernelINS0_14default_configENS1_27lower_bound_config_selectorIflEEZNS1_14transform_implILb0ES3_S5_N6thrust23THRUST_200600_302600_NS17counting_iteratorIfNS8_11use_defaultESA_SA_EEPlZNS1_13binary_searchIS3_S5_PfSB_SC_NS1_21lower_bound_search_opENS8_6detail16wrapped_functionI11custom_lessbEEEE10hipError_tPvRmT1_T2_T3_mmT4_T5_P12ihipStream_tbEUlRKfE_EESK_SO_SP_mSQ_ST_bEUlT_E_NS1_11comp_targetILNS1_3genE0ELNS1_11target_archE4294967295ELNS1_3gpuE0ELNS1_3repE0EEENS1_30default_config_static_selectorELNS0_4arch9wavefront6targetE0EEEvSN_,@function
_ZN7rocprim17ROCPRIM_400000_NS6detail17trampoline_kernelINS0_14default_configENS1_27lower_bound_config_selectorIflEEZNS1_14transform_implILb0ES3_S5_N6thrust23THRUST_200600_302600_NS17counting_iteratorIfNS8_11use_defaultESA_SA_EEPlZNS1_13binary_searchIS3_S5_PfSB_SC_NS1_21lower_bound_search_opENS8_6detail16wrapped_functionI11custom_lessbEEEE10hipError_tPvRmT1_T2_T3_mmT4_T5_P12ihipStream_tbEUlRKfE_EESK_SO_SP_mSQ_ST_bEUlT_E_NS1_11comp_targetILNS1_3genE0ELNS1_11target_archE4294967295ELNS1_3gpuE0ELNS1_3repE0EEENS1_30default_config_static_selectorELNS0_4arch9wavefront6targetE0EEEvSN_: ; @_ZN7rocprim17ROCPRIM_400000_NS6detail17trampoline_kernelINS0_14default_configENS1_27lower_bound_config_selectorIflEEZNS1_14transform_implILb0ES3_S5_N6thrust23THRUST_200600_302600_NS17counting_iteratorIfNS8_11use_defaultESA_SA_EEPlZNS1_13binary_searchIS3_S5_PfSB_SC_NS1_21lower_bound_search_opENS8_6detail16wrapped_functionI11custom_lessbEEEE10hipError_tPvRmT1_T2_T3_mmT4_T5_P12ihipStream_tbEUlRKfE_EESK_SO_SP_mSQ_ST_bEUlT_E_NS1_11comp_targetILNS1_3genE0ELNS1_11target_archE4294967295ELNS1_3gpuE0ELNS1_3repE0EEENS1_30default_config_static_selectorELNS0_4arch9wavefront6targetE0EEEvSN_
; %bb.0:
	.section	.rodata,"a",@progbits
	.p2align	6, 0x0
	.amdhsa_kernel _ZN7rocprim17ROCPRIM_400000_NS6detail17trampoline_kernelINS0_14default_configENS1_27lower_bound_config_selectorIflEEZNS1_14transform_implILb0ES3_S5_N6thrust23THRUST_200600_302600_NS17counting_iteratorIfNS8_11use_defaultESA_SA_EEPlZNS1_13binary_searchIS3_S5_PfSB_SC_NS1_21lower_bound_search_opENS8_6detail16wrapped_functionI11custom_lessbEEEE10hipError_tPvRmT1_T2_T3_mmT4_T5_P12ihipStream_tbEUlRKfE_EESK_SO_SP_mSQ_ST_bEUlT_E_NS1_11comp_targetILNS1_3genE0ELNS1_11target_archE4294967295ELNS1_3gpuE0ELNS1_3repE0EEENS1_30default_config_static_selectorELNS0_4arch9wavefront6targetE0EEEvSN_
		.amdhsa_group_segment_fixed_size 0
		.amdhsa_private_segment_fixed_size 0
		.amdhsa_kernarg_size 56
		.amdhsa_user_sgpr_count 15
		.amdhsa_user_sgpr_dispatch_ptr 0
		.amdhsa_user_sgpr_queue_ptr 0
		.amdhsa_user_sgpr_kernarg_segment_ptr 1
		.amdhsa_user_sgpr_dispatch_id 0
		.amdhsa_user_sgpr_private_segment_size 0
		.amdhsa_wavefront_size32 1
		.amdhsa_uses_dynamic_stack 0
		.amdhsa_enable_private_segment 0
		.amdhsa_system_sgpr_workgroup_id_x 1
		.amdhsa_system_sgpr_workgroup_id_y 0
		.amdhsa_system_sgpr_workgroup_id_z 0
		.amdhsa_system_sgpr_workgroup_info 0
		.amdhsa_system_vgpr_workitem_id 0
		.amdhsa_next_free_vgpr 1
		.amdhsa_next_free_sgpr 1
		.amdhsa_reserve_vcc 0
		.amdhsa_float_round_mode_32 0
		.amdhsa_float_round_mode_16_64 0
		.amdhsa_float_denorm_mode_32 3
		.amdhsa_float_denorm_mode_16_64 3
		.amdhsa_dx10_clamp 1
		.amdhsa_ieee_mode 1
		.amdhsa_fp16_overflow 0
		.amdhsa_workgroup_processor_mode 1
		.amdhsa_memory_ordered 1
		.amdhsa_forward_progress 0
		.amdhsa_shared_vgpr_count 0
		.amdhsa_exception_fp_ieee_invalid_op 0
		.amdhsa_exception_fp_denorm_src 0
		.amdhsa_exception_fp_ieee_div_zero 0
		.amdhsa_exception_fp_ieee_overflow 0
		.amdhsa_exception_fp_ieee_underflow 0
		.amdhsa_exception_fp_ieee_inexact 0
		.amdhsa_exception_int_div_zero 0
	.end_amdhsa_kernel
	.section	.text._ZN7rocprim17ROCPRIM_400000_NS6detail17trampoline_kernelINS0_14default_configENS1_27lower_bound_config_selectorIflEEZNS1_14transform_implILb0ES3_S5_N6thrust23THRUST_200600_302600_NS17counting_iteratorIfNS8_11use_defaultESA_SA_EEPlZNS1_13binary_searchIS3_S5_PfSB_SC_NS1_21lower_bound_search_opENS8_6detail16wrapped_functionI11custom_lessbEEEE10hipError_tPvRmT1_T2_T3_mmT4_T5_P12ihipStream_tbEUlRKfE_EESK_SO_SP_mSQ_ST_bEUlT_E_NS1_11comp_targetILNS1_3genE0ELNS1_11target_archE4294967295ELNS1_3gpuE0ELNS1_3repE0EEENS1_30default_config_static_selectorELNS0_4arch9wavefront6targetE0EEEvSN_,"axG",@progbits,_ZN7rocprim17ROCPRIM_400000_NS6detail17trampoline_kernelINS0_14default_configENS1_27lower_bound_config_selectorIflEEZNS1_14transform_implILb0ES3_S5_N6thrust23THRUST_200600_302600_NS17counting_iteratorIfNS8_11use_defaultESA_SA_EEPlZNS1_13binary_searchIS3_S5_PfSB_SC_NS1_21lower_bound_search_opENS8_6detail16wrapped_functionI11custom_lessbEEEE10hipError_tPvRmT1_T2_T3_mmT4_T5_P12ihipStream_tbEUlRKfE_EESK_SO_SP_mSQ_ST_bEUlT_E_NS1_11comp_targetILNS1_3genE0ELNS1_11target_archE4294967295ELNS1_3gpuE0ELNS1_3repE0EEENS1_30default_config_static_selectorELNS0_4arch9wavefront6targetE0EEEvSN_,comdat
.Lfunc_end14:
	.size	_ZN7rocprim17ROCPRIM_400000_NS6detail17trampoline_kernelINS0_14default_configENS1_27lower_bound_config_selectorIflEEZNS1_14transform_implILb0ES3_S5_N6thrust23THRUST_200600_302600_NS17counting_iteratorIfNS8_11use_defaultESA_SA_EEPlZNS1_13binary_searchIS3_S5_PfSB_SC_NS1_21lower_bound_search_opENS8_6detail16wrapped_functionI11custom_lessbEEEE10hipError_tPvRmT1_T2_T3_mmT4_T5_P12ihipStream_tbEUlRKfE_EESK_SO_SP_mSQ_ST_bEUlT_E_NS1_11comp_targetILNS1_3genE0ELNS1_11target_archE4294967295ELNS1_3gpuE0ELNS1_3repE0EEENS1_30default_config_static_selectorELNS0_4arch9wavefront6targetE0EEEvSN_, .Lfunc_end14-_ZN7rocprim17ROCPRIM_400000_NS6detail17trampoline_kernelINS0_14default_configENS1_27lower_bound_config_selectorIflEEZNS1_14transform_implILb0ES3_S5_N6thrust23THRUST_200600_302600_NS17counting_iteratorIfNS8_11use_defaultESA_SA_EEPlZNS1_13binary_searchIS3_S5_PfSB_SC_NS1_21lower_bound_search_opENS8_6detail16wrapped_functionI11custom_lessbEEEE10hipError_tPvRmT1_T2_T3_mmT4_T5_P12ihipStream_tbEUlRKfE_EESK_SO_SP_mSQ_ST_bEUlT_E_NS1_11comp_targetILNS1_3genE0ELNS1_11target_archE4294967295ELNS1_3gpuE0ELNS1_3repE0EEENS1_30default_config_static_selectorELNS0_4arch9wavefront6targetE0EEEvSN_
                                        ; -- End function
	.section	.AMDGPU.csdata,"",@progbits
; Kernel info:
; codeLenInByte = 0
; NumSgprs: 0
; NumVgprs: 0
; ScratchSize: 0
; MemoryBound: 0
; FloatMode: 240
; IeeeMode: 1
; LDSByteSize: 0 bytes/workgroup (compile time only)
; SGPRBlocks: 0
; VGPRBlocks: 0
; NumSGPRsForWavesPerEU: 1
; NumVGPRsForWavesPerEU: 1
; Occupancy: 16
; WaveLimiterHint : 0
; COMPUTE_PGM_RSRC2:SCRATCH_EN: 0
; COMPUTE_PGM_RSRC2:USER_SGPR: 15
; COMPUTE_PGM_RSRC2:TRAP_HANDLER: 0
; COMPUTE_PGM_RSRC2:TGID_X_EN: 1
; COMPUTE_PGM_RSRC2:TGID_Y_EN: 0
; COMPUTE_PGM_RSRC2:TGID_Z_EN: 0
; COMPUTE_PGM_RSRC2:TIDIG_COMP_CNT: 0
	.section	.text._ZN7rocprim17ROCPRIM_400000_NS6detail17trampoline_kernelINS0_14default_configENS1_27lower_bound_config_selectorIflEEZNS1_14transform_implILb0ES3_S5_N6thrust23THRUST_200600_302600_NS17counting_iteratorIfNS8_11use_defaultESA_SA_EEPlZNS1_13binary_searchIS3_S5_PfSB_SC_NS1_21lower_bound_search_opENS8_6detail16wrapped_functionI11custom_lessbEEEE10hipError_tPvRmT1_T2_T3_mmT4_T5_P12ihipStream_tbEUlRKfE_EESK_SO_SP_mSQ_ST_bEUlT_E_NS1_11comp_targetILNS1_3genE5ELNS1_11target_archE942ELNS1_3gpuE9ELNS1_3repE0EEENS1_30default_config_static_selectorELNS0_4arch9wavefront6targetE0EEEvSN_,"axG",@progbits,_ZN7rocprim17ROCPRIM_400000_NS6detail17trampoline_kernelINS0_14default_configENS1_27lower_bound_config_selectorIflEEZNS1_14transform_implILb0ES3_S5_N6thrust23THRUST_200600_302600_NS17counting_iteratorIfNS8_11use_defaultESA_SA_EEPlZNS1_13binary_searchIS3_S5_PfSB_SC_NS1_21lower_bound_search_opENS8_6detail16wrapped_functionI11custom_lessbEEEE10hipError_tPvRmT1_T2_T3_mmT4_T5_P12ihipStream_tbEUlRKfE_EESK_SO_SP_mSQ_ST_bEUlT_E_NS1_11comp_targetILNS1_3genE5ELNS1_11target_archE942ELNS1_3gpuE9ELNS1_3repE0EEENS1_30default_config_static_selectorELNS0_4arch9wavefront6targetE0EEEvSN_,comdat
	.protected	_ZN7rocprim17ROCPRIM_400000_NS6detail17trampoline_kernelINS0_14default_configENS1_27lower_bound_config_selectorIflEEZNS1_14transform_implILb0ES3_S5_N6thrust23THRUST_200600_302600_NS17counting_iteratorIfNS8_11use_defaultESA_SA_EEPlZNS1_13binary_searchIS3_S5_PfSB_SC_NS1_21lower_bound_search_opENS8_6detail16wrapped_functionI11custom_lessbEEEE10hipError_tPvRmT1_T2_T3_mmT4_T5_P12ihipStream_tbEUlRKfE_EESK_SO_SP_mSQ_ST_bEUlT_E_NS1_11comp_targetILNS1_3genE5ELNS1_11target_archE942ELNS1_3gpuE9ELNS1_3repE0EEENS1_30default_config_static_selectorELNS0_4arch9wavefront6targetE0EEEvSN_ ; -- Begin function _ZN7rocprim17ROCPRIM_400000_NS6detail17trampoline_kernelINS0_14default_configENS1_27lower_bound_config_selectorIflEEZNS1_14transform_implILb0ES3_S5_N6thrust23THRUST_200600_302600_NS17counting_iteratorIfNS8_11use_defaultESA_SA_EEPlZNS1_13binary_searchIS3_S5_PfSB_SC_NS1_21lower_bound_search_opENS8_6detail16wrapped_functionI11custom_lessbEEEE10hipError_tPvRmT1_T2_T3_mmT4_T5_P12ihipStream_tbEUlRKfE_EESK_SO_SP_mSQ_ST_bEUlT_E_NS1_11comp_targetILNS1_3genE5ELNS1_11target_archE942ELNS1_3gpuE9ELNS1_3repE0EEENS1_30default_config_static_selectorELNS0_4arch9wavefront6targetE0EEEvSN_
	.globl	_ZN7rocprim17ROCPRIM_400000_NS6detail17trampoline_kernelINS0_14default_configENS1_27lower_bound_config_selectorIflEEZNS1_14transform_implILb0ES3_S5_N6thrust23THRUST_200600_302600_NS17counting_iteratorIfNS8_11use_defaultESA_SA_EEPlZNS1_13binary_searchIS3_S5_PfSB_SC_NS1_21lower_bound_search_opENS8_6detail16wrapped_functionI11custom_lessbEEEE10hipError_tPvRmT1_T2_T3_mmT4_T5_P12ihipStream_tbEUlRKfE_EESK_SO_SP_mSQ_ST_bEUlT_E_NS1_11comp_targetILNS1_3genE5ELNS1_11target_archE942ELNS1_3gpuE9ELNS1_3repE0EEENS1_30default_config_static_selectorELNS0_4arch9wavefront6targetE0EEEvSN_
	.p2align	8
	.type	_ZN7rocprim17ROCPRIM_400000_NS6detail17trampoline_kernelINS0_14default_configENS1_27lower_bound_config_selectorIflEEZNS1_14transform_implILb0ES3_S5_N6thrust23THRUST_200600_302600_NS17counting_iteratorIfNS8_11use_defaultESA_SA_EEPlZNS1_13binary_searchIS3_S5_PfSB_SC_NS1_21lower_bound_search_opENS8_6detail16wrapped_functionI11custom_lessbEEEE10hipError_tPvRmT1_T2_T3_mmT4_T5_P12ihipStream_tbEUlRKfE_EESK_SO_SP_mSQ_ST_bEUlT_E_NS1_11comp_targetILNS1_3genE5ELNS1_11target_archE942ELNS1_3gpuE9ELNS1_3repE0EEENS1_30default_config_static_selectorELNS0_4arch9wavefront6targetE0EEEvSN_,@function
_ZN7rocprim17ROCPRIM_400000_NS6detail17trampoline_kernelINS0_14default_configENS1_27lower_bound_config_selectorIflEEZNS1_14transform_implILb0ES3_S5_N6thrust23THRUST_200600_302600_NS17counting_iteratorIfNS8_11use_defaultESA_SA_EEPlZNS1_13binary_searchIS3_S5_PfSB_SC_NS1_21lower_bound_search_opENS8_6detail16wrapped_functionI11custom_lessbEEEE10hipError_tPvRmT1_T2_T3_mmT4_T5_P12ihipStream_tbEUlRKfE_EESK_SO_SP_mSQ_ST_bEUlT_E_NS1_11comp_targetILNS1_3genE5ELNS1_11target_archE942ELNS1_3gpuE9ELNS1_3repE0EEENS1_30default_config_static_selectorELNS0_4arch9wavefront6targetE0EEEvSN_: ; @_ZN7rocprim17ROCPRIM_400000_NS6detail17trampoline_kernelINS0_14default_configENS1_27lower_bound_config_selectorIflEEZNS1_14transform_implILb0ES3_S5_N6thrust23THRUST_200600_302600_NS17counting_iteratorIfNS8_11use_defaultESA_SA_EEPlZNS1_13binary_searchIS3_S5_PfSB_SC_NS1_21lower_bound_search_opENS8_6detail16wrapped_functionI11custom_lessbEEEE10hipError_tPvRmT1_T2_T3_mmT4_T5_P12ihipStream_tbEUlRKfE_EESK_SO_SP_mSQ_ST_bEUlT_E_NS1_11comp_targetILNS1_3genE5ELNS1_11target_archE942ELNS1_3gpuE9ELNS1_3repE0EEENS1_30default_config_static_selectorELNS0_4arch9wavefront6targetE0EEEvSN_
; %bb.0:
	.section	.rodata,"a",@progbits
	.p2align	6, 0x0
	.amdhsa_kernel _ZN7rocprim17ROCPRIM_400000_NS6detail17trampoline_kernelINS0_14default_configENS1_27lower_bound_config_selectorIflEEZNS1_14transform_implILb0ES3_S5_N6thrust23THRUST_200600_302600_NS17counting_iteratorIfNS8_11use_defaultESA_SA_EEPlZNS1_13binary_searchIS3_S5_PfSB_SC_NS1_21lower_bound_search_opENS8_6detail16wrapped_functionI11custom_lessbEEEE10hipError_tPvRmT1_T2_T3_mmT4_T5_P12ihipStream_tbEUlRKfE_EESK_SO_SP_mSQ_ST_bEUlT_E_NS1_11comp_targetILNS1_3genE5ELNS1_11target_archE942ELNS1_3gpuE9ELNS1_3repE0EEENS1_30default_config_static_selectorELNS0_4arch9wavefront6targetE0EEEvSN_
		.amdhsa_group_segment_fixed_size 0
		.amdhsa_private_segment_fixed_size 0
		.amdhsa_kernarg_size 56
		.amdhsa_user_sgpr_count 15
		.amdhsa_user_sgpr_dispatch_ptr 0
		.amdhsa_user_sgpr_queue_ptr 0
		.amdhsa_user_sgpr_kernarg_segment_ptr 1
		.amdhsa_user_sgpr_dispatch_id 0
		.amdhsa_user_sgpr_private_segment_size 0
		.amdhsa_wavefront_size32 1
		.amdhsa_uses_dynamic_stack 0
		.amdhsa_enable_private_segment 0
		.amdhsa_system_sgpr_workgroup_id_x 1
		.amdhsa_system_sgpr_workgroup_id_y 0
		.amdhsa_system_sgpr_workgroup_id_z 0
		.amdhsa_system_sgpr_workgroup_info 0
		.amdhsa_system_vgpr_workitem_id 0
		.amdhsa_next_free_vgpr 1
		.amdhsa_next_free_sgpr 1
		.amdhsa_reserve_vcc 0
		.amdhsa_float_round_mode_32 0
		.amdhsa_float_round_mode_16_64 0
		.amdhsa_float_denorm_mode_32 3
		.amdhsa_float_denorm_mode_16_64 3
		.amdhsa_dx10_clamp 1
		.amdhsa_ieee_mode 1
		.amdhsa_fp16_overflow 0
		.amdhsa_workgroup_processor_mode 1
		.amdhsa_memory_ordered 1
		.amdhsa_forward_progress 0
		.amdhsa_shared_vgpr_count 0
		.amdhsa_exception_fp_ieee_invalid_op 0
		.amdhsa_exception_fp_denorm_src 0
		.amdhsa_exception_fp_ieee_div_zero 0
		.amdhsa_exception_fp_ieee_overflow 0
		.amdhsa_exception_fp_ieee_underflow 0
		.amdhsa_exception_fp_ieee_inexact 0
		.amdhsa_exception_int_div_zero 0
	.end_amdhsa_kernel
	.section	.text._ZN7rocprim17ROCPRIM_400000_NS6detail17trampoline_kernelINS0_14default_configENS1_27lower_bound_config_selectorIflEEZNS1_14transform_implILb0ES3_S5_N6thrust23THRUST_200600_302600_NS17counting_iteratorIfNS8_11use_defaultESA_SA_EEPlZNS1_13binary_searchIS3_S5_PfSB_SC_NS1_21lower_bound_search_opENS8_6detail16wrapped_functionI11custom_lessbEEEE10hipError_tPvRmT1_T2_T3_mmT4_T5_P12ihipStream_tbEUlRKfE_EESK_SO_SP_mSQ_ST_bEUlT_E_NS1_11comp_targetILNS1_3genE5ELNS1_11target_archE942ELNS1_3gpuE9ELNS1_3repE0EEENS1_30default_config_static_selectorELNS0_4arch9wavefront6targetE0EEEvSN_,"axG",@progbits,_ZN7rocprim17ROCPRIM_400000_NS6detail17trampoline_kernelINS0_14default_configENS1_27lower_bound_config_selectorIflEEZNS1_14transform_implILb0ES3_S5_N6thrust23THRUST_200600_302600_NS17counting_iteratorIfNS8_11use_defaultESA_SA_EEPlZNS1_13binary_searchIS3_S5_PfSB_SC_NS1_21lower_bound_search_opENS8_6detail16wrapped_functionI11custom_lessbEEEE10hipError_tPvRmT1_T2_T3_mmT4_T5_P12ihipStream_tbEUlRKfE_EESK_SO_SP_mSQ_ST_bEUlT_E_NS1_11comp_targetILNS1_3genE5ELNS1_11target_archE942ELNS1_3gpuE9ELNS1_3repE0EEENS1_30default_config_static_selectorELNS0_4arch9wavefront6targetE0EEEvSN_,comdat
.Lfunc_end15:
	.size	_ZN7rocprim17ROCPRIM_400000_NS6detail17trampoline_kernelINS0_14default_configENS1_27lower_bound_config_selectorIflEEZNS1_14transform_implILb0ES3_S5_N6thrust23THRUST_200600_302600_NS17counting_iteratorIfNS8_11use_defaultESA_SA_EEPlZNS1_13binary_searchIS3_S5_PfSB_SC_NS1_21lower_bound_search_opENS8_6detail16wrapped_functionI11custom_lessbEEEE10hipError_tPvRmT1_T2_T3_mmT4_T5_P12ihipStream_tbEUlRKfE_EESK_SO_SP_mSQ_ST_bEUlT_E_NS1_11comp_targetILNS1_3genE5ELNS1_11target_archE942ELNS1_3gpuE9ELNS1_3repE0EEENS1_30default_config_static_selectorELNS0_4arch9wavefront6targetE0EEEvSN_, .Lfunc_end15-_ZN7rocprim17ROCPRIM_400000_NS6detail17trampoline_kernelINS0_14default_configENS1_27lower_bound_config_selectorIflEEZNS1_14transform_implILb0ES3_S5_N6thrust23THRUST_200600_302600_NS17counting_iteratorIfNS8_11use_defaultESA_SA_EEPlZNS1_13binary_searchIS3_S5_PfSB_SC_NS1_21lower_bound_search_opENS8_6detail16wrapped_functionI11custom_lessbEEEE10hipError_tPvRmT1_T2_T3_mmT4_T5_P12ihipStream_tbEUlRKfE_EESK_SO_SP_mSQ_ST_bEUlT_E_NS1_11comp_targetILNS1_3genE5ELNS1_11target_archE942ELNS1_3gpuE9ELNS1_3repE0EEENS1_30default_config_static_selectorELNS0_4arch9wavefront6targetE0EEEvSN_
                                        ; -- End function
	.section	.AMDGPU.csdata,"",@progbits
; Kernel info:
; codeLenInByte = 0
; NumSgprs: 0
; NumVgprs: 0
; ScratchSize: 0
; MemoryBound: 0
; FloatMode: 240
; IeeeMode: 1
; LDSByteSize: 0 bytes/workgroup (compile time only)
; SGPRBlocks: 0
; VGPRBlocks: 0
; NumSGPRsForWavesPerEU: 1
; NumVGPRsForWavesPerEU: 1
; Occupancy: 16
; WaveLimiterHint : 0
; COMPUTE_PGM_RSRC2:SCRATCH_EN: 0
; COMPUTE_PGM_RSRC2:USER_SGPR: 15
; COMPUTE_PGM_RSRC2:TRAP_HANDLER: 0
; COMPUTE_PGM_RSRC2:TGID_X_EN: 1
; COMPUTE_PGM_RSRC2:TGID_Y_EN: 0
; COMPUTE_PGM_RSRC2:TGID_Z_EN: 0
; COMPUTE_PGM_RSRC2:TIDIG_COMP_CNT: 0
	.section	.text._ZN7rocprim17ROCPRIM_400000_NS6detail17trampoline_kernelINS0_14default_configENS1_27lower_bound_config_selectorIflEEZNS1_14transform_implILb0ES3_S5_N6thrust23THRUST_200600_302600_NS17counting_iteratorIfNS8_11use_defaultESA_SA_EEPlZNS1_13binary_searchIS3_S5_PfSB_SC_NS1_21lower_bound_search_opENS8_6detail16wrapped_functionI11custom_lessbEEEE10hipError_tPvRmT1_T2_T3_mmT4_T5_P12ihipStream_tbEUlRKfE_EESK_SO_SP_mSQ_ST_bEUlT_E_NS1_11comp_targetILNS1_3genE4ELNS1_11target_archE910ELNS1_3gpuE8ELNS1_3repE0EEENS1_30default_config_static_selectorELNS0_4arch9wavefront6targetE0EEEvSN_,"axG",@progbits,_ZN7rocprim17ROCPRIM_400000_NS6detail17trampoline_kernelINS0_14default_configENS1_27lower_bound_config_selectorIflEEZNS1_14transform_implILb0ES3_S5_N6thrust23THRUST_200600_302600_NS17counting_iteratorIfNS8_11use_defaultESA_SA_EEPlZNS1_13binary_searchIS3_S5_PfSB_SC_NS1_21lower_bound_search_opENS8_6detail16wrapped_functionI11custom_lessbEEEE10hipError_tPvRmT1_T2_T3_mmT4_T5_P12ihipStream_tbEUlRKfE_EESK_SO_SP_mSQ_ST_bEUlT_E_NS1_11comp_targetILNS1_3genE4ELNS1_11target_archE910ELNS1_3gpuE8ELNS1_3repE0EEENS1_30default_config_static_selectorELNS0_4arch9wavefront6targetE0EEEvSN_,comdat
	.protected	_ZN7rocprim17ROCPRIM_400000_NS6detail17trampoline_kernelINS0_14default_configENS1_27lower_bound_config_selectorIflEEZNS1_14transform_implILb0ES3_S5_N6thrust23THRUST_200600_302600_NS17counting_iteratorIfNS8_11use_defaultESA_SA_EEPlZNS1_13binary_searchIS3_S5_PfSB_SC_NS1_21lower_bound_search_opENS8_6detail16wrapped_functionI11custom_lessbEEEE10hipError_tPvRmT1_T2_T3_mmT4_T5_P12ihipStream_tbEUlRKfE_EESK_SO_SP_mSQ_ST_bEUlT_E_NS1_11comp_targetILNS1_3genE4ELNS1_11target_archE910ELNS1_3gpuE8ELNS1_3repE0EEENS1_30default_config_static_selectorELNS0_4arch9wavefront6targetE0EEEvSN_ ; -- Begin function _ZN7rocprim17ROCPRIM_400000_NS6detail17trampoline_kernelINS0_14default_configENS1_27lower_bound_config_selectorIflEEZNS1_14transform_implILb0ES3_S5_N6thrust23THRUST_200600_302600_NS17counting_iteratorIfNS8_11use_defaultESA_SA_EEPlZNS1_13binary_searchIS3_S5_PfSB_SC_NS1_21lower_bound_search_opENS8_6detail16wrapped_functionI11custom_lessbEEEE10hipError_tPvRmT1_T2_T3_mmT4_T5_P12ihipStream_tbEUlRKfE_EESK_SO_SP_mSQ_ST_bEUlT_E_NS1_11comp_targetILNS1_3genE4ELNS1_11target_archE910ELNS1_3gpuE8ELNS1_3repE0EEENS1_30default_config_static_selectorELNS0_4arch9wavefront6targetE0EEEvSN_
	.globl	_ZN7rocprim17ROCPRIM_400000_NS6detail17trampoline_kernelINS0_14default_configENS1_27lower_bound_config_selectorIflEEZNS1_14transform_implILb0ES3_S5_N6thrust23THRUST_200600_302600_NS17counting_iteratorIfNS8_11use_defaultESA_SA_EEPlZNS1_13binary_searchIS3_S5_PfSB_SC_NS1_21lower_bound_search_opENS8_6detail16wrapped_functionI11custom_lessbEEEE10hipError_tPvRmT1_T2_T3_mmT4_T5_P12ihipStream_tbEUlRKfE_EESK_SO_SP_mSQ_ST_bEUlT_E_NS1_11comp_targetILNS1_3genE4ELNS1_11target_archE910ELNS1_3gpuE8ELNS1_3repE0EEENS1_30default_config_static_selectorELNS0_4arch9wavefront6targetE0EEEvSN_
	.p2align	8
	.type	_ZN7rocprim17ROCPRIM_400000_NS6detail17trampoline_kernelINS0_14default_configENS1_27lower_bound_config_selectorIflEEZNS1_14transform_implILb0ES3_S5_N6thrust23THRUST_200600_302600_NS17counting_iteratorIfNS8_11use_defaultESA_SA_EEPlZNS1_13binary_searchIS3_S5_PfSB_SC_NS1_21lower_bound_search_opENS8_6detail16wrapped_functionI11custom_lessbEEEE10hipError_tPvRmT1_T2_T3_mmT4_T5_P12ihipStream_tbEUlRKfE_EESK_SO_SP_mSQ_ST_bEUlT_E_NS1_11comp_targetILNS1_3genE4ELNS1_11target_archE910ELNS1_3gpuE8ELNS1_3repE0EEENS1_30default_config_static_selectorELNS0_4arch9wavefront6targetE0EEEvSN_,@function
_ZN7rocprim17ROCPRIM_400000_NS6detail17trampoline_kernelINS0_14default_configENS1_27lower_bound_config_selectorIflEEZNS1_14transform_implILb0ES3_S5_N6thrust23THRUST_200600_302600_NS17counting_iteratorIfNS8_11use_defaultESA_SA_EEPlZNS1_13binary_searchIS3_S5_PfSB_SC_NS1_21lower_bound_search_opENS8_6detail16wrapped_functionI11custom_lessbEEEE10hipError_tPvRmT1_T2_T3_mmT4_T5_P12ihipStream_tbEUlRKfE_EESK_SO_SP_mSQ_ST_bEUlT_E_NS1_11comp_targetILNS1_3genE4ELNS1_11target_archE910ELNS1_3gpuE8ELNS1_3repE0EEENS1_30default_config_static_selectorELNS0_4arch9wavefront6targetE0EEEvSN_: ; @_ZN7rocprim17ROCPRIM_400000_NS6detail17trampoline_kernelINS0_14default_configENS1_27lower_bound_config_selectorIflEEZNS1_14transform_implILb0ES3_S5_N6thrust23THRUST_200600_302600_NS17counting_iteratorIfNS8_11use_defaultESA_SA_EEPlZNS1_13binary_searchIS3_S5_PfSB_SC_NS1_21lower_bound_search_opENS8_6detail16wrapped_functionI11custom_lessbEEEE10hipError_tPvRmT1_T2_T3_mmT4_T5_P12ihipStream_tbEUlRKfE_EESK_SO_SP_mSQ_ST_bEUlT_E_NS1_11comp_targetILNS1_3genE4ELNS1_11target_archE910ELNS1_3gpuE8ELNS1_3repE0EEENS1_30default_config_static_selectorELNS0_4arch9wavefront6targetE0EEEvSN_
; %bb.0:
	.section	.rodata,"a",@progbits
	.p2align	6, 0x0
	.amdhsa_kernel _ZN7rocprim17ROCPRIM_400000_NS6detail17trampoline_kernelINS0_14default_configENS1_27lower_bound_config_selectorIflEEZNS1_14transform_implILb0ES3_S5_N6thrust23THRUST_200600_302600_NS17counting_iteratorIfNS8_11use_defaultESA_SA_EEPlZNS1_13binary_searchIS3_S5_PfSB_SC_NS1_21lower_bound_search_opENS8_6detail16wrapped_functionI11custom_lessbEEEE10hipError_tPvRmT1_T2_T3_mmT4_T5_P12ihipStream_tbEUlRKfE_EESK_SO_SP_mSQ_ST_bEUlT_E_NS1_11comp_targetILNS1_3genE4ELNS1_11target_archE910ELNS1_3gpuE8ELNS1_3repE0EEENS1_30default_config_static_selectorELNS0_4arch9wavefront6targetE0EEEvSN_
		.amdhsa_group_segment_fixed_size 0
		.amdhsa_private_segment_fixed_size 0
		.amdhsa_kernarg_size 56
		.amdhsa_user_sgpr_count 15
		.amdhsa_user_sgpr_dispatch_ptr 0
		.amdhsa_user_sgpr_queue_ptr 0
		.amdhsa_user_sgpr_kernarg_segment_ptr 1
		.amdhsa_user_sgpr_dispatch_id 0
		.amdhsa_user_sgpr_private_segment_size 0
		.amdhsa_wavefront_size32 1
		.amdhsa_uses_dynamic_stack 0
		.amdhsa_enable_private_segment 0
		.amdhsa_system_sgpr_workgroup_id_x 1
		.amdhsa_system_sgpr_workgroup_id_y 0
		.amdhsa_system_sgpr_workgroup_id_z 0
		.amdhsa_system_sgpr_workgroup_info 0
		.amdhsa_system_vgpr_workitem_id 0
		.amdhsa_next_free_vgpr 1
		.amdhsa_next_free_sgpr 1
		.amdhsa_reserve_vcc 0
		.amdhsa_float_round_mode_32 0
		.amdhsa_float_round_mode_16_64 0
		.amdhsa_float_denorm_mode_32 3
		.amdhsa_float_denorm_mode_16_64 3
		.amdhsa_dx10_clamp 1
		.amdhsa_ieee_mode 1
		.amdhsa_fp16_overflow 0
		.amdhsa_workgroup_processor_mode 1
		.amdhsa_memory_ordered 1
		.amdhsa_forward_progress 0
		.amdhsa_shared_vgpr_count 0
		.amdhsa_exception_fp_ieee_invalid_op 0
		.amdhsa_exception_fp_denorm_src 0
		.amdhsa_exception_fp_ieee_div_zero 0
		.amdhsa_exception_fp_ieee_overflow 0
		.amdhsa_exception_fp_ieee_underflow 0
		.amdhsa_exception_fp_ieee_inexact 0
		.amdhsa_exception_int_div_zero 0
	.end_amdhsa_kernel
	.section	.text._ZN7rocprim17ROCPRIM_400000_NS6detail17trampoline_kernelINS0_14default_configENS1_27lower_bound_config_selectorIflEEZNS1_14transform_implILb0ES3_S5_N6thrust23THRUST_200600_302600_NS17counting_iteratorIfNS8_11use_defaultESA_SA_EEPlZNS1_13binary_searchIS3_S5_PfSB_SC_NS1_21lower_bound_search_opENS8_6detail16wrapped_functionI11custom_lessbEEEE10hipError_tPvRmT1_T2_T3_mmT4_T5_P12ihipStream_tbEUlRKfE_EESK_SO_SP_mSQ_ST_bEUlT_E_NS1_11comp_targetILNS1_3genE4ELNS1_11target_archE910ELNS1_3gpuE8ELNS1_3repE0EEENS1_30default_config_static_selectorELNS0_4arch9wavefront6targetE0EEEvSN_,"axG",@progbits,_ZN7rocprim17ROCPRIM_400000_NS6detail17trampoline_kernelINS0_14default_configENS1_27lower_bound_config_selectorIflEEZNS1_14transform_implILb0ES3_S5_N6thrust23THRUST_200600_302600_NS17counting_iteratorIfNS8_11use_defaultESA_SA_EEPlZNS1_13binary_searchIS3_S5_PfSB_SC_NS1_21lower_bound_search_opENS8_6detail16wrapped_functionI11custom_lessbEEEE10hipError_tPvRmT1_T2_T3_mmT4_T5_P12ihipStream_tbEUlRKfE_EESK_SO_SP_mSQ_ST_bEUlT_E_NS1_11comp_targetILNS1_3genE4ELNS1_11target_archE910ELNS1_3gpuE8ELNS1_3repE0EEENS1_30default_config_static_selectorELNS0_4arch9wavefront6targetE0EEEvSN_,comdat
.Lfunc_end16:
	.size	_ZN7rocprim17ROCPRIM_400000_NS6detail17trampoline_kernelINS0_14default_configENS1_27lower_bound_config_selectorIflEEZNS1_14transform_implILb0ES3_S5_N6thrust23THRUST_200600_302600_NS17counting_iteratorIfNS8_11use_defaultESA_SA_EEPlZNS1_13binary_searchIS3_S5_PfSB_SC_NS1_21lower_bound_search_opENS8_6detail16wrapped_functionI11custom_lessbEEEE10hipError_tPvRmT1_T2_T3_mmT4_T5_P12ihipStream_tbEUlRKfE_EESK_SO_SP_mSQ_ST_bEUlT_E_NS1_11comp_targetILNS1_3genE4ELNS1_11target_archE910ELNS1_3gpuE8ELNS1_3repE0EEENS1_30default_config_static_selectorELNS0_4arch9wavefront6targetE0EEEvSN_, .Lfunc_end16-_ZN7rocprim17ROCPRIM_400000_NS6detail17trampoline_kernelINS0_14default_configENS1_27lower_bound_config_selectorIflEEZNS1_14transform_implILb0ES3_S5_N6thrust23THRUST_200600_302600_NS17counting_iteratorIfNS8_11use_defaultESA_SA_EEPlZNS1_13binary_searchIS3_S5_PfSB_SC_NS1_21lower_bound_search_opENS8_6detail16wrapped_functionI11custom_lessbEEEE10hipError_tPvRmT1_T2_T3_mmT4_T5_P12ihipStream_tbEUlRKfE_EESK_SO_SP_mSQ_ST_bEUlT_E_NS1_11comp_targetILNS1_3genE4ELNS1_11target_archE910ELNS1_3gpuE8ELNS1_3repE0EEENS1_30default_config_static_selectorELNS0_4arch9wavefront6targetE0EEEvSN_
                                        ; -- End function
	.section	.AMDGPU.csdata,"",@progbits
; Kernel info:
; codeLenInByte = 0
; NumSgprs: 0
; NumVgprs: 0
; ScratchSize: 0
; MemoryBound: 0
; FloatMode: 240
; IeeeMode: 1
; LDSByteSize: 0 bytes/workgroup (compile time only)
; SGPRBlocks: 0
; VGPRBlocks: 0
; NumSGPRsForWavesPerEU: 1
; NumVGPRsForWavesPerEU: 1
; Occupancy: 16
; WaveLimiterHint : 0
; COMPUTE_PGM_RSRC2:SCRATCH_EN: 0
; COMPUTE_PGM_RSRC2:USER_SGPR: 15
; COMPUTE_PGM_RSRC2:TRAP_HANDLER: 0
; COMPUTE_PGM_RSRC2:TGID_X_EN: 1
; COMPUTE_PGM_RSRC2:TGID_Y_EN: 0
; COMPUTE_PGM_RSRC2:TGID_Z_EN: 0
; COMPUTE_PGM_RSRC2:TIDIG_COMP_CNT: 0
	.section	.text._ZN7rocprim17ROCPRIM_400000_NS6detail17trampoline_kernelINS0_14default_configENS1_27lower_bound_config_selectorIflEEZNS1_14transform_implILb0ES3_S5_N6thrust23THRUST_200600_302600_NS17counting_iteratorIfNS8_11use_defaultESA_SA_EEPlZNS1_13binary_searchIS3_S5_PfSB_SC_NS1_21lower_bound_search_opENS8_6detail16wrapped_functionI11custom_lessbEEEE10hipError_tPvRmT1_T2_T3_mmT4_T5_P12ihipStream_tbEUlRKfE_EESK_SO_SP_mSQ_ST_bEUlT_E_NS1_11comp_targetILNS1_3genE3ELNS1_11target_archE908ELNS1_3gpuE7ELNS1_3repE0EEENS1_30default_config_static_selectorELNS0_4arch9wavefront6targetE0EEEvSN_,"axG",@progbits,_ZN7rocprim17ROCPRIM_400000_NS6detail17trampoline_kernelINS0_14default_configENS1_27lower_bound_config_selectorIflEEZNS1_14transform_implILb0ES3_S5_N6thrust23THRUST_200600_302600_NS17counting_iteratorIfNS8_11use_defaultESA_SA_EEPlZNS1_13binary_searchIS3_S5_PfSB_SC_NS1_21lower_bound_search_opENS8_6detail16wrapped_functionI11custom_lessbEEEE10hipError_tPvRmT1_T2_T3_mmT4_T5_P12ihipStream_tbEUlRKfE_EESK_SO_SP_mSQ_ST_bEUlT_E_NS1_11comp_targetILNS1_3genE3ELNS1_11target_archE908ELNS1_3gpuE7ELNS1_3repE0EEENS1_30default_config_static_selectorELNS0_4arch9wavefront6targetE0EEEvSN_,comdat
	.protected	_ZN7rocprim17ROCPRIM_400000_NS6detail17trampoline_kernelINS0_14default_configENS1_27lower_bound_config_selectorIflEEZNS1_14transform_implILb0ES3_S5_N6thrust23THRUST_200600_302600_NS17counting_iteratorIfNS8_11use_defaultESA_SA_EEPlZNS1_13binary_searchIS3_S5_PfSB_SC_NS1_21lower_bound_search_opENS8_6detail16wrapped_functionI11custom_lessbEEEE10hipError_tPvRmT1_T2_T3_mmT4_T5_P12ihipStream_tbEUlRKfE_EESK_SO_SP_mSQ_ST_bEUlT_E_NS1_11comp_targetILNS1_3genE3ELNS1_11target_archE908ELNS1_3gpuE7ELNS1_3repE0EEENS1_30default_config_static_selectorELNS0_4arch9wavefront6targetE0EEEvSN_ ; -- Begin function _ZN7rocprim17ROCPRIM_400000_NS6detail17trampoline_kernelINS0_14default_configENS1_27lower_bound_config_selectorIflEEZNS1_14transform_implILb0ES3_S5_N6thrust23THRUST_200600_302600_NS17counting_iteratorIfNS8_11use_defaultESA_SA_EEPlZNS1_13binary_searchIS3_S5_PfSB_SC_NS1_21lower_bound_search_opENS8_6detail16wrapped_functionI11custom_lessbEEEE10hipError_tPvRmT1_T2_T3_mmT4_T5_P12ihipStream_tbEUlRKfE_EESK_SO_SP_mSQ_ST_bEUlT_E_NS1_11comp_targetILNS1_3genE3ELNS1_11target_archE908ELNS1_3gpuE7ELNS1_3repE0EEENS1_30default_config_static_selectorELNS0_4arch9wavefront6targetE0EEEvSN_
	.globl	_ZN7rocprim17ROCPRIM_400000_NS6detail17trampoline_kernelINS0_14default_configENS1_27lower_bound_config_selectorIflEEZNS1_14transform_implILb0ES3_S5_N6thrust23THRUST_200600_302600_NS17counting_iteratorIfNS8_11use_defaultESA_SA_EEPlZNS1_13binary_searchIS3_S5_PfSB_SC_NS1_21lower_bound_search_opENS8_6detail16wrapped_functionI11custom_lessbEEEE10hipError_tPvRmT1_T2_T3_mmT4_T5_P12ihipStream_tbEUlRKfE_EESK_SO_SP_mSQ_ST_bEUlT_E_NS1_11comp_targetILNS1_3genE3ELNS1_11target_archE908ELNS1_3gpuE7ELNS1_3repE0EEENS1_30default_config_static_selectorELNS0_4arch9wavefront6targetE0EEEvSN_
	.p2align	8
	.type	_ZN7rocprim17ROCPRIM_400000_NS6detail17trampoline_kernelINS0_14default_configENS1_27lower_bound_config_selectorIflEEZNS1_14transform_implILb0ES3_S5_N6thrust23THRUST_200600_302600_NS17counting_iteratorIfNS8_11use_defaultESA_SA_EEPlZNS1_13binary_searchIS3_S5_PfSB_SC_NS1_21lower_bound_search_opENS8_6detail16wrapped_functionI11custom_lessbEEEE10hipError_tPvRmT1_T2_T3_mmT4_T5_P12ihipStream_tbEUlRKfE_EESK_SO_SP_mSQ_ST_bEUlT_E_NS1_11comp_targetILNS1_3genE3ELNS1_11target_archE908ELNS1_3gpuE7ELNS1_3repE0EEENS1_30default_config_static_selectorELNS0_4arch9wavefront6targetE0EEEvSN_,@function
_ZN7rocprim17ROCPRIM_400000_NS6detail17trampoline_kernelINS0_14default_configENS1_27lower_bound_config_selectorIflEEZNS1_14transform_implILb0ES3_S5_N6thrust23THRUST_200600_302600_NS17counting_iteratorIfNS8_11use_defaultESA_SA_EEPlZNS1_13binary_searchIS3_S5_PfSB_SC_NS1_21lower_bound_search_opENS8_6detail16wrapped_functionI11custom_lessbEEEE10hipError_tPvRmT1_T2_T3_mmT4_T5_P12ihipStream_tbEUlRKfE_EESK_SO_SP_mSQ_ST_bEUlT_E_NS1_11comp_targetILNS1_3genE3ELNS1_11target_archE908ELNS1_3gpuE7ELNS1_3repE0EEENS1_30default_config_static_selectorELNS0_4arch9wavefront6targetE0EEEvSN_: ; @_ZN7rocprim17ROCPRIM_400000_NS6detail17trampoline_kernelINS0_14default_configENS1_27lower_bound_config_selectorIflEEZNS1_14transform_implILb0ES3_S5_N6thrust23THRUST_200600_302600_NS17counting_iteratorIfNS8_11use_defaultESA_SA_EEPlZNS1_13binary_searchIS3_S5_PfSB_SC_NS1_21lower_bound_search_opENS8_6detail16wrapped_functionI11custom_lessbEEEE10hipError_tPvRmT1_T2_T3_mmT4_T5_P12ihipStream_tbEUlRKfE_EESK_SO_SP_mSQ_ST_bEUlT_E_NS1_11comp_targetILNS1_3genE3ELNS1_11target_archE908ELNS1_3gpuE7ELNS1_3repE0EEENS1_30default_config_static_selectorELNS0_4arch9wavefront6targetE0EEEvSN_
; %bb.0:
	.section	.rodata,"a",@progbits
	.p2align	6, 0x0
	.amdhsa_kernel _ZN7rocprim17ROCPRIM_400000_NS6detail17trampoline_kernelINS0_14default_configENS1_27lower_bound_config_selectorIflEEZNS1_14transform_implILb0ES3_S5_N6thrust23THRUST_200600_302600_NS17counting_iteratorIfNS8_11use_defaultESA_SA_EEPlZNS1_13binary_searchIS3_S5_PfSB_SC_NS1_21lower_bound_search_opENS8_6detail16wrapped_functionI11custom_lessbEEEE10hipError_tPvRmT1_T2_T3_mmT4_T5_P12ihipStream_tbEUlRKfE_EESK_SO_SP_mSQ_ST_bEUlT_E_NS1_11comp_targetILNS1_3genE3ELNS1_11target_archE908ELNS1_3gpuE7ELNS1_3repE0EEENS1_30default_config_static_selectorELNS0_4arch9wavefront6targetE0EEEvSN_
		.amdhsa_group_segment_fixed_size 0
		.amdhsa_private_segment_fixed_size 0
		.amdhsa_kernarg_size 56
		.amdhsa_user_sgpr_count 15
		.amdhsa_user_sgpr_dispatch_ptr 0
		.amdhsa_user_sgpr_queue_ptr 0
		.amdhsa_user_sgpr_kernarg_segment_ptr 1
		.amdhsa_user_sgpr_dispatch_id 0
		.amdhsa_user_sgpr_private_segment_size 0
		.amdhsa_wavefront_size32 1
		.amdhsa_uses_dynamic_stack 0
		.amdhsa_enable_private_segment 0
		.amdhsa_system_sgpr_workgroup_id_x 1
		.amdhsa_system_sgpr_workgroup_id_y 0
		.amdhsa_system_sgpr_workgroup_id_z 0
		.amdhsa_system_sgpr_workgroup_info 0
		.amdhsa_system_vgpr_workitem_id 0
		.amdhsa_next_free_vgpr 1
		.amdhsa_next_free_sgpr 1
		.amdhsa_reserve_vcc 0
		.amdhsa_float_round_mode_32 0
		.amdhsa_float_round_mode_16_64 0
		.amdhsa_float_denorm_mode_32 3
		.amdhsa_float_denorm_mode_16_64 3
		.amdhsa_dx10_clamp 1
		.amdhsa_ieee_mode 1
		.amdhsa_fp16_overflow 0
		.amdhsa_workgroup_processor_mode 1
		.amdhsa_memory_ordered 1
		.amdhsa_forward_progress 0
		.amdhsa_shared_vgpr_count 0
		.amdhsa_exception_fp_ieee_invalid_op 0
		.amdhsa_exception_fp_denorm_src 0
		.amdhsa_exception_fp_ieee_div_zero 0
		.amdhsa_exception_fp_ieee_overflow 0
		.amdhsa_exception_fp_ieee_underflow 0
		.amdhsa_exception_fp_ieee_inexact 0
		.amdhsa_exception_int_div_zero 0
	.end_amdhsa_kernel
	.section	.text._ZN7rocprim17ROCPRIM_400000_NS6detail17trampoline_kernelINS0_14default_configENS1_27lower_bound_config_selectorIflEEZNS1_14transform_implILb0ES3_S5_N6thrust23THRUST_200600_302600_NS17counting_iteratorIfNS8_11use_defaultESA_SA_EEPlZNS1_13binary_searchIS3_S5_PfSB_SC_NS1_21lower_bound_search_opENS8_6detail16wrapped_functionI11custom_lessbEEEE10hipError_tPvRmT1_T2_T3_mmT4_T5_P12ihipStream_tbEUlRKfE_EESK_SO_SP_mSQ_ST_bEUlT_E_NS1_11comp_targetILNS1_3genE3ELNS1_11target_archE908ELNS1_3gpuE7ELNS1_3repE0EEENS1_30default_config_static_selectorELNS0_4arch9wavefront6targetE0EEEvSN_,"axG",@progbits,_ZN7rocprim17ROCPRIM_400000_NS6detail17trampoline_kernelINS0_14default_configENS1_27lower_bound_config_selectorIflEEZNS1_14transform_implILb0ES3_S5_N6thrust23THRUST_200600_302600_NS17counting_iteratorIfNS8_11use_defaultESA_SA_EEPlZNS1_13binary_searchIS3_S5_PfSB_SC_NS1_21lower_bound_search_opENS8_6detail16wrapped_functionI11custom_lessbEEEE10hipError_tPvRmT1_T2_T3_mmT4_T5_P12ihipStream_tbEUlRKfE_EESK_SO_SP_mSQ_ST_bEUlT_E_NS1_11comp_targetILNS1_3genE3ELNS1_11target_archE908ELNS1_3gpuE7ELNS1_3repE0EEENS1_30default_config_static_selectorELNS0_4arch9wavefront6targetE0EEEvSN_,comdat
.Lfunc_end17:
	.size	_ZN7rocprim17ROCPRIM_400000_NS6detail17trampoline_kernelINS0_14default_configENS1_27lower_bound_config_selectorIflEEZNS1_14transform_implILb0ES3_S5_N6thrust23THRUST_200600_302600_NS17counting_iteratorIfNS8_11use_defaultESA_SA_EEPlZNS1_13binary_searchIS3_S5_PfSB_SC_NS1_21lower_bound_search_opENS8_6detail16wrapped_functionI11custom_lessbEEEE10hipError_tPvRmT1_T2_T3_mmT4_T5_P12ihipStream_tbEUlRKfE_EESK_SO_SP_mSQ_ST_bEUlT_E_NS1_11comp_targetILNS1_3genE3ELNS1_11target_archE908ELNS1_3gpuE7ELNS1_3repE0EEENS1_30default_config_static_selectorELNS0_4arch9wavefront6targetE0EEEvSN_, .Lfunc_end17-_ZN7rocprim17ROCPRIM_400000_NS6detail17trampoline_kernelINS0_14default_configENS1_27lower_bound_config_selectorIflEEZNS1_14transform_implILb0ES3_S5_N6thrust23THRUST_200600_302600_NS17counting_iteratorIfNS8_11use_defaultESA_SA_EEPlZNS1_13binary_searchIS3_S5_PfSB_SC_NS1_21lower_bound_search_opENS8_6detail16wrapped_functionI11custom_lessbEEEE10hipError_tPvRmT1_T2_T3_mmT4_T5_P12ihipStream_tbEUlRKfE_EESK_SO_SP_mSQ_ST_bEUlT_E_NS1_11comp_targetILNS1_3genE3ELNS1_11target_archE908ELNS1_3gpuE7ELNS1_3repE0EEENS1_30default_config_static_selectorELNS0_4arch9wavefront6targetE0EEEvSN_
                                        ; -- End function
	.section	.AMDGPU.csdata,"",@progbits
; Kernel info:
; codeLenInByte = 0
; NumSgprs: 0
; NumVgprs: 0
; ScratchSize: 0
; MemoryBound: 0
; FloatMode: 240
; IeeeMode: 1
; LDSByteSize: 0 bytes/workgroup (compile time only)
; SGPRBlocks: 0
; VGPRBlocks: 0
; NumSGPRsForWavesPerEU: 1
; NumVGPRsForWavesPerEU: 1
; Occupancy: 16
; WaveLimiterHint : 0
; COMPUTE_PGM_RSRC2:SCRATCH_EN: 0
; COMPUTE_PGM_RSRC2:USER_SGPR: 15
; COMPUTE_PGM_RSRC2:TRAP_HANDLER: 0
; COMPUTE_PGM_RSRC2:TGID_X_EN: 1
; COMPUTE_PGM_RSRC2:TGID_Y_EN: 0
; COMPUTE_PGM_RSRC2:TGID_Z_EN: 0
; COMPUTE_PGM_RSRC2:TIDIG_COMP_CNT: 0
	.section	.text._ZN7rocprim17ROCPRIM_400000_NS6detail17trampoline_kernelINS0_14default_configENS1_27lower_bound_config_selectorIflEEZNS1_14transform_implILb0ES3_S5_N6thrust23THRUST_200600_302600_NS17counting_iteratorIfNS8_11use_defaultESA_SA_EEPlZNS1_13binary_searchIS3_S5_PfSB_SC_NS1_21lower_bound_search_opENS8_6detail16wrapped_functionI11custom_lessbEEEE10hipError_tPvRmT1_T2_T3_mmT4_T5_P12ihipStream_tbEUlRKfE_EESK_SO_SP_mSQ_ST_bEUlT_E_NS1_11comp_targetILNS1_3genE2ELNS1_11target_archE906ELNS1_3gpuE6ELNS1_3repE0EEENS1_30default_config_static_selectorELNS0_4arch9wavefront6targetE0EEEvSN_,"axG",@progbits,_ZN7rocprim17ROCPRIM_400000_NS6detail17trampoline_kernelINS0_14default_configENS1_27lower_bound_config_selectorIflEEZNS1_14transform_implILb0ES3_S5_N6thrust23THRUST_200600_302600_NS17counting_iteratorIfNS8_11use_defaultESA_SA_EEPlZNS1_13binary_searchIS3_S5_PfSB_SC_NS1_21lower_bound_search_opENS8_6detail16wrapped_functionI11custom_lessbEEEE10hipError_tPvRmT1_T2_T3_mmT4_T5_P12ihipStream_tbEUlRKfE_EESK_SO_SP_mSQ_ST_bEUlT_E_NS1_11comp_targetILNS1_3genE2ELNS1_11target_archE906ELNS1_3gpuE6ELNS1_3repE0EEENS1_30default_config_static_selectorELNS0_4arch9wavefront6targetE0EEEvSN_,comdat
	.protected	_ZN7rocprim17ROCPRIM_400000_NS6detail17trampoline_kernelINS0_14default_configENS1_27lower_bound_config_selectorIflEEZNS1_14transform_implILb0ES3_S5_N6thrust23THRUST_200600_302600_NS17counting_iteratorIfNS8_11use_defaultESA_SA_EEPlZNS1_13binary_searchIS3_S5_PfSB_SC_NS1_21lower_bound_search_opENS8_6detail16wrapped_functionI11custom_lessbEEEE10hipError_tPvRmT1_T2_T3_mmT4_T5_P12ihipStream_tbEUlRKfE_EESK_SO_SP_mSQ_ST_bEUlT_E_NS1_11comp_targetILNS1_3genE2ELNS1_11target_archE906ELNS1_3gpuE6ELNS1_3repE0EEENS1_30default_config_static_selectorELNS0_4arch9wavefront6targetE0EEEvSN_ ; -- Begin function _ZN7rocprim17ROCPRIM_400000_NS6detail17trampoline_kernelINS0_14default_configENS1_27lower_bound_config_selectorIflEEZNS1_14transform_implILb0ES3_S5_N6thrust23THRUST_200600_302600_NS17counting_iteratorIfNS8_11use_defaultESA_SA_EEPlZNS1_13binary_searchIS3_S5_PfSB_SC_NS1_21lower_bound_search_opENS8_6detail16wrapped_functionI11custom_lessbEEEE10hipError_tPvRmT1_T2_T3_mmT4_T5_P12ihipStream_tbEUlRKfE_EESK_SO_SP_mSQ_ST_bEUlT_E_NS1_11comp_targetILNS1_3genE2ELNS1_11target_archE906ELNS1_3gpuE6ELNS1_3repE0EEENS1_30default_config_static_selectorELNS0_4arch9wavefront6targetE0EEEvSN_
	.globl	_ZN7rocprim17ROCPRIM_400000_NS6detail17trampoline_kernelINS0_14default_configENS1_27lower_bound_config_selectorIflEEZNS1_14transform_implILb0ES3_S5_N6thrust23THRUST_200600_302600_NS17counting_iteratorIfNS8_11use_defaultESA_SA_EEPlZNS1_13binary_searchIS3_S5_PfSB_SC_NS1_21lower_bound_search_opENS8_6detail16wrapped_functionI11custom_lessbEEEE10hipError_tPvRmT1_T2_T3_mmT4_T5_P12ihipStream_tbEUlRKfE_EESK_SO_SP_mSQ_ST_bEUlT_E_NS1_11comp_targetILNS1_3genE2ELNS1_11target_archE906ELNS1_3gpuE6ELNS1_3repE0EEENS1_30default_config_static_selectorELNS0_4arch9wavefront6targetE0EEEvSN_
	.p2align	8
	.type	_ZN7rocprim17ROCPRIM_400000_NS6detail17trampoline_kernelINS0_14default_configENS1_27lower_bound_config_selectorIflEEZNS1_14transform_implILb0ES3_S5_N6thrust23THRUST_200600_302600_NS17counting_iteratorIfNS8_11use_defaultESA_SA_EEPlZNS1_13binary_searchIS3_S5_PfSB_SC_NS1_21lower_bound_search_opENS8_6detail16wrapped_functionI11custom_lessbEEEE10hipError_tPvRmT1_T2_T3_mmT4_T5_P12ihipStream_tbEUlRKfE_EESK_SO_SP_mSQ_ST_bEUlT_E_NS1_11comp_targetILNS1_3genE2ELNS1_11target_archE906ELNS1_3gpuE6ELNS1_3repE0EEENS1_30default_config_static_selectorELNS0_4arch9wavefront6targetE0EEEvSN_,@function
_ZN7rocprim17ROCPRIM_400000_NS6detail17trampoline_kernelINS0_14default_configENS1_27lower_bound_config_selectorIflEEZNS1_14transform_implILb0ES3_S5_N6thrust23THRUST_200600_302600_NS17counting_iteratorIfNS8_11use_defaultESA_SA_EEPlZNS1_13binary_searchIS3_S5_PfSB_SC_NS1_21lower_bound_search_opENS8_6detail16wrapped_functionI11custom_lessbEEEE10hipError_tPvRmT1_T2_T3_mmT4_T5_P12ihipStream_tbEUlRKfE_EESK_SO_SP_mSQ_ST_bEUlT_E_NS1_11comp_targetILNS1_3genE2ELNS1_11target_archE906ELNS1_3gpuE6ELNS1_3repE0EEENS1_30default_config_static_selectorELNS0_4arch9wavefront6targetE0EEEvSN_: ; @_ZN7rocprim17ROCPRIM_400000_NS6detail17trampoline_kernelINS0_14default_configENS1_27lower_bound_config_selectorIflEEZNS1_14transform_implILb0ES3_S5_N6thrust23THRUST_200600_302600_NS17counting_iteratorIfNS8_11use_defaultESA_SA_EEPlZNS1_13binary_searchIS3_S5_PfSB_SC_NS1_21lower_bound_search_opENS8_6detail16wrapped_functionI11custom_lessbEEEE10hipError_tPvRmT1_T2_T3_mmT4_T5_P12ihipStream_tbEUlRKfE_EESK_SO_SP_mSQ_ST_bEUlT_E_NS1_11comp_targetILNS1_3genE2ELNS1_11target_archE906ELNS1_3gpuE6ELNS1_3repE0EEENS1_30default_config_static_selectorELNS0_4arch9wavefront6targetE0EEEvSN_
; %bb.0:
	.section	.rodata,"a",@progbits
	.p2align	6, 0x0
	.amdhsa_kernel _ZN7rocprim17ROCPRIM_400000_NS6detail17trampoline_kernelINS0_14default_configENS1_27lower_bound_config_selectorIflEEZNS1_14transform_implILb0ES3_S5_N6thrust23THRUST_200600_302600_NS17counting_iteratorIfNS8_11use_defaultESA_SA_EEPlZNS1_13binary_searchIS3_S5_PfSB_SC_NS1_21lower_bound_search_opENS8_6detail16wrapped_functionI11custom_lessbEEEE10hipError_tPvRmT1_T2_T3_mmT4_T5_P12ihipStream_tbEUlRKfE_EESK_SO_SP_mSQ_ST_bEUlT_E_NS1_11comp_targetILNS1_3genE2ELNS1_11target_archE906ELNS1_3gpuE6ELNS1_3repE0EEENS1_30default_config_static_selectorELNS0_4arch9wavefront6targetE0EEEvSN_
		.amdhsa_group_segment_fixed_size 0
		.amdhsa_private_segment_fixed_size 0
		.amdhsa_kernarg_size 56
		.amdhsa_user_sgpr_count 15
		.amdhsa_user_sgpr_dispatch_ptr 0
		.amdhsa_user_sgpr_queue_ptr 0
		.amdhsa_user_sgpr_kernarg_segment_ptr 1
		.amdhsa_user_sgpr_dispatch_id 0
		.amdhsa_user_sgpr_private_segment_size 0
		.amdhsa_wavefront_size32 1
		.amdhsa_uses_dynamic_stack 0
		.amdhsa_enable_private_segment 0
		.amdhsa_system_sgpr_workgroup_id_x 1
		.amdhsa_system_sgpr_workgroup_id_y 0
		.amdhsa_system_sgpr_workgroup_id_z 0
		.amdhsa_system_sgpr_workgroup_info 0
		.amdhsa_system_vgpr_workitem_id 0
		.amdhsa_next_free_vgpr 1
		.amdhsa_next_free_sgpr 1
		.amdhsa_reserve_vcc 0
		.amdhsa_float_round_mode_32 0
		.amdhsa_float_round_mode_16_64 0
		.amdhsa_float_denorm_mode_32 3
		.amdhsa_float_denorm_mode_16_64 3
		.amdhsa_dx10_clamp 1
		.amdhsa_ieee_mode 1
		.amdhsa_fp16_overflow 0
		.amdhsa_workgroup_processor_mode 1
		.amdhsa_memory_ordered 1
		.amdhsa_forward_progress 0
		.amdhsa_shared_vgpr_count 0
		.amdhsa_exception_fp_ieee_invalid_op 0
		.amdhsa_exception_fp_denorm_src 0
		.amdhsa_exception_fp_ieee_div_zero 0
		.amdhsa_exception_fp_ieee_overflow 0
		.amdhsa_exception_fp_ieee_underflow 0
		.amdhsa_exception_fp_ieee_inexact 0
		.amdhsa_exception_int_div_zero 0
	.end_amdhsa_kernel
	.section	.text._ZN7rocprim17ROCPRIM_400000_NS6detail17trampoline_kernelINS0_14default_configENS1_27lower_bound_config_selectorIflEEZNS1_14transform_implILb0ES3_S5_N6thrust23THRUST_200600_302600_NS17counting_iteratorIfNS8_11use_defaultESA_SA_EEPlZNS1_13binary_searchIS3_S5_PfSB_SC_NS1_21lower_bound_search_opENS8_6detail16wrapped_functionI11custom_lessbEEEE10hipError_tPvRmT1_T2_T3_mmT4_T5_P12ihipStream_tbEUlRKfE_EESK_SO_SP_mSQ_ST_bEUlT_E_NS1_11comp_targetILNS1_3genE2ELNS1_11target_archE906ELNS1_3gpuE6ELNS1_3repE0EEENS1_30default_config_static_selectorELNS0_4arch9wavefront6targetE0EEEvSN_,"axG",@progbits,_ZN7rocprim17ROCPRIM_400000_NS6detail17trampoline_kernelINS0_14default_configENS1_27lower_bound_config_selectorIflEEZNS1_14transform_implILb0ES3_S5_N6thrust23THRUST_200600_302600_NS17counting_iteratorIfNS8_11use_defaultESA_SA_EEPlZNS1_13binary_searchIS3_S5_PfSB_SC_NS1_21lower_bound_search_opENS8_6detail16wrapped_functionI11custom_lessbEEEE10hipError_tPvRmT1_T2_T3_mmT4_T5_P12ihipStream_tbEUlRKfE_EESK_SO_SP_mSQ_ST_bEUlT_E_NS1_11comp_targetILNS1_3genE2ELNS1_11target_archE906ELNS1_3gpuE6ELNS1_3repE0EEENS1_30default_config_static_selectorELNS0_4arch9wavefront6targetE0EEEvSN_,comdat
.Lfunc_end18:
	.size	_ZN7rocprim17ROCPRIM_400000_NS6detail17trampoline_kernelINS0_14default_configENS1_27lower_bound_config_selectorIflEEZNS1_14transform_implILb0ES3_S5_N6thrust23THRUST_200600_302600_NS17counting_iteratorIfNS8_11use_defaultESA_SA_EEPlZNS1_13binary_searchIS3_S5_PfSB_SC_NS1_21lower_bound_search_opENS8_6detail16wrapped_functionI11custom_lessbEEEE10hipError_tPvRmT1_T2_T3_mmT4_T5_P12ihipStream_tbEUlRKfE_EESK_SO_SP_mSQ_ST_bEUlT_E_NS1_11comp_targetILNS1_3genE2ELNS1_11target_archE906ELNS1_3gpuE6ELNS1_3repE0EEENS1_30default_config_static_selectorELNS0_4arch9wavefront6targetE0EEEvSN_, .Lfunc_end18-_ZN7rocprim17ROCPRIM_400000_NS6detail17trampoline_kernelINS0_14default_configENS1_27lower_bound_config_selectorIflEEZNS1_14transform_implILb0ES3_S5_N6thrust23THRUST_200600_302600_NS17counting_iteratorIfNS8_11use_defaultESA_SA_EEPlZNS1_13binary_searchIS3_S5_PfSB_SC_NS1_21lower_bound_search_opENS8_6detail16wrapped_functionI11custom_lessbEEEE10hipError_tPvRmT1_T2_T3_mmT4_T5_P12ihipStream_tbEUlRKfE_EESK_SO_SP_mSQ_ST_bEUlT_E_NS1_11comp_targetILNS1_3genE2ELNS1_11target_archE906ELNS1_3gpuE6ELNS1_3repE0EEENS1_30default_config_static_selectorELNS0_4arch9wavefront6targetE0EEEvSN_
                                        ; -- End function
	.section	.AMDGPU.csdata,"",@progbits
; Kernel info:
; codeLenInByte = 0
; NumSgprs: 0
; NumVgprs: 0
; ScratchSize: 0
; MemoryBound: 0
; FloatMode: 240
; IeeeMode: 1
; LDSByteSize: 0 bytes/workgroup (compile time only)
; SGPRBlocks: 0
; VGPRBlocks: 0
; NumSGPRsForWavesPerEU: 1
; NumVGPRsForWavesPerEU: 1
; Occupancy: 16
; WaveLimiterHint : 0
; COMPUTE_PGM_RSRC2:SCRATCH_EN: 0
; COMPUTE_PGM_RSRC2:USER_SGPR: 15
; COMPUTE_PGM_RSRC2:TRAP_HANDLER: 0
; COMPUTE_PGM_RSRC2:TGID_X_EN: 1
; COMPUTE_PGM_RSRC2:TGID_Y_EN: 0
; COMPUTE_PGM_RSRC2:TGID_Z_EN: 0
; COMPUTE_PGM_RSRC2:TIDIG_COMP_CNT: 0
	.section	.text._ZN7rocprim17ROCPRIM_400000_NS6detail17trampoline_kernelINS0_14default_configENS1_27lower_bound_config_selectorIflEEZNS1_14transform_implILb0ES3_S5_N6thrust23THRUST_200600_302600_NS17counting_iteratorIfNS8_11use_defaultESA_SA_EEPlZNS1_13binary_searchIS3_S5_PfSB_SC_NS1_21lower_bound_search_opENS8_6detail16wrapped_functionI11custom_lessbEEEE10hipError_tPvRmT1_T2_T3_mmT4_T5_P12ihipStream_tbEUlRKfE_EESK_SO_SP_mSQ_ST_bEUlT_E_NS1_11comp_targetILNS1_3genE10ELNS1_11target_archE1201ELNS1_3gpuE5ELNS1_3repE0EEENS1_30default_config_static_selectorELNS0_4arch9wavefront6targetE0EEEvSN_,"axG",@progbits,_ZN7rocprim17ROCPRIM_400000_NS6detail17trampoline_kernelINS0_14default_configENS1_27lower_bound_config_selectorIflEEZNS1_14transform_implILb0ES3_S5_N6thrust23THRUST_200600_302600_NS17counting_iteratorIfNS8_11use_defaultESA_SA_EEPlZNS1_13binary_searchIS3_S5_PfSB_SC_NS1_21lower_bound_search_opENS8_6detail16wrapped_functionI11custom_lessbEEEE10hipError_tPvRmT1_T2_T3_mmT4_T5_P12ihipStream_tbEUlRKfE_EESK_SO_SP_mSQ_ST_bEUlT_E_NS1_11comp_targetILNS1_3genE10ELNS1_11target_archE1201ELNS1_3gpuE5ELNS1_3repE0EEENS1_30default_config_static_selectorELNS0_4arch9wavefront6targetE0EEEvSN_,comdat
	.protected	_ZN7rocprim17ROCPRIM_400000_NS6detail17trampoline_kernelINS0_14default_configENS1_27lower_bound_config_selectorIflEEZNS1_14transform_implILb0ES3_S5_N6thrust23THRUST_200600_302600_NS17counting_iteratorIfNS8_11use_defaultESA_SA_EEPlZNS1_13binary_searchIS3_S5_PfSB_SC_NS1_21lower_bound_search_opENS8_6detail16wrapped_functionI11custom_lessbEEEE10hipError_tPvRmT1_T2_T3_mmT4_T5_P12ihipStream_tbEUlRKfE_EESK_SO_SP_mSQ_ST_bEUlT_E_NS1_11comp_targetILNS1_3genE10ELNS1_11target_archE1201ELNS1_3gpuE5ELNS1_3repE0EEENS1_30default_config_static_selectorELNS0_4arch9wavefront6targetE0EEEvSN_ ; -- Begin function _ZN7rocprim17ROCPRIM_400000_NS6detail17trampoline_kernelINS0_14default_configENS1_27lower_bound_config_selectorIflEEZNS1_14transform_implILb0ES3_S5_N6thrust23THRUST_200600_302600_NS17counting_iteratorIfNS8_11use_defaultESA_SA_EEPlZNS1_13binary_searchIS3_S5_PfSB_SC_NS1_21lower_bound_search_opENS8_6detail16wrapped_functionI11custom_lessbEEEE10hipError_tPvRmT1_T2_T3_mmT4_T5_P12ihipStream_tbEUlRKfE_EESK_SO_SP_mSQ_ST_bEUlT_E_NS1_11comp_targetILNS1_3genE10ELNS1_11target_archE1201ELNS1_3gpuE5ELNS1_3repE0EEENS1_30default_config_static_selectorELNS0_4arch9wavefront6targetE0EEEvSN_
	.globl	_ZN7rocprim17ROCPRIM_400000_NS6detail17trampoline_kernelINS0_14default_configENS1_27lower_bound_config_selectorIflEEZNS1_14transform_implILb0ES3_S5_N6thrust23THRUST_200600_302600_NS17counting_iteratorIfNS8_11use_defaultESA_SA_EEPlZNS1_13binary_searchIS3_S5_PfSB_SC_NS1_21lower_bound_search_opENS8_6detail16wrapped_functionI11custom_lessbEEEE10hipError_tPvRmT1_T2_T3_mmT4_T5_P12ihipStream_tbEUlRKfE_EESK_SO_SP_mSQ_ST_bEUlT_E_NS1_11comp_targetILNS1_3genE10ELNS1_11target_archE1201ELNS1_3gpuE5ELNS1_3repE0EEENS1_30default_config_static_selectorELNS0_4arch9wavefront6targetE0EEEvSN_
	.p2align	8
	.type	_ZN7rocprim17ROCPRIM_400000_NS6detail17trampoline_kernelINS0_14default_configENS1_27lower_bound_config_selectorIflEEZNS1_14transform_implILb0ES3_S5_N6thrust23THRUST_200600_302600_NS17counting_iteratorIfNS8_11use_defaultESA_SA_EEPlZNS1_13binary_searchIS3_S5_PfSB_SC_NS1_21lower_bound_search_opENS8_6detail16wrapped_functionI11custom_lessbEEEE10hipError_tPvRmT1_T2_T3_mmT4_T5_P12ihipStream_tbEUlRKfE_EESK_SO_SP_mSQ_ST_bEUlT_E_NS1_11comp_targetILNS1_3genE10ELNS1_11target_archE1201ELNS1_3gpuE5ELNS1_3repE0EEENS1_30default_config_static_selectorELNS0_4arch9wavefront6targetE0EEEvSN_,@function
_ZN7rocprim17ROCPRIM_400000_NS6detail17trampoline_kernelINS0_14default_configENS1_27lower_bound_config_selectorIflEEZNS1_14transform_implILb0ES3_S5_N6thrust23THRUST_200600_302600_NS17counting_iteratorIfNS8_11use_defaultESA_SA_EEPlZNS1_13binary_searchIS3_S5_PfSB_SC_NS1_21lower_bound_search_opENS8_6detail16wrapped_functionI11custom_lessbEEEE10hipError_tPvRmT1_T2_T3_mmT4_T5_P12ihipStream_tbEUlRKfE_EESK_SO_SP_mSQ_ST_bEUlT_E_NS1_11comp_targetILNS1_3genE10ELNS1_11target_archE1201ELNS1_3gpuE5ELNS1_3repE0EEENS1_30default_config_static_selectorELNS0_4arch9wavefront6targetE0EEEvSN_: ; @_ZN7rocprim17ROCPRIM_400000_NS6detail17trampoline_kernelINS0_14default_configENS1_27lower_bound_config_selectorIflEEZNS1_14transform_implILb0ES3_S5_N6thrust23THRUST_200600_302600_NS17counting_iteratorIfNS8_11use_defaultESA_SA_EEPlZNS1_13binary_searchIS3_S5_PfSB_SC_NS1_21lower_bound_search_opENS8_6detail16wrapped_functionI11custom_lessbEEEE10hipError_tPvRmT1_T2_T3_mmT4_T5_P12ihipStream_tbEUlRKfE_EESK_SO_SP_mSQ_ST_bEUlT_E_NS1_11comp_targetILNS1_3genE10ELNS1_11target_archE1201ELNS1_3gpuE5ELNS1_3repE0EEENS1_30default_config_static_selectorELNS0_4arch9wavefront6targetE0EEEvSN_
; %bb.0:
	.section	.rodata,"a",@progbits
	.p2align	6, 0x0
	.amdhsa_kernel _ZN7rocprim17ROCPRIM_400000_NS6detail17trampoline_kernelINS0_14default_configENS1_27lower_bound_config_selectorIflEEZNS1_14transform_implILb0ES3_S5_N6thrust23THRUST_200600_302600_NS17counting_iteratorIfNS8_11use_defaultESA_SA_EEPlZNS1_13binary_searchIS3_S5_PfSB_SC_NS1_21lower_bound_search_opENS8_6detail16wrapped_functionI11custom_lessbEEEE10hipError_tPvRmT1_T2_T3_mmT4_T5_P12ihipStream_tbEUlRKfE_EESK_SO_SP_mSQ_ST_bEUlT_E_NS1_11comp_targetILNS1_3genE10ELNS1_11target_archE1201ELNS1_3gpuE5ELNS1_3repE0EEENS1_30default_config_static_selectorELNS0_4arch9wavefront6targetE0EEEvSN_
		.amdhsa_group_segment_fixed_size 0
		.amdhsa_private_segment_fixed_size 0
		.amdhsa_kernarg_size 56
		.amdhsa_user_sgpr_count 15
		.amdhsa_user_sgpr_dispatch_ptr 0
		.amdhsa_user_sgpr_queue_ptr 0
		.amdhsa_user_sgpr_kernarg_segment_ptr 1
		.amdhsa_user_sgpr_dispatch_id 0
		.amdhsa_user_sgpr_private_segment_size 0
		.amdhsa_wavefront_size32 1
		.amdhsa_uses_dynamic_stack 0
		.amdhsa_enable_private_segment 0
		.amdhsa_system_sgpr_workgroup_id_x 1
		.amdhsa_system_sgpr_workgroup_id_y 0
		.amdhsa_system_sgpr_workgroup_id_z 0
		.amdhsa_system_sgpr_workgroup_info 0
		.amdhsa_system_vgpr_workitem_id 0
		.amdhsa_next_free_vgpr 1
		.amdhsa_next_free_sgpr 1
		.amdhsa_reserve_vcc 0
		.amdhsa_float_round_mode_32 0
		.amdhsa_float_round_mode_16_64 0
		.amdhsa_float_denorm_mode_32 3
		.amdhsa_float_denorm_mode_16_64 3
		.amdhsa_dx10_clamp 1
		.amdhsa_ieee_mode 1
		.amdhsa_fp16_overflow 0
		.amdhsa_workgroup_processor_mode 1
		.amdhsa_memory_ordered 1
		.amdhsa_forward_progress 0
		.amdhsa_shared_vgpr_count 0
		.amdhsa_exception_fp_ieee_invalid_op 0
		.amdhsa_exception_fp_denorm_src 0
		.amdhsa_exception_fp_ieee_div_zero 0
		.amdhsa_exception_fp_ieee_overflow 0
		.amdhsa_exception_fp_ieee_underflow 0
		.amdhsa_exception_fp_ieee_inexact 0
		.amdhsa_exception_int_div_zero 0
	.end_amdhsa_kernel
	.section	.text._ZN7rocprim17ROCPRIM_400000_NS6detail17trampoline_kernelINS0_14default_configENS1_27lower_bound_config_selectorIflEEZNS1_14transform_implILb0ES3_S5_N6thrust23THRUST_200600_302600_NS17counting_iteratorIfNS8_11use_defaultESA_SA_EEPlZNS1_13binary_searchIS3_S5_PfSB_SC_NS1_21lower_bound_search_opENS8_6detail16wrapped_functionI11custom_lessbEEEE10hipError_tPvRmT1_T2_T3_mmT4_T5_P12ihipStream_tbEUlRKfE_EESK_SO_SP_mSQ_ST_bEUlT_E_NS1_11comp_targetILNS1_3genE10ELNS1_11target_archE1201ELNS1_3gpuE5ELNS1_3repE0EEENS1_30default_config_static_selectorELNS0_4arch9wavefront6targetE0EEEvSN_,"axG",@progbits,_ZN7rocprim17ROCPRIM_400000_NS6detail17trampoline_kernelINS0_14default_configENS1_27lower_bound_config_selectorIflEEZNS1_14transform_implILb0ES3_S5_N6thrust23THRUST_200600_302600_NS17counting_iteratorIfNS8_11use_defaultESA_SA_EEPlZNS1_13binary_searchIS3_S5_PfSB_SC_NS1_21lower_bound_search_opENS8_6detail16wrapped_functionI11custom_lessbEEEE10hipError_tPvRmT1_T2_T3_mmT4_T5_P12ihipStream_tbEUlRKfE_EESK_SO_SP_mSQ_ST_bEUlT_E_NS1_11comp_targetILNS1_3genE10ELNS1_11target_archE1201ELNS1_3gpuE5ELNS1_3repE0EEENS1_30default_config_static_selectorELNS0_4arch9wavefront6targetE0EEEvSN_,comdat
.Lfunc_end19:
	.size	_ZN7rocprim17ROCPRIM_400000_NS6detail17trampoline_kernelINS0_14default_configENS1_27lower_bound_config_selectorIflEEZNS1_14transform_implILb0ES3_S5_N6thrust23THRUST_200600_302600_NS17counting_iteratorIfNS8_11use_defaultESA_SA_EEPlZNS1_13binary_searchIS3_S5_PfSB_SC_NS1_21lower_bound_search_opENS8_6detail16wrapped_functionI11custom_lessbEEEE10hipError_tPvRmT1_T2_T3_mmT4_T5_P12ihipStream_tbEUlRKfE_EESK_SO_SP_mSQ_ST_bEUlT_E_NS1_11comp_targetILNS1_3genE10ELNS1_11target_archE1201ELNS1_3gpuE5ELNS1_3repE0EEENS1_30default_config_static_selectorELNS0_4arch9wavefront6targetE0EEEvSN_, .Lfunc_end19-_ZN7rocprim17ROCPRIM_400000_NS6detail17trampoline_kernelINS0_14default_configENS1_27lower_bound_config_selectorIflEEZNS1_14transform_implILb0ES3_S5_N6thrust23THRUST_200600_302600_NS17counting_iteratorIfNS8_11use_defaultESA_SA_EEPlZNS1_13binary_searchIS3_S5_PfSB_SC_NS1_21lower_bound_search_opENS8_6detail16wrapped_functionI11custom_lessbEEEE10hipError_tPvRmT1_T2_T3_mmT4_T5_P12ihipStream_tbEUlRKfE_EESK_SO_SP_mSQ_ST_bEUlT_E_NS1_11comp_targetILNS1_3genE10ELNS1_11target_archE1201ELNS1_3gpuE5ELNS1_3repE0EEENS1_30default_config_static_selectorELNS0_4arch9wavefront6targetE0EEEvSN_
                                        ; -- End function
	.section	.AMDGPU.csdata,"",@progbits
; Kernel info:
; codeLenInByte = 0
; NumSgprs: 0
; NumVgprs: 0
; ScratchSize: 0
; MemoryBound: 0
; FloatMode: 240
; IeeeMode: 1
; LDSByteSize: 0 bytes/workgroup (compile time only)
; SGPRBlocks: 0
; VGPRBlocks: 0
; NumSGPRsForWavesPerEU: 1
; NumVGPRsForWavesPerEU: 1
; Occupancy: 16
; WaveLimiterHint : 0
; COMPUTE_PGM_RSRC2:SCRATCH_EN: 0
; COMPUTE_PGM_RSRC2:USER_SGPR: 15
; COMPUTE_PGM_RSRC2:TRAP_HANDLER: 0
; COMPUTE_PGM_RSRC2:TGID_X_EN: 1
; COMPUTE_PGM_RSRC2:TGID_Y_EN: 0
; COMPUTE_PGM_RSRC2:TGID_Z_EN: 0
; COMPUTE_PGM_RSRC2:TIDIG_COMP_CNT: 0
	.section	.text._ZN7rocprim17ROCPRIM_400000_NS6detail17trampoline_kernelINS0_14default_configENS1_27lower_bound_config_selectorIflEEZNS1_14transform_implILb0ES3_S5_N6thrust23THRUST_200600_302600_NS17counting_iteratorIfNS8_11use_defaultESA_SA_EEPlZNS1_13binary_searchIS3_S5_PfSB_SC_NS1_21lower_bound_search_opENS8_6detail16wrapped_functionI11custom_lessbEEEE10hipError_tPvRmT1_T2_T3_mmT4_T5_P12ihipStream_tbEUlRKfE_EESK_SO_SP_mSQ_ST_bEUlT_E_NS1_11comp_targetILNS1_3genE10ELNS1_11target_archE1200ELNS1_3gpuE4ELNS1_3repE0EEENS1_30default_config_static_selectorELNS0_4arch9wavefront6targetE0EEEvSN_,"axG",@progbits,_ZN7rocprim17ROCPRIM_400000_NS6detail17trampoline_kernelINS0_14default_configENS1_27lower_bound_config_selectorIflEEZNS1_14transform_implILb0ES3_S5_N6thrust23THRUST_200600_302600_NS17counting_iteratorIfNS8_11use_defaultESA_SA_EEPlZNS1_13binary_searchIS3_S5_PfSB_SC_NS1_21lower_bound_search_opENS8_6detail16wrapped_functionI11custom_lessbEEEE10hipError_tPvRmT1_T2_T3_mmT4_T5_P12ihipStream_tbEUlRKfE_EESK_SO_SP_mSQ_ST_bEUlT_E_NS1_11comp_targetILNS1_3genE10ELNS1_11target_archE1200ELNS1_3gpuE4ELNS1_3repE0EEENS1_30default_config_static_selectorELNS0_4arch9wavefront6targetE0EEEvSN_,comdat
	.protected	_ZN7rocprim17ROCPRIM_400000_NS6detail17trampoline_kernelINS0_14default_configENS1_27lower_bound_config_selectorIflEEZNS1_14transform_implILb0ES3_S5_N6thrust23THRUST_200600_302600_NS17counting_iteratorIfNS8_11use_defaultESA_SA_EEPlZNS1_13binary_searchIS3_S5_PfSB_SC_NS1_21lower_bound_search_opENS8_6detail16wrapped_functionI11custom_lessbEEEE10hipError_tPvRmT1_T2_T3_mmT4_T5_P12ihipStream_tbEUlRKfE_EESK_SO_SP_mSQ_ST_bEUlT_E_NS1_11comp_targetILNS1_3genE10ELNS1_11target_archE1200ELNS1_3gpuE4ELNS1_3repE0EEENS1_30default_config_static_selectorELNS0_4arch9wavefront6targetE0EEEvSN_ ; -- Begin function _ZN7rocprim17ROCPRIM_400000_NS6detail17trampoline_kernelINS0_14default_configENS1_27lower_bound_config_selectorIflEEZNS1_14transform_implILb0ES3_S5_N6thrust23THRUST_200600_302600_NS17counting_iteratorIfNS8_11use_defaultESA_SA_EEPlZNS1_13binary_searchIS3_S5_PfSB_SC_NS1_21lower_bound_search_opENS8_6detail16wrapped_functionI11custom_lessbEEEE10hipError_tPvRmT1_T2_T3_mmT4_T5_P12ihipStream_tbEUlRKfE_EESK_SO_SP_mSQ_ST_bEUlT_E_NS1_11comp_targetILNS1_3genE10ELNS1_11target_archE1200ELNS1_3gpuE4ELNS1_3repE0EEENS1_30default_config_static_selectorELNS0_4arch9wavefront6targetE0EEEvSN_
	.globl	_ZN7rocprim17ROCPRIM_400000_NS6detail17trampoline_kernelINS0_14default_configENS1_27lower_bound_config_selectorIflEEZNS1_14transform_implILb0ES3_S5_N6thrust23THRUST_200600_302600_NS17counting_iteratorIfNS8_11use_defaultESA_SA_EEPlZNS1_13binary_searchIS3_S5_PfSB_SC_NS1_21lower_bound_search_opENS8_6detail16wrapped_functionI11custom_lessbEEEE10hipError_tPvRmT1_T2_T3_mmT4_T5_P12ihipStream_tbEUlRKfE_EESK_SO_SP_mSQ_ST_bEUlT_E_NS1_11comp_targetILNS1_3genE10ELNS1_11target_archE1200ELNS1_3gpuE4ELNS1_3repE0EEENS1_30default_config_static_selectorELNS0_4arch9wavefront6targetE0EEEvSN_
	.p2align	8
	.type	_ZN7rocprim17ROCPRIM_400000_NS6detail17trampoline_kernelINS0_14default_configENS1_27lower_bound_config_selectorIflEEZNS1_14transform_implILb0ES3_S5_N6thrust23THRUST_200600_302600_NS17counting_iteratorIfNS8_11use_defaultESA_SA_EEPlZNS1_13binary_searchIS3_S5_PfSB_SC_NS1_21lower_bound_search_opENS8_6detail16wrapped_functionI11custom_lessbEEEE10hipError_tPvRmT1_T2_T3_mmT4_T5_P12ihipStream_tbEUlRKfE_EESK_SO_SP_mSQ_ST_bEUlT_E_NS1_11comp_targetILNS1_3genE10ELNS1_11target_archE1200ELNS1_3gpuE4ELNS1_3repE0EEENS1_30default_config_static_selectorELNS0_4arch9wavefront6targetE0EEEvSN_,@function
_ZN7rocprim17ROCPRIM_400000_NS6detail17trampoline_kernelINS0_14default_configENS1_27lower_bound_config_selectorIflEEZNS1_14transform_implILb0ES3_S5_N6thrust23THRUST_200600_302600_NS17counting_iteratorIfNS8_11use_defaultESA_SA_EEPlZNS1_13binary_searchIS3_S5_PfSB_SC_NS1_21lower_bound_search_opENS8_6detail16wrapped_functionI11custom_lessbEEEE10hipError_tPvRmT1_T2_T3_mmT4_T5_P12ihipStream_tbEUlRKfE_EESK_SO_SP_mSQ_ST_bEUlT_E_NS1_11comp_targetILNS1_3genE10ELNS1_11target_archE1200ELNS1_3gpuE4ELNS1_3repE0EEENS1_30default_config_static_selectorELNS0_4arch9wavefront6targetE0EEEvSN_: ; @_ZN7rocprim17ROCPRIM_400000_NS6detail17trampoline_kernelINS0_14default_configENS1_27lower_bound_config_selectorIflEEZNS1_14transform_implILb0ES3_S5_N6thrust23THRUST_200600_302600_NS17counting_iteratorIfNS8_11use_defaultESA_SA_EEPlZNS1_13binary_searchIS3_S5_PfSB_SC_NS1_21lower_bound_search_opENS8_6detail16wrapped_functionI11custom_lessbEEEE10hipError_tPvRmT1_T2_T3_mmT4_T5_P12ihipStream_tbEUlRKfE_EESK_SO_SP_mSQ_ST_bEUlT_E_NS1_11comp_targetILNS1_3genE10ELNS1_11target_archE1200ELNS1_3gpuE4ELNS1_3repE0EEENS1_30default_config_static_selectorELNS0_4arch9wavefront6targetE0EEEvSN_
; %bb.0:
	.section	.rodata,"a",@progbits
	.p2align	6, 0x0
	.amdhsa_kernel _ZN7rocprim17ROCPRIM_400000_NS6detail17trampoline_kernelINS0_14default_configENS1_27lower_bound_config_selectorIflEEZNS1_14transform_implILb0ES3_S5_N6thrust23THRUST_200600_302600_NS17counting_iteratorIfNS8_11use_defaultESA_SA_EEPlZNS1_13binary_searchIS3_S5_PfSB_SC_NS1_21lower_bound_search_opENS8_6detail16wrapped_functionI11custom_lessbEEEE10hipError_tPvRmT1_T2_T3_mmT4_T5_P12ihipStream_tbEUlRKfE_EESK_SO_SP_mSQ_ST_bEUlT_E_NS1_11comp_targetILNS1_3genE10ELNS1_11target_archE1200ELNS1_3gpuE4ELNS1_3repE0EEENS1_30default_config_static_selectorELNS0_4arch9wavefront6targetE0EEEvSN_
		.amdhsa_group_segment_fixed_size 0
		.amdhsa_private_segment_fixed_size 0
		.amdhsa_kernarg_size 56
		.amdhsa_user_sgpr_count 15
		.amdhsa_user_sgpr_dispatch_ptr 0
		.amdhsa_user_sgpr_queue_ptr 0
		.amdhsa_user_sgpr_kernarg_segment_ptr 1
		.amdhsa_user_sgpr_dispatch_id 0
		.amdhsa_user_sgpr_private_segment_size 0
		.amdhsa_wavefront_size32 1
		.amdhsa_uses_dynamic_stack 0
		.amdhsa_enable_private_segment 0
		.amdhsa_system_sgpr_workgroup_id_x 1
		.amdhsa_system_sgpr_workgroup_id_y 0
		.amdhsa_system_sgpr_workgroup_id_z 0
		.amdhsa_system_sgpr_workgroup_info 0
		.amdhsa_system_vgpr_workitem_id 0
		.amdhsa_next_free_vgpr 1
		.amdhsa_next_free_sgpr 1
		.amdhsa_reserve_vcc 0
		.amdhsa_float_round_mode_32 0
		.amdhsa_float_round_mode_16_64 0
		.amdhsa_float_denorm_mode_32 3
		.amdhsa_float_denorm_mode_16_64 3
		.amdhsa_dx10_clamp 1
		.amdhsa_ieee_mode 1
		.amdhsa_fp16_overflow 0
		.amdhsa_workgroup_processor_mode 1
		.amdhsa_memory_ordered 1
		.amdhsa_forward_progress 0
		.amdhsa_shared_vgpr_count 0
		.amdhsa_exception_fp_ieee_invalid_op 0
		.amdhsa_exception_fp_denorm_src 0
		.amdhsa_exception_fp_ieee_div_zero 0
		.amdhsa_exception_fp_ieee_overflow 0
		.amdhsa_exception_fp_ieee_underflow 0
		.amdhsa_exception_fp_ieee_inexact 0
		.amdhsa_exception_int_div_zero 0
	.end_amdhsa_kernel
	.section	.text._ZN7rocprim17ROCPRIM_400000_NS6detail17trampoline_kernelINS0_14default_configENS1_27lower_bound_config_selectorIflEEZNS1_14transform_implILb0ES3_S5_N6thrust23THRUST_200600_302600_NS17counting_iteratorIfNS8_11use_defaultESA_SA_EEPlZNS1_13binary_searchIS3_S5_PfSB_SC_NS1_21lower_bound_search_opENS8_6detail16wrapped_functionI11custom_lessbEEEE10hipError_tPvRmT1_T2_T3_mmT4_T5_P12ihipStream_tbEUlRKfE_EESK_SO_SP_mSQ_ST_bEUlT_E_NS1_11comp_targetILNS1_3genE10ELNS1_11target_archE1200ELNS1_3gpuE4ELNS1_3repE0EEENS1_30default_config_static_selectorELNS0_4arch9wavefront6targetE0EEEvSN_,"axG",@progbits,_ZN7rocprim17ROCPRIM_400000_NS6detail17trampoline_kernelINS0_14default_configENS1_27lower_bound_config_selectorIflEEZNS1_14transform_implILb0ES3_S5_N6thrust23THRUST_200600_302600_NS17counting_iteratorIfNS8_11use_defaultESA_SA_EEPlZNS1_13binary_searchIS3_S5_PfSB_SC_NS1_21lower_bound_search_opENS8_6detail16wrapped_functionI11custom_lessbEEEE10hipError_tPvRmT1_T2_T3_mmT4_T5_P12ihipStream_tbEUlRKfE_EESK_SO_SP_mSQ_ST_bEUlT_E_NS1_11comp_targetILNS1_3genE10ELNS1_11target_archE1200ELNS1_3gpuE4ELNS1_3repE0EEENS1_30default_config_static_selectorELNS0_4arch9wavefront6targetE0EEEvSN_,comdat
.Lfunc_end20:
	.size	_ZN7rocprim17ROCPRIM_400000_NS6detail17trampoline_kernelINS0_14default_configENS1_27lower_bound_config_selectorIflEEZNS1_14transform_implILb0ES3_S5_N6thrust23THRUST_200600_302600_NS17counting_iteratorIfNS8_11use_defaultESA_SA_EEPlZNS1_13binary_searchIS3_S5_PfSB_SC_NS1_21lower_bound_search_opENS8_6detail16wrapped_functionI11custom_lessbEEEE10hipError_tPvRmT1_T2_T3_mmT4_T5_P12ihipStream_tbEUlRKfE_EESK_SO_SP_mSQ_ST_bEUlT_E_NS1_11comp_targetILNS1_3genE10ELNS1_11target_archE1200ELNS1_3gpuE4ELNS1_3repE0EEENS1_30default_config_static_selectorELNS0_4arch9wavefront6targetE0EEEvSN_, .Lfunc_end20-_ZN7rocprim17ROCPRIM_400000_NS6detail17trampoline_kernelINS0_14default_configENS1_27lower_bound_config_selectorIflEEZNS1_14transform_implILb0ES3_S5_N6thrust23THRUST_200600_302600_NS17counting_iteratorIfNS8_11use_defaultESA_SA_EEPlZNS1_13binary_searchIS3_S5_PfSB_SC_NS1_21lower_bound_search_opENS8_6detail16wrapped_functionI11custom_lessbEEEE10hipError_tPvRmT1_T2_T3_mmT4_T5_P12ihipStream_tbEUlRKfE_EESK_SO_SP_mSQ_ST_bEUlT_E_NS1_11comp_targetILNS1_3genE10ELNS1_11target_archE1200ELNS1_3gpuE4ELNS1_3repE0EEENS1_30default_config_static_selectorELNS0_4arch9wavefront6targetE0EEEvSN_
                                        ; -- End function
	.section	.AMDGPU.csdata,"",@progbits
; Kernel info:
; codeLenInByte = 0
; NumSgprs: 0
; NumVgprs: 0
; ScratchSize: 0
; MemoryBound: 0
; FloatMode: 240
; IeeeMode: 1
; LDSByteSize: 0 bytes/workgroup (compile time only)
; SGPRBlocks: 0
; VGPRBlocks: 0
; NumSGPRsForWavesPerEU: 1
; NumVGPRsForWavesPerEU: 1
; Occupancy: 16
; WaveLimiterHint : 0
; COMPUTE_PGM_RSRC2:SCRATCH_EN: 0
; COMPUTE_PGM_RSRC2:USER_SGPR: 15
; COMPUTE_PGM_RSRC2:TRAP_HANDLER: 0
; COMPUTE_PGM_RSRC2:TGID_X_EN: 1
; COMPUTE_PGM_RSRC2:TGID_Y_EN: 0
; COMPUTE_PGM_RSRC2:TGID_Z_EN: 0
; COMPUTE_PGM_RSRC2:TIDIG_COMP_CNT: 0
	.section	.text._ZN7rocprim17ROCPRIM_400000_NS6detail17trampoline_kernelINS0_14default_configENS1_27lower_bound_config_selectorIflEEZNS1_14transform_implILb0ES3_S5_N6thrust23THRUST_200600_302600_NS17counting_iteratorIfNS8_11use_defaultESA_SA_EEPlZNS1_13binary_searchIS3_S5_PfSB_SC_NS1_21lower_bound_search_opENS8_6detail16wrapped_functionI11custom_lessbEEEE10hipError_tPvRmT1_T2_T3_mmT4_T5_P12ihipStream_tbEUlRKfE_EESK_SO_SP_mSQ_ST_bEUlT_E_NS1_11comp_targetILNS1_3genE9ELNS1_11target_archE1100ELNS1_3gpuE3ELNS1_3repE0EEENS1_30default_config_static_selectorELNS0_4arch9wavefront6targetE0EEEvSN_,"axG",@progbits,_ZN7rocprim17ROCPRIM_400000_NS6detail17trampoline_kernelINS0_14default_configENS1_27lower_bound_config_selectorIflEEZNS1_14transform_implILb0ES3_S5_N6thrust23THRUST_200600_302600_NS17counting_iteratorIfNS8_11use_defaultESA_SA_EEPlZNS1_13binary_searchIS3_S5_PfSB_SC_NS1_21lower_bound_search_opENS8_6detail16wrapped_functionI11custom_lessbEEEE10hipError_tPvRmT1_T2_T3_mmT4_T5_P12ihipStream_tbEUlRKfE_EESK_SO_SP_mSQ_ST_bEUlT_E_NS1_11comp_targetILNS1_3genE9ELNS1_11target_archE1100ELNS1_3gpuE3ELNS1_3repE0EEENS1_30default_config_static_selectorELNS0_4arch9wavefront6targetE0EEEvSN_,comdat
	.protected	_ZN7rocprim17ROCPRIM_400000_NS6detail17trampoline_kernelINS0_14default_configENS1_27lower_bound_config_selectorIflEEZNS1_14transform_implILb0ES3_S5_N6thrust23THRUST_200600_302600_NS17counting_iteratorIfNS8_11use_defaultESA_SA_EEPlZNS1_13binary_searchIS3_S5_PfSB_SC_NS1_21lower_bound_search_opENS8_6detail16wrapped_functionI11custom_lessbEEEE10hipError_tPvRmT1_T2_T3_mmT4_T5_P12ihipStream_tbEUlRKfE_EESK_SO_SP_mSQ_ST_bEUlT_E_NS1_11comp_targetILNS1_3genE9ELNS1_11target_archE1100ELNS1_3gpuE3ELNS1_3repE0EEENS1_30default_config_static_selectorELNS0_4arch9wavefront6targetE0EEEvSN_ ; -- Begin function _ZN7rocprim17ROCPRIM_400000_NS6detail17trampoline_kernelINS0_14default_configENS1_27lower_bound_config_selectorIflEEZNS1_14transform_implILb0ES3_S5_N6thrust23THRUST_200600_302600_NS17counting_iteratorIfNS8_11use_defaultESA_SA_EEPlZNS1_13binary_searchIS3_S5_PfSB_SC_NS1_21lower_bound_search_opENS8_6detail16wrapped_functionI11custom_lessbEEEE10hipError_tPvRmT1_T2_T3_mmT4_T5_P12ihipStream_tbEUlRKfE_EESK_SO_SP_mSQ_ST_bEUlT_E_NS1_11comp_targetILNS1_3genE9ELNS1_11target_archE1100ELNS1_3gpuE3ELNS1_3repE0EEENS1_30default_config_static_selectorELNS0_4arch9wavefront6targetE0EEEvSN_
	.globl	_ZN7rocprim17ROCPRIM_400000_NS6detail17trampoline_kernelINS0_14default_configENS1_27lower_bound_config_selectorIflEEZNS1_14transform_implILb0ES3_S5_N6thrust23THRUST_200600_302600_NS17counting_iteratorIfNS8_11use_defaultESA_SA_EEPlZNS1_13binary_searchIS3_S5_PfSB_SC_NS1_21lower_bound_search_opENS8_6detail16wrapped_functionI11custom_lessbEEEE10hipError_tPvRmT1_T2_T3_mmT4_T5_P12ihipStream_tbEUlRKfE_EESK_SO_SP_mSQ_ST_bEUlT_E_NS1_11comp_targetILNS1_3genE9ELNS1_11target_archE1100ELNS1_3gpuE3ELNS1_3repE0EEENS1_30default_config_static_selectorELNS0_4arch9wavefront6targetE0EEEvSN_
	.p2align	8
	.type	_ZN7rocprim17ROCPRIM_400000_NS6detail17trampoline_kernelINS0_14default_configENS1_27lower_bound_config_selectorIflEEZNS1_14transform_implILb0ES3_S5_N6thrust23THRUST_200600_302600_NS17counting_iteratorIfNS8_11use_defaultESA_SA_EEPlZNS1_13binary_searchIS3_S5_PfSB_SC_NS1_21lower_bound_search_opENS8_6detail16wrapped_functionI11custom_lessbEEEE10hipError_tPvRmT1_T2_T3_mmT4_T5_P12ihipStream_tbEUlRKfE_EESK_SO_SP_mSQ_ST_bEUlT_E_NS1_11comp_targetILNS1_3genE9ELNS1_11target_archE1100ELNS1_3gpuE3ELNS1_3repE0EEENS1_30default_config_static_selectorELNS0_4arch9wavefront6targetE0EEEvSN_,@function
_ZN7rocprim17ROCPRIM_400000_NS6detail17trampoline_kernelINS0_14default_configENS1_27lower_bound_config_selectorIflEEZNS1_14transform_implILb0ES3_S5_N6thrust23THRUST_200600_302600_NS17counting_iteratorIfNS8_11use_defaultESA_SA_EEPlZNS1_13binary_searchIS3_S5_PfSB_SC_NS1_21lower_bound_search_opENS8_6detail16wrapped_functionI11custom_lessbEEEE10hipError_tPvRmT1_T2_T3_mmT4_T5_P12ihipStream_tbEUlRKfE_EESK_SO_SP_mSQ_ST_bEUlT_E_NS1_11comp_targetILNS1_3genE9ELNS1_11target_archE1100ELNS1_3gpuE3ELNS1_3repE0EEENS1_30default_config_static_selectorELNS0_4arch9wavefront6targetE0EEEvSN_: ; @_ZN7rocprim17ROCPRIM_400000_NS6detail17trampoline_kernelINS0_14default_configENS1_27lower_bound_config_selectorIflEEZNS1_14transform_implILb0ES3_S5_N6thrust23THRUST_200600_302600_NS17counting_iteratorIfNS8_11use_defaultESA_SA_EEPlZNS1_13binary_searchIS3_S5_PfSB_SC_NS1_21lower_bound_search_opENS8_6detail16wrapped_functionI11custom_lessbEEEE10hipError_tPvRmT1_T2_T3_mmT4_T5_P12ihipStream_tbEUlRKfE_EESK_SO_SP_mSQ_ST_bEUlT_E_NS1_11comp_targetILNS1_3genE9ELNS1_11target_archE1100ELNS1_3gpuE3ELNS1_3repE0EEENS1_30default_config_static_selectorELNS0_4arch9wavefront6targetE0EEEvSN_
; %bb.0:
	s_clause 0x2
	s_load_b64 s[2:3], s[0:1], 0x8
	s_load_b32 s12, s[0:1], 0x0
	s_load_b32 s14, s[0:1], 0x38
	s_waitcnt lgkmcnt(0)
	s_xor_b32 s4, s2, s3
	s_cls_i32 s5, s3
	s_ashr_i32 s4, s4, 31
	s_add_i32 s5, s5, -1
	s_add_i32 s4, s4, 32
	s_add_i32 s14, s14, -1
	s_min_u32 s13, s5, s4
	s_clause 0x1
	s_load_b128 s[4:7], s[0:1], 0x18
	s_load_b64 s[10:11], s[0:1], 0x28
	s_lshl_b64 s[8:9], s[2:3], s13
	s_delay_alu instid0(SALU_CYCLE_1) | instskip(NEXT) | instid1(SALU_CYCLE_1)
	s_min_u32 s8, s8, 1
	s_or_b32 s8, s9, s8
	s_mov_b32 s9, 0
	v_cvt_f32_i32_e32 v1, s8
	s_sub_i32 s8, 32, s13
	s_mov_b32 s13, -1
	s_delay_alu instid0(VALU_DEP_1) | instskip(SKIP_2) | instid1(VALU_DEP_1)
	v_ldexp_f32 v1, v1, s8
	s_lshl_b32 s8, s15, 8
	s_cmp_lg_u32 s15, s14
	v_add_f32_e32 v5, s12, v1
	s_cbranch_scc0 .LBB21_6
; %bb.1:
	v_mov_b32_e32 v1, 0
	v_mov_b32_e32 v2, 0
	s_waitcnt lgkmcnt(0)
	s_cmp_eq_u64 s[10:11], 0
	s_cbranch_scc1 .LBB21_5
; %bb.2:
	v_cvt_f32_u32_e32 v1, s8
	v_cvt_f32_ubyte0_e32 v3, v0
	s_mov_b32 s12, 0
	s_delay_alu instid0(VALU_DEP_2) | instskip(SKIP_1) | instid1(VALU_DEP_2)
	v_dual_add_f32 v4, v5, v1 :: v_dual_mov_b32 v1, 0
	v_mov_b32_e32 v2, 0
	v_dual_add_f32 v6, v4, v3 :: v_dual_mov_b32 v3, s10
	v_mov_b32_e32 v4, s11
	.p2align	6
.LBB21_3:                               ; =>This Inner Loop Header: Depth=1
	s_delay_alu instid0(VALU_DEP_2) | instskip(NEXT) | instid1(VALU_DEP_2)
	v_sub_co_u32 v7, vcc_lo, v3, v1
	v_sub_co_ci_u32_e32 v8, vcc_lo, v4, v2, vcc_lo
	s_delay_alu instid0(VALU_DEP_1) | instskip(SKIP_1) | instid1(VALU_DEP_2)
	v_lshrrev_b64 v[9:10], 1, v[7:8]
	v_lshrrev_b64 v[7:8], 6, v[7:8]
	v_add_co_u32 v9, vcc_lo, v9, v1
	s_delay_alu instid0(VALU_DEP_3) | instskip(NEXT) | instid1(VALU_DEP_2)
	v_add_co_ci_u32_e32 v10, vcc_lo, v10, v2, vcc_lo
	v_add_co_u32 v7, vcc_lo, v9, v7
	s_delay_alu instid0(VALU_DEP_2) | instskip(NEXT) | instid1(VALU_DEP_1)
	v_add_co_ci_u32_e32 v8, vcc_lo, v10, v8, vcc_lo
	v_lshlrev_b64 v[9:10], 2, v[7:8]
	s_delay_alu instid0(VALU_DEP_1) | instskip(NEXT) | instid1(VALU_DEP_2)
	v_add_co_u32 v9, vcc_lo, s6, v9
	v_add_co_ci_u32_e32 v10, vcc_lo, s7, v10, vcc_lo
	global_load_b32 v9, v[9:10], off
	v_add_co_u32 v10, vcc_lo, v7, 1
	v_add_co_ci_u32_e32 v11, vcc_lo, 0, v8, vcc_lo
	s_waitcnt vmcnt(0)
	v_cmp_lt_f32_e32 vcc_lo, v9, v6
	v_dual_cndmask_b32 v4, v8, v4 :: v_dual_cndmask_b32 v3, v7, v3
	s_delay_alu instid0(VALU_DEP_3) | instskip(NEXT) | instid1(VALU_DEP_1)
	v_dual_cndmask_b32 v2, v2, v11 :: v_dual_cndmask_b32 v1, v1, v10
	v_cmp_ge_u64_e32 vcc_lo, v[1:2], v[3:4]
	s_or_b32 s12, vcc_lo, s12
	s_delay_alu instid0(SALU_CYCLE_1)
	s_and_not1_b32 exec_lo, exec_lo, s12
	s_cbranch_execnz .LBB21_3
; %bb.4:
	s_or_b32 exec_lo, exec_lo, s12
.LBB21_5:
	s_mov_b32 s12, -1
	s_cbranch_execz .LBB21_7
	s_branch .LBB21_13
.LBB21_6:
	s_mov_b32 s12, s9
                                        ; implicit-def: $vgpr1_vgpr2
	s_and_not1_b32 vcc_lo, exec_lo, s13
	s_cbranch_vccnz .LBB21_13
.LBB21_7:
	s_load_b32 s0, s[0:1], 0x10
                                        ; implicit-def: $vgpr1_vgpr2
	s_waitcnt lgkmcnt(0)
	s_sub_i32 s0, s0, s8
	s_delay_alu instid0(SALU_CYCLE_1) | instskip(NEXT) | instid1(VALU_DEP_1)
	v_cmp_gt_u32_e64 s12, s0, v0
	s_and_saveexec_b32 s0, s12
	s_cbranch_execz .LBB21_12
; %bb.8:
	v_mov_b32_e32 v1, 0
	v_mov_b32_e32 v2, 0
	s_cmp_eq_u64 s[10:11], 0
	s_cbranch_scc1 .LBB21_12
; %bb.9:
	v_cvt_f32_u32_e32 v1, s8
	v_cvt_f32_ubyte0_e32 v3, v0
	s_mov_b32 s1, 0
	s_delay_alu instid0(VALU_DEP_2) | instskip(NEXT) | instid1(VALU_DEP_1)
	v_dual_add_f32 v4, v5, v1 :: v_dual_mov_b32 v1, 0
	v_dual_mov_b32 v2, 0 :: v_dual_add_f32 v5, v4, v3
	v_dual_mov_b32 v3, s10 :: v_dual_mov_b32 v4, s11
	.p2align	6
.LBB21_10:                              ; =>This Inner Loop Header: Depth=1
	s_delay_alu instid0(VALU_DEP_1) | instskip(NEXT) | instid1(VALU_DEP_2)
	v_sub_co_u32 v6, vcc_lo, v3, v1
	v_sub_co_ci_u32_e32 v7, vcc_lo, v4, v2, vcc_lo
	s_delay_alu instid0(VALU_DEP_1) | instskip(SKIP_1) | instid1(VALU_DEP_2)
	v_lshrrev_b64 v[8:9], 1, v[6:7]
	v_lshrrev_b64 v[6:7], 6, v[6:7]
	v_add_co_u32 v8, vcc_lo, v8, v1
	s_delay_alu instid0(VALU_DEP_3) | instskip(NEXT) | instid1(VALU_DEP_2)
	v_add_co_ci_u32_e32 v9, vcc_lo, v9, v2, vcc_lo
	v_add_co_u32 v6, vcc_lo, v8, v6
	s_delay_alu instid0(VALU_DEP_2) | instskip(NEXT) | instid1(VALU_DEP_1)
	v_add_co_ci_u32_e32 v7, vcc_lo, v9, v7, vcc_lo
	v_lshlrev_b64 v[8:9], 2, v[6:7]
	s_delay_alu instid0(VALU_DEP_1) | instskip(NEXT) | instid1(VALU_DEP_2)
	v_add_co_u32 v8, vcc_lo, s6, v8
	v_add_co_ci_u32_e32 v9, vcc_lo, s7, v9, vcc_lo
	global_load_b32 v8, v[8:9], off
	v_add_co_u32 v9, vcc_lo, v6, 1
	v_add_co_ci_u32_e32 v10, vcc_lo, 0, v7, vcc_lo
	s_waitcnt vmcnt(0)
	v_cmp_lt_f32_e32 vcc_lo, v8, v5
	v_dual_cndmask_b32 v4, v7, v4 :: v_dual_cndmask_b32 v3, v6, v3
	s_delay_alu instid0(VALU_DEP_3) | instskip(NEXT) | instid1(VALU_DEP_1)
	v_dual_cndmask_b32 v2, v2, v10 :: v_dual_cndmask_b32 v1, v1, v9
	v_cmp_ge_u64_e32 vcc_lo, v[1:2], v[3:4]
	s_or_b32 s1, vcc_lo, s1
	s_delay_alu instid0(SALU_CYCLE_1)
	s_and_not1_b32 exec_lo, exec_lo, s1
	s_cbranch_execnz .LBB21_10
; %bb.11:
	s_or_b32 exec_lo, exec_lo, s1
.LBB21_12:
	s_delay_alu instid0(SALU_CYCLE_1)
	s_or_b32 exec_lo, exec_lo, s0
.LBB21_13:
	s_and_saveexec_b32 s0, s12
	s_cbranch_execnz .LBB21_15
; %bb.14:
	s_endpgm
.LBB21_15:
	s_lshl_b64 s[0:1], s[2:3], 3
	v_lshlrev_b32_e32 v0, 3, v0
	s_waitcnt lgkmcnt(0)
	s_add_u32 s2, s4, s0
	s_addc_u32 s3, s5, s1
	s_lshl_b64 s[0:1], s[8:9], 3
	s_delay_alu instid0(SALU_CYCLE_1)
	s_add_u32 s0, s2, s0
	s_addc_u32 s1, s3, s1
	global_store_b64 v0, v[1:2], s[0:1]
	s_nop 0
	s_sendmsg sendmsg(MSG_DEALLOC_VGPRS)
	s_endpgm
	.section	.rodata,"a",@progbits
	.p2align	6, 0x0
	.amdhsa_kernel _ZN7rocprim17ROCPRIM_400000_NS6detail17trampoline_kernelINS0_14default_configENS1_27lower_bound_config_selectorIflEEZNS1_14transform_implILb0ES3_S5_N6thrust23THRUST_200600_302600_NS17counting_iteratorIfNS8_11use_defaultESA_SA_EEPlZNS1_13binary_searchIS3_S5_PfSB_SC_NS1_21lower_bound_search_opENS8_6detail16wrapped_functionI11custom_lessbEEEE10hipError_tPvRmT1_T2_T3_mmT4_T5_P12ihipStream_tbEUlRKfE_EESK_SO_SP_mSQ_ST_bEUlT_E_NS1_11comp_targetILNS1_3genE9ELNS1_11target_archE1100ELNS1_3gpuE3ELNS1_3repE0EEENS1_30default_config_static_selectorELNS0_4arch9wavefront6targetE0EEEvSN_
		.amdhsa_group_segment_fixed_size 0
		.amdhsa_private_segment_fixed_size 0
		.amdhsa_kernarg_size 312
		.amdhsa_user_sgpr_count 15
		.amdhsa_user_sgpr_dispatch_ptr 0
		.amdhsa_user_sgpr_queue_ptr 0
		.amdhsa_user_sgpr_kernarg_segment_ptr 1
		.amdhsa_user_sgpr_dispatch_id 0
		.amdhsa_user_sgpr_private_segment_size 0
		.amdhsa_wavefront_size32 1
		.amdhsa_uses_dynamic_stack 0
		.amdhsa_enable_private_segment 0
		.amdhsa_system_sgpr_workgroup_id_x 1
		.amdhsa_system_sgpr_workgroup_id_y 0
		.amdhsa_system_sgpr_workgroup_id_z 0
		.amdhsa_system_sgpr_workgroup_info 0
		.amdhsa_system_vgpr_workitem_id 0
		.amdhsa_next_free_vgpr 12
		.amdhsa_next_free_sgpr 16
		.amdhsa_reserve_vcc 1
		.amdhsa_float_round_mode_32 0
		.amdhsa_float_round_mode_16_64 0
		.amdhsa_float_denorm_mode_32 3
		.amdhsa_float_denorm_mode_16_64 3
		.amdhsa_dx10_clamp 1
		.amdhsa_ieee_mode 1
		.amdhsa_fp16_overflow 0
		.amdhsa_workgroup_processor_mode 1
		.amdhsa_memory_ordered 1
		.amdhsa_forward_progress 0
		.amdhsa_shared_vgpr_count 0
		.amdhsa_exception_fp_ieee_invalid_op 0
		.amdhsa_exception_fp_denorm_src 0
		.amdhsa_exception_fp_ieee_div_zero 0
		.amdhsa_exception_fp_ieee_overflow 0
		.amdhsa_exception_fp_ieee_underflow 0
		.amdhsa_exception_fp_ieee_inexact 0
		.amdhsa_exception_int_div_zero 0
	.end_amdhsa_kernel
	.section	.text._ZN7rocprim17ROCPRIM_400000_NS6detail17trampoline_kernelINS0_14default_configENS1_27lower_bound_config_selectorIflEEZNS1_14transform_implILb0ES3_S5_N6thrust23THRUST_200600_302600_NS17counting_iteratorIfNS8_11use_defaultESA_SA_EEPlZNS1_13binary_searchIS3_S5_PfSB_SC_NS1_21lower_bound_search_opENS8_6detail16wrapped_functionI11custom_lessbEEEE10hipError_tPvRmT1_T2_T3_mmT4_T5_P12ihipStream_tbEUlRKfE_EESK_SO_SP_mSQ_ST_bEUlT_E_NS1_11comp_targetILNS1_3genE9ELNS1_11target_archE1100ELNS1_3gpuE3ELNS1_3repE0EEENS1_30default_config_static_selectorELNS0_4arch9wavefront6targetE0EEEvSN_,"axG",@progbits,_ZN7rocprim17ROCPRIM_400000_NS6detail17trampoline_kernelINS0_14default_configENS1_27lower_bound_config_selectorIflEEZNS1_14transform_implILb0ES3_S5_N6thrust23THRUST_200600_302600_NS17counting_iteratorIfNS8_11use_defaultESA_SA_EEPlZNS1_13binary_searchIS3_S5_PfSB_SC_NS1_21lower_bound_search_opENS8_6detail16wrapped_functionI11custom_lessbEEEE10hipError_tPvRmT1_T2_T3_mmT4_T5_P12ihipStream_tbEUlRKfE_EESK_SO_SP_mSQ_ST_bEUlT_E_NS1_11comp_targetILNS1_3genE9ELNS1_11target_archE1100ELNS1_3gpuE3ELNS1_3repE0EEENS1_30default_config_static_selectorELNS0_4arch9wavefront6targetE0EEEvSN_,comdat
.Lfunc_end21:
	.size	_ZN7rocprim17ROCPRIM_400000_NS6detail17trampoline_kernelINS0_14default_configENS1_27lower_bound_config_selectorIflEEZNS1_14transform_implILb0ES3_S5_N6thrust23THRUST_200600_302600_NS17counting_iteratorIfNS8_11use_defaultESA_SA_EEPlZNS1_13binary_searchIS3_S5_PfSB_SC_NS1_21lower_bound_search_opENS8_6detail16wrapped_functionI11custom_lessbEEEE10hipError_tPvRmT1_T2_T3_mmT4_T5_P12ihipStream_tbEUlRKfE_EESK_SO_SP_mSQ_ST_bEUlT_E_NS1_11comp_targetILNS1_3genE9ELNS1_11target_archE1100ELNS1_3gpuE3ELNS1_3repE0EEENS1_30default_config_static_selectorELNS0_4arch9wavefront6targetE0EEEvSN_, .Lfunc_end21-_ZN7rocprim17ROCPRIM_400000_NS6detail17trampoline_kernelINS0_14default_configENS1_27lower_bound_config_selectorIflEEZNS1_14transform_implILb0ES3_S5_N6thrust23THRUST_200600_302600_NS17counting_iteratorIfNS8_11use_defaultESA_SA_EEPlZNS1_13binary_searchIS3_S5_PfSB_SC_NS1_21lower_bound_search_opENS8_6detail16wrapped_functionI11custom_lessbEEEE10hipError_tPvRmT1_T2_T3_mmT4_T5_P12ihipStream_tbEUlRKfE_EESK_SO_SP_mSQ_ST_bEUlT_E_NS1_11comp_targetILNS1_3genE9ELNS1_11target_archE1100ELNS1_3gpuE3ELNS1_3repE0EEENS1_30default_config_static_selectorELNS0_4arch9wavefront6targetE0EEEvSN_
                                        ; -- End function
	.section	.AMDGPU.csdata,"",@progbits
; Kernel info:
; codeLenInByte = 720
; NumSgprs: 18
; NumVgprs: 12
; ScratchSize: 0
; MemoryBound: 0
; FloatMode: 240
; IeeeMode: 1
; LDSByteSize: 0 bytes/workgroup (compile time only)
; SGPRBlocks: 2
; VGPRBlocks: 1
; NumSGPRsForWavesPerEU: 18
; NumVGPRsForWavesPerEU: 12
; Occupancy: 16
; WaveLimiterHint : 0
; COMPUTE_PGM_RSRC2:SCRATCH_EN: 0
; COMPUTE_PGM_RSRC2:USER_SGPR: 15
; COMPUTE_PGM_RSRC2:TRAP_HANDLER: 0
; COMPUTE_PGM_RSRC2:TGID_X_EN: 1
; COMPUTE_PGM_RSRC2:TGID_Y_EN: 0
; COMPUTE_PGM_RSRC2:TGID_Z_EN: 0
; COMPUTE_PGM_RSRC2:TIDIG_COMP_CNT: 0
	.section	.text._ZN7rocprim17ROCPRIM_400000_NS6detail17trampoline_kernelINS0_14default_configENS1_27lower_bound_config_selectorIflEEZNS1_14transform_implILb0ES3_S5_N6thrust23THRUST_200600_302600_NS17counting_iteratorIfNS8_11use_defaultESA_SA_EEPlZNS1_13binary_searchIS3_S5_PfSB_SC_NS1_21lower_bound_search_opENS8_6detail16wrapped_functionI11custom_lessbEEEE10hipError_tPvRmT1_T2_T3_mmT4_T5_P12ihipStream_tbEUlRKfE_EESK_SO_SP_mSQ_ST_bEUlT_E_NS1_11comp_targetILNS1_3genE8ELNS1_11target_archE1030ELNS1_3gpuE2ELNS1_3repE0EEENS1_30default_config_static_selectorELNS0_4arch9wavefront6targetE0EEEvSN_,"axG",@progbits,_ZN7rocprim17ROCPRIM_400000_NS6detail17trampoline_kernelINS0_14default_configENS1_27lower_bound_config_selectorIflEEZNS1_14transform_implILb0ES3_S5_N6thrust23THRUST_200600_302600_NS17counting_iteratorIfNS8_11use_defaultESA_SA_EEPlZNS1_13binary_searchIS3_S5_PfSB_SC_NS1_21lower_bound_search_opENS8_6detail16wrapped_functionI11custom_lessbEEEE10hipError_tPvRmT1_T2_T3_mmT4_T5_P12ihipStream_tbEUlRKfE_EESK_SO_SP_mSQ_ST_bEUlT_E_NS1_11comp_targetILNS1_3genE8ELNS1_11target_archE1030ELNS1_3gpuE2ELNS1_3repE0EEENS1_30default_config_static_selectorELNS0_4arch9wavefront6targetE0EEEvSN_,comdat
	.protected	_ZN7rocprim17ROCPRIM_400000_NS6detail17trampoline_kernelINS0_14default_configENS1_27lower_bound_config_selectorIflEEZNS1_14transform_implILb0ES3_S5_N6thrust23THRUST_200600_302600_NS17counting_iteratorIfNS8_11use_defaultESA_SA_EEPlZNS1_13binary_searchIS3_S5_PfSB_SC_NS1_21lower_bound_search_opENS8_6detail16wrapped_functionI11custom_lessbEEEE10hipError_tPvRmT1_T2_T3_mmT4_T5_P12ihipStream_tbEUlRKfE_EESK_SO_SP_mSQ_ST_bEUlT_E_NS1_11comp_targetILNS1_3genE8ELNS1_11target_archE1030ELNS1_3gpuE2ELNS1_3repE0EEENS1_30default_config_static_selectorELNS0_4arch9wavefront6targetE0EEEvSN_ ; -- Begin function _ZN7rocprim17ROCPRIM_400000_NS6detail17trampoline_kernelINS0_14default_configENS1_27lower_bound_config_selectorIflEEZNS1_14transform_implILb0ES3_S5_N6thrust23THRUST_200600_302600_NS17counting_iteratorIfNS8_11use_defaultESA_SA_EEPlZNS1_13binary_searchIS3_S5_PfSB_SC_NS1_21lower_bound_search_opENS8_6detail16wrapped_functionI11custom_lessbEEEE10hipError_tPvRmT1_T2_T3_mmT4_T5_P12ihipStream_tbEUlRKfE_EESK_SO_SP_mSQ_ST_bEUlT_E_NS1_11comp_targetILNS1_3genE8ELNS1_11target_archE1030ELNS1_3gpuE2ELNS1_3repE0EEENS1_30default_config_static_selectorELNS0_4arch9wavefront6targetE0EEEvSN_
	.globl	_ZN7rocprim17ROCPRIM_400000_NS6detail17trampoline_kernelINS0_14default_configENS1_27lower_bound_config_selectorIflEEZNS1_14transform_implILb0ES3_S5_N6thrust23THRUST_200600_302600_NS17counting_iteratorIfNS8_11use_defaultESA_SA_EEPlZNS1_13binary_searchIS3_S5_PfSB_SC_NS1_21lower_bound_search_opENS8_6detail16wrapped_functionI11custom_lessbEEEE10hipError_tPvRmT1_T2_T3_mmT4_T5_P12ihipStream_tbEUlRKfE_EESK_SO_SP_mSQ_ST_bEUlT_E_NS1_11comp_targetILNS1_3genE8ELNS1_11target_archE1030ELNS1_3gpuE2ELNS1_3repE0EEENS1_30default_config_static_selectorELNS0_4arch9wavefront6targetE0EEEvSN_
	.p2align	8
	.type	_ZN7rocprim17ROCPRIM_400000_NS6detail17trampoline_kernelINS0_14default_configENS1_27lower_bound_config_selectorIflEEZNS1_14transform_implILb0ES3_S5_N6thrust23THRUST_200600_302600_NS17counting_iteratorIfNS8_11use_defaultESA_SA_EEPlZNS1_13binary_searchIS3_S5_PfSB_SC_NS1_21lower_bound_search_opENS8_6detail16wrapped_functionI11custom_lessbEEEE10hipError_tPvRmT1_T2_T3_mmT4_T5_P12ihipStream_tbEUlRKfE_EESK_SO_SP_mSQ_ST_bEUlT_E_NS1_11comp_targetILNS1_3genE8ELNS1_11target_archE1030ELNS1_3gpuE2ELNS1_3repE0EEENS1_30default_config_static_selectorELNS0_4arch9wavefront6targetE0EEEvSN_,@function
_ZN7rocprim17ROCPRIM_400000_NS6detail17trampoline_kernelINS0_14default_configENS1_27lower_bound_config_selectorIflEEZNS1_14transform_implILb0ES3_S5_N6thrust23THRUST_200600_302600_NS17counting_iteratorIfNS8_11use_defaultESA_SA_EEPlZNS1_13binary_searchIS3_S5_PfSB_SC_NS1_21lower_bound_search_opENS8_6detail16wrapped_functionI11custom_lessbEEEE10hipError_tPvRmT1_T2_T3_mmT4_T5_P12ihipStream_tbEUlRKfE_EESK_SO_SP_mSQ_ST_bEUlT_E_NS1_11comp_targetILNS1_3genE8ELNS1_11target_archE1030ELNS1_3gpuE2ELNS1_3repE0EEENS1_30default_config_static_selectorELNS0_4arch9wavefront6targetE0EEEvSN_: ; @_ZN7rocprim17ROCPRIM_400000_NS6detail17trampoline_kernelINS0_14default_configENS1_27lower_bound_config_selectorIflEEZNS1_14transform_implILb0ES3_S5_N6thrust23THRUST_200600_302600_NS17counting_iteratorIfNS8_11use_defaultESA_SA_EEPlZNS1_13binary_searchIS3_S5_PfSB_SC_NS1_21lower_bound_search_opENS8_6detail16wrapped_functionI11custom_lessbEEEE10hipError_tPvRmT1_T2_T3_mmT4_T5_P12ihipStream_tbEUlRKfE_EESK_SO_SP_mSQ_ST_bEUlT_E_NS1_11comp_targetILNS1_3genE8ELNS1_11target_archE1030ELNS1_3gpuE2ELNS1_3repE0EEENS1_30default_config_static_selectorELNS0_4arch9wavefront6targetE0EEEvSN_
; %bb.0:
	.section	.rodata,"a",@progbits
	.p2align	6, 0x0
	.amdhsa_kernel _ZN7rocprim17ROCPRIM_400000_NS6detail17trampoline_kernelINS0_14default_configENS1_27lower_bound_config_selectorIflEEZNS1_14transform_implILb0ES3_S5_N6thrust23THRUST_200600_302600_NS17counting_iteratorIfNS8_11use_defaultESA_SA_EEPlZNS1_13binary_searchIS3_S5_PfSB_SC_NS1_21lower_bound_search_opENS8_6detail16wrapped_functionI11custom_lessbEEEE10hipError_tPvRmT1_T2_T3_mmT4_T5_P12ihipStream_tbEUlRKfE_EESK_SO_SP_mSQ_ST_bEUlT_E_NS1_11comp_targetILNS1_3genE8ELNS1_11target_archE1030ELNS1_3gpuE2ELNS1_3repE0EEENS1_30default_config_static_selectorELNS0_4arch9wavefront6targetE0EEEvSN_
		.amdhsa_group_segment_fixed_size 0
		.amdhsa_private_segment_fixed_size 0
		.amdhsa_kernarg_size 56
		.amdhsa_user_sgpr_count 15
		.amdhsa_user_sgpr_dispatch_ptr 0
		.amdhsa_user_sgpr_queue_ptr 0
		.amdhsa_user_sgpr_kernarg_segment_ptr 1
		.amdhsa_user_sgpr_dispatch_id 0
		.amdhsa_user_sgpr_private_segment_size 0
		.amdhsa_wavefront_size32 1
		.amdhsa_uses_dynamic_stack 0
		.amdhsa_enable_private_segment 0
		.amdhsa_system_sgpr_workgroup_id_x 1
		.amdhsa_system_sgpr_workgroup_id_y 0
		.amdhsa_system_sgpr_workgroup_id_z 0
		.amdhsa_system_sgpr_workgroup_info 0
		.amdhsa_system_vgpr_workitem_id 0
		.amdhsa_next_free_vgpr 1
		.amdhsa_next_free_sgpr 1
		.amdhsa_reserve_vcc 0
		.amdhsa_float_round_mode_32 0
		.amdhsa_float_round_mode_16_64 0
		.amdhsa_float_denorm_mode_32 3
		.amdhsa_float_denorm_mode_16_64 3
		.amdhsa_dx10_clamp 1
		.amdhsa_ieee_mode 1
		.amdhsa_fp16_overflow 0
		.amdhsa_workgroup_processor_mode 1
		.amdhsa_memory_ordered 1
		.amdhsa_forward_progress 0
		.amdhsa_shared_vgpr_count 0
		.amdhsa_exception_fp_ieee_invalid_op 0
		.amdhsa_exception_fp_denorm_src 0
		.amdhsa_exception_fp_ieee_div_zero 0
		.amdhsa_exception_fp_ieee_overflow 0
		.amdhsa_exception_fp_ieee_underflow 0
		.amdhsa_exception_fp_ieee_inexact 0
		.amdhsa_exception_int_div_zero 0
	.end_amdhsa_kernel
	.section	.text._ZN7rocprim17ROCPRIM_400000_NS6detail17trampoline_kernelINS0_14default_configENS1_27lower_bound_config_selectorIflEEZNS1_14transform_implILb0ES3_S5_N6thrust23THRUST_200600_302600_NS17counting_iteratorIfNS8_11use_defaultESA_SA_EEPlZNS1_13binary_searchIS3_S5_PfSB_SC_NS1_21lower_bound_search_opENS8_6detail16wrapped_functionI11custom_lessbEEEE10hipError_tPvRmT1_T2_T3_mmT4_T5_P12ihipStream_tbEUlRKfE_EESK_SO_SP_mSQ_ST_bEUlT_E_NS1_11comp_targetILNS1_3genE8ELNS1_11target_archE1030ELNS1_3gpuE2ELNS1_3repE0EEENS1_30default_config_static_selectorELNS0_4arch9wavefront6targetE0EEEvSN_,"axG",@progbits,_ZN7rocprim17ROCPRIM_400000_NS6detail17trampoline_kernelINS0_14default_configENS1_27lower_bound_config_selectorIflEEZNS1_14transform_implILb0ES3_S5_N6thrust23THRUST_200600_302600_NS17counting_iteratorIfNS8_11use_defaultESA_SA_EEPlZNS1_13binary_searchIS3_S5_PfSB_SC_NS1_21lower_bound_search_opENS8_6detail16wrapped_functionI11custom_lessbEEEE10hipError_tPvRmT1_T2_T3_mmT4_T5_P12ihipStream_tbEUlRKfE_EESK_SO_SP_mSQ_ST_bEUlT_E_NS1_11comp_targetILNS1_3genE8ELNS1_11target_archE1030ELNS1_3gpuE2ELNS1_3repE0EEENS1_30default_config_static_selectorELNS0_4arch9wavefront6targetE0EEEvSN_,comdat
.Lfunc_end22:
	.size	_ZN7rocprim17ROCPRIM_400000_NS6detail17trampoline_kernelINS0_14default_configENS1_27lower_bound_config_selectorIflEEZNS1_14transform_implILb0ES3_S5_N6thrust23THRUST_200600_302600_NS17counting_iteratorIfNS8_11use_defaultESA_SA_EEPlZNS1_13binary_searchIS3_S5_PfSB_SC_NS1_21lower_bound_search_opENS8_6detail16wrapped_functionI11custom_lessbEEEE10hipError_tPvRmT1_T2_T3_mmT4_T5_P12ihipStream_tbEUlRKfE_EESK_SO_SP_mSQ_ST_bEUlT_E_NS1_11comp_targetILNS1_3genE8ELNS1_11target_archE1030ELNS1_3gpuE2ELNS1_3repE0EEENS1_30default_config_static_selectorELNS0_4arch9wavefront6targetE0EEEvSN_, .Lfunc_end22-_ZN7rocprim17ROCPRIM_400000_NS6detail17trampoline_kernelINS0_14default_configENS1_27lower_bound_config_selectorIflEEZNS1_14transform_implILb0ES3_S5_N6thrust23THRUST_200600_302600_NS17counting_iteratorIfNS8_11use_defaultESA_SA_EEPlZNS1_13binary_searchIS3_S5_PfSB_SC_NS1_21lower_bound_search_opENS8_6detail16wrapped_functionI11custom_lessbEEEE10hipError_tPvRmT1_T2_T3_mmT4_T5_P12ihipStream_tbEUlRKfE_EESK_SO_SP_mSQ_ST_bEUlT_E_NS1_11comp_targetILNS1_3genE8ELNS1_11target_archE1030ELNS1_3gpuE2ELNS1_3repE0EEENS1_30default_config_static_selectorELNS0_4arch9wavefront6targetE0EEEvSN_
                                        ; -- End function
	.section	.AMDGPU.csdata,"",@progbits
; Kernel info:
; codeLenInByte = 0
; NumSgprs: 0
; NumVgprs: 0
; ScratchSize: 0
; MemoryBound: 0
; FloatMode: 240
; IeeeMode: 1
; LDSByteSize: 0 bytes/workgroup (compile time only)
; SGPRBlocks: 0
; VGPRBlocks: 0
; NumSGPRsForWavesPerEU: 1
; NumVGPRsForWavesPerEU: 1
; Occupancy: 16
; WaveLimiterHint : 0
; COMPUTE_PGM_RSRC2:SCRATCH_EN: 0
; COMPUTE_PGM_RSRC2:USER_SGPR: 15
; COMPUTE_PGM_RSRC2:TRAP_HANDLER: 0
; COMPUTE_PGM_RSRC2:TGID_X_EN: 1
; COMPUTE_PGM_RSRC2:TGID_Y_EN: 0
; COMPUTE_PGM_RSRC2:TGID_Z_EN: 0
; COMPUTE_PGM_RSRC2:TIDIG_COMP_CNT: 0
	.section	.text._ZN6thrust23THRUST_200600_302600_NS11hip_rocprim14__parallel_for6kernelILj256ENS1_20__uninitialized_fill7functorINS0_10device_ptrIyEEyEEmLj1EEEvT0_T1_SA_,"axG",@progbits,_ZN6thrust23THRUST_200600_302600_NS11hip_rocprim14__parallel_for6kernelILj256ENS1_20__uninitialized_fill7functorINS0_10device_ptrIyEEyEEmLj1EEEvT0_T1_SA_,comdat
	.protected	_ZN6thrust23THRUST_200600_302600_NS11hip_rocprim14__parallel_for6kernelILj256ENS1_20__uninitialized_fill7functorINS0_10device_ptrIyEEyEEmLj1EEEvT0_T1_SA_ ; -- Begin function _ZN6thrust23THRUST_200600_302600_NS11hip_rocprim14__parallel_for6kernelILj256ENS1_20__uninitialized_fill7functorINS0_10device_ptrIyEEyEEmLj1EEEvT0_T1_SA_
	.globl	_ZN6thrust23THRUST_200600_302600_NS11hip_rocprim14__parallel_for6kernelILj256ENS1_20__uninitialized_fill7functorINS0_10device_ptrIyEEyEEmLj1EEEvT0_T1_SA_
	.p2align	8
	.type	_ZN6thrust23THRUST_200600_302600_NS11hip_rocprim14__parallel_for6kernelILj256ENS1_20__uninitialized_fill7functorINS0_10device_ptrIyEEyEEmLj1EEEvT0_T1_SA_,@function
_ZN6thrust23THRUST_200600_302600_NS11hip_rocprim14__parallel_for6kernelILj256ENS1_20__uninitialized_fill7functorINS0_10device_ptrIyEEyEEmLj1EEEvT0_T1_SA_: ; @_ZN6thrust23THRUST_200600_302600_NS11hip_rocprim14__parallel_for6kernelILj256ENS1_20__uninitialized_fill7functorINS0_10device_ptrIyEEyEEmLj1EEEvT0_T1_SA_
; %bb.0:
	s_load_b256 s[0:7], s[0:1], 0x0
	s_lshl_b32 s8, s15, 8
	s_waitcnt lgkmcnt(0)
	s_add_u32 s6, s8, s6
	s_addc_u32 s7, 0, s7
	s_sub_u32 s4, s4, s6
	s_subb_u32 s5, s5, s7
	s_delay_alu instid0(SALU_CYCLE_1) | instskip(NEXT) | instid1(VALU_DEP_1)
	v_cmp_gt_u64_e64 s5, 0x100, s[4:5]
	s_and_b32 vcc_lo, exec_lo, s5
	s_mov_b32 s5, 0
	s_cbranch_vccz .LBB23_2
; %bb.1:
	v_cmp_gt_u32_e32 vcc_lo, s4, v0
	s_and_b32 s5, vcc_lo, exec_lo
	s_cbranch_execz .LBB23_3
	s_branch .LBB23_4
.LBB23_2:
.LBB23_3:
	s_or_b32 s5, s5, exec_lo
.LBB23_4:
	s_delay_alu instid0(SALU_CYCLE_1)
	s_and_saveexec_b32 s4, s5
	s_cbranch_execnz .LBB23_6
; %bb.5:
	s_endpgm
.LBB23_6:
	v_dual_mov_b32 v1, 0 :: v_dual_mov_b32 v2, s2
	s_lshl_b64 s[4:5], s[6:7], 3
	v_mov_b32_e32 v3, s3
	s_add_u32 s0, s0, s4
	s_delay_alu instid0(VALU_DEP_2) | instskip(SKIP_1) | instid1(VALU_DEP_1)
	v_lshlrev_b64 v[0:1], 3, v[0:1]
	s_addc_u32 s1, s1, s5
	v_add_co_u32 v0, vcc_lo, s0, v0
	s_delay_alu instid0(VALU_DEP_2)
	v_add_co_ci_u32_e32 v1, vcc_lo, s1, v1, vcc_lo
	flat_store_b64 v[0:1], v[2:3]
	s_endpgm
	.section	.rodata,"a",@progbits
	.p2align	6, 0x0
	.amdhsa_kernel _ZN6thrust23THRUST_200600_302600_NS11hip_rocprim14__parallel_for6kernelILj256ENS1_20__uninitialized_fill7functorINS0_10device_ptrIyEEyEEmLj1EEEvT0_T1_SA_
		.amdhsa_group_segment_fixed_size 0
		.amdhsa_private_segment_fixed_size 0
		.amdhsa_kernarg_size 32
		.amdhsa_user_sgpr_count 15
		.amdhsa_user_sgpr_dispatch_ptr 0
		.amdhsa_user_sgpr_queue_ptr 0
		.amdhsa_user_sgpr_kernarg_segment_ptr 1
		.amdhsa_user_sgpr_dispatch_id 0
		.amdhsa_user_sgpr_private_segment_size 0
		.amdhsa_wavefront_size32 1
		.amdhsa_uses_dynamic_stack 0
		.amdhsa_enable_private_segment 0
		.amdhsa_system_sgpr_workgroup_id_x 1
		.amdhsa_system_sgpr_workgroup_id_y 0
		.amdhsa_system_sgpr_workgroup_id_z 0
		.amdhsa_system_sgpr_workgroup_info 0
		.amdhsa_system_vgpr_workitem_id 0
		.amdhsa_next_free_vgpr 4
		.amdhsa_next_free_sgpr 16
		.amdhsa_reserve_vcc 1
		.amdhsa_float_round_mode_32 0
		.amdhsa_float_round_mode_16_64 0
		.amdhsa_float_denorm_mode_32 3
		.amdhsa_float_denorm_mode_16_64 3
		.amdhsa_dx10_clamp 1
		.amdhsa_ieee_mode 1
		.amdhsa_fp16_overflow 0
		.amdhsa_workgroup_processor_mode 1
		.amdhsa_memory_ordered 1
		.amdhsa_forward_progress 0
		.amdhsa_shared_vgpr_count 0
		.amdhsa_exception_fp_ieee_invalid_op 0
		.amdhsa_exception_fp_denorm_src 0
		.amdhsa_exception_fp_ieee_div_zero 0
		.amdhsa_exception_fp_ieee_overflow 0
		.amdhsa_exception_fp_ieee_underflow 0
		.amdhsa_exception_fp_ieee_inexact 0
		.amdhsa_exception_int_div_zero 0
	.end_amdhsa_kernel
	.section	.text._ZN6thrust23THRUST_200600_302600_NS11hip_rocprim14__parallel_for6kernelILj256ENS1_20__uninitialized_fill7functorINS0_10device_ptrIyEEyEEmLj1EEEvT0_T1_SA_,"axG",@progbits,_ZN6thrust23THRUST_200600_302600_NS11hip_rocprim14__parallel_for6kernelILj256ENS1_20__uninitialized_fill7functorINS0_10device_ptrIyEEyEEmLj1EEEvT0_T1_SA_,comdat
.Lfunc_end23:
	.size	_ZN6thrust23THRUST_200600_302600_NS11hip_rocprim14__parallel_for6kernelILj256ENS1_20__uninitialized_fill7functorINS0_10device_ptrIyEEyEEmLj1EEEvT0_T1_SA_, .Lfunc_end23-_ZN6thrust23THRUST_200600_302600_NS11hip_rocprim14__parallel_for6kernelILj256ENS1_20__uninitialized_fill7functorINS0_10device_ptrIyEEyEEmLj1EEEvT0_T1_SA_
                                        ; -- End function
	.section	.AMDGPU.csdata,"",@progbits
; Kernel info:
; codeLenInByte = 160
; NumSgprs: 18
; NumVgprs: 4
; ScratchSize: 0
; MemoryBound: 0
; FloatMode: 240
; IeeeMode: 1
; LDSByteSize: 0 bytes/workgroup (compile time only)
; SGPRBlocks: 2
; VGPRBlocks: 0
; NumSGPRsForWavesPerEU: 18
; NumVGPRsForWavesPerEU: 4
; Occupancy: 16
; WaveLimiterHint : 0
; COMPUTE_PGM_RSRC2:SCRATCH_EN: 0
; COMPUTE_PGM_RSRC2:USER_SGPR: 15
; COMPUTE_PGM_RSRC2:TRAP_HANDLER: 0
; COMPUTE_PGM_RSRC2:TGID_X_EN: 1
; COMPUTE_PGM_RSRC2:TGID_Y_EN: 0
; COMPUTE_PGM_RSRC2:TGID_Z_EN: 0
; COMPUTE_PGM_RSRC2:TIDIG_COMP_CNT: 0
	.section	.text._Z18lower_bound_kernelIyEvmPT_Pl,"axG",@progbits,_Z18lower_bound_kernelIyEvmPT_Pl,comdat
	.protected	_Z18lower_bound_kernelIyEvmPT_Pl ; -- Begin function _Z18lower_bound_kernelIyEvmPT_Pl
	.globl	_Z18lower_bound_kernelIyEvmPT_Pl
	.p2align	8
	.type	_Z18lower_bound_kernelIyEvmPT_Pl,@function
_Z18lower_bound_kernelIyEvmPT_Pl:       ; @_Z18lower_bound_kernelIyEvmPT_Pl
; %bb.0:
	s_clause 0x1
	s_load_b128 s[4:7], s[0:1], 0x0
	s_load_b64 s[2:3], s[0:1], 0x10
	v_mov_b32_e32 v0, 0
	s_mov_b64 s[8:9], 0
	s_delay_alu instid0(VALU_DEP_1) | instskip(SKIP_4) | instid1(SALU_CYCLE_1)
	v_mov_b32_e32 v1, v0
	s_waitcnt lgkmcnt(0)
	v_cmp_lt_i64_e64 s0, s[4:5], 1
	global_store_b64 v0, v[0:1], s[2:3]
	s_and_b32 s0, exec_lo, s0
	s_mov_b32 vcc_lo, s0
	s_cbranch_vccnz .LBB24_3
; %bb.1:
	s_mov_b64 s[10:11], s[4:5]
	.p2align	6
.LBB24_2:                               ; =>This Inner Loop Header: Depth=1
	s_delay_alu instid0(SALU_CYCLE_1) | instskip(SKIP_1) | instid1(SALU_CYCLE_1)
	s_sub_u32 s1, s10, s8
	s_subb_u32 s13, s11, s9
	s_lshr_b32 s12, s13, 31
	s_delay_alu instid0(SALU_CYCLE_1) | instskip(SKIP_1) | instid1(SALU_CYCLE_1)
	s_add_u32 s12, s1, s12
	s_addc_u32 s13, s13, 0
	s_ashr_i64 s[12:13], s[12:13], 1
	s_delay_alu instid0(SALU_CYCLE_1) | instskip(SKIP_1) | instid1(SALU_CYCLE_1)
	s_add_u32 s12, s12, s8
	s_addc_u32 s13, s13, s9
	s_lshl_b64 s[14:15], s[12:13], 3
	s_delay_alu instid0(SALU_CYCLE_1)
	s_add_u32 s14, s6, s14
	s_addc_u32 s15, s7, s15
	s_add_u32 s1, s12, 1
	s_load_b64 s[14:15], s[14:15], 0x0
	s_addc_u32 s16, s13, 0
	s_waitcnt lgkmcnt(0)
	s_cmp_eq_u64 s[14:15], 0
	s_cselect_b32 s9, s16, s9
	s_cselect_b32 s8, s1, s8
	;; [unrolled: 1-line block ×4, first 2 shown]
	s_delay_alu instid0(SALU_CYCLE_1) | instskip(NEXT) | instid1(VALU_DEP_1)
	v_cmp_lt_i64_e64 s1, s[8:9], s[10:11]
	s_and_b32 vcc_lo, exec_lo, s1
	s_cbranch_vccnz .LBB24_2
.LBB24_3:
	v_cmp_gt_i64_e64 s10, s[4:5], 0
	v_mov_b32_e32 v2, 0
	s_delay_alu instid0(VALU_DEP_2) | instskip(SKIP_1) | instid1(VALU_DEP_1)
	v_cndmask_b32_e64 v0, 0, 1, s10
	s_and_not1_b32 vcc_lo, exec_lo, s10
	v_cmp_ne_u32_e64 s1, 1, v0
	v_dual_mov_b32 v0, s8 :: v_dual_mov_b32 v1, s9
	s_mov_b64 s[8:9], 0
	global_store_b64 v2, v[0:1], s[2:3] offset:8
	s_cbranch_vccnz .LBB24_6
; %bb.4:
	s_mov_b64 s[10:11], s[4:5]
	.p2align	6
.LBB24_5:                               ; =>This Inner Loop Header: Depth=1
	s_delay_alu instid0(SALU_CYCLE_1) | instskip(SKIP_1) | instid1(SALU_CYCLE_1)
	s_sub_u32 s12, s10, s8
	s_subb_u32 s13, s11, s9
	s_lshr_b32 s14, s13, 31
	s_delay_alu instid0(SALU_CYCLE_1) | instskip(SKIP_1) | instid1(SALU_CYCLE_1)
	s_add_u32 s12, s12, s14
	s_addc_u32 s13, s13, 0
	s_ashr_i64 s[12:13], s[12:13], 1
	s_delay_alu instid0(SALU_CYCLE_1) | instskip(SKIP_1) | instid1(SALU_CYCLE_1)
	s_add_u32 s12, s12, s8
	s_addc_u32 s13, s13, s9
	s_lshl_b64 s[14:15], s[12:13], 3
	s_delay_alu instid0(SALU_CYCLE_1)
	s_add_u32 s14, s6, s14
	s_addc_u32 s15, s7, s15
	s_load_b64 s[14:15], s[14:15], 0x0
	s_waitcnt lgkmcnt(0)
	v_cmp_lt_u64_e64 s14, s[14:15], 2
	s_add_u32 s15, s12, 1
	s_addc_u32 s16, s13, 0
	s_delay_alu instid0(VALU_DEP_1) | instskip(SKIP_4) | instid1(SALU_CYCLE_1)
	s_and_b32 s14, s14, exec_lo
	s_cselect_b32 s9, s16, s9
	s_cselect_b32 s8, s15, s8
	;; [unrolled: 1-line block ×4, first 2 shown]
	v_cmp_lt_i64_e64 s12, s[8:9], s[10:11]
	s_delay_alu instid0(VALU_DEP_1)
	s_and_b32 vcc_lo, exec_lo, s12
	s_cbranch_vccnz .LBB24_5
.LBB24_6:
	v_mov_b32_e32 v0, s8
	v_dual_mov_b32 v2, 0 :: v_dual_mov_b32 v1, s9
	s_and_b32 vcc_lo, exec_lo, s1
	s_mov_b64 s[8:9], 0
	global_store_b64 v2, v[0:1], s[2:3] offset:16
	s_cbranch_vccnz .LBB24_9
; %bb.7:
	s_mov_b64 s[10:11], s[4:5]
	.p2align	6
.LBB24_8:                               ; =>This Inner Loop Header: Depth=1
	s_delay_alu instid0(SALU_CYCLE_1) | instskip(SKIP_1) | instid1(SALU_CYCLE_1)
	s_sub_u32 s12, s10, s8
	s_subb_u32 s13, s11, s9
	s_lshr_b32 s14, s13, 31
	s_delay_alu instid0(SALU_CYCLE_1) | instskip(SKIP_1) | instid1(SALU_CYCLE_1)
	s_add_u32 s12, s12, s14
	s_addc_u32 s13, s13, 0
	s_ashr_i64 s[12:13], s[12:13], 1
	s_delay_alu instid0(SALU_CYCLE_1) | instskip(SKIP_1) | instid1(SALU_CYCLE_1)
	s_add_u32 s12, s12, s8
	s_addc_u32 s13, s13, s9
	s_lshl_b64 s[14:15], s[12:13], 3
	s_delay_alu instid0(SALU_CYCLE_1)
	s_add_u32 s14, s6, s14
	s_addc_u32 s15, s7, s15
	s_load_b64 s[14:15], s[14:15], 0x0
	s_waitcnt lgkmcnt(0)
	v_cmp_lt_u64_e64 s14, s[14:15], 3
	s_add_u32 s15, s12, 1
	s_addc_u32 s16, s13, 0
	s_delay_alu instid0(VALU_DEP_1) | instskip(SKIP_4) | instid1(SALU_CYCLE_1)
	s_and_b32 s14, s14, exec_lo
	s_cselect_b32 s9, s16, s9
	s_cselect_b32 s8, s15, s8
	;; [unrolled: 1-line block ×4, first 2 shown]
	v_cmp_lt_i64_e64 s12, s[8:9], s[10:11]
	s_delay_alu instid0(VALU_DEP_1)
	s_and_b32 vcc_lo, exec_lo, s12
	s_cbranch_vccnz .LBB24_8
.LBB24_9:
	v_mov_b32_e32 v0, s8
	v_dual_mov_b32 v2, 0 :: v_dual_mov_b32 v1, s9
	s_and_b32 vcc_lo, exec_lo, s1
	s_mov_b64 s[8:9], 0
	global_store_b64 v2, v[0:1], s[2:3] offset:24
	s_cbranch_vccnz .LBB24_12
; %bb.10:
	s_mov_b64 s[10:11], s[4:5]
	.p2align	6
.LBB24_11:                              ; =>This Inner Loop Header: Depth=1
	s_delay_alu instid0(SALU_CYCLE_1) | instskip(SKIP_1) | instid1(SALU_CYCLE_1)
	s_sub_u32 s12, s10, s8
	s_subb_u32 s13, s11, s9
	s_lshr_b32 s14, s13, 31
	s_delay_alu instid0(SALU_CYCLE_1) | instskip(SKIP_1) | instid1(SALU_CYCLE_1)
	s_add_u32 s12, s12, s14
	s_addc_u32 s13, s13, 0
	s_ashr_i64 s[12:13], s[12:13], 1
	s_delay_alu instid0(SALU_CYCLE_1) | instskip(SKIP_1) | instid1(SALU_CYCLE_1)
	s_add_u32 s12, s12, s8
	s_addc_u32 s13, s13, s9
	s_lshl_b64 s[14:15], s[12:13], 3
	s_delay_alu instid0(SALU_CYCLE_1)
	s_add_u32 s14, s6, s14
	s_addc_u32 s15, s7, s15
	s_load_b64 s[14:15], s[14:15], 0x0
	s_waitcnt lgkmcnt(0)
	v_cmp_lt_u64_e64 s14, s[14:15], 4
	s_add_u32 s15, s12, 1
	s_addc_u32 s16, s13, 0
	s_delay_alu instid0(VALU_DEP_1) | instskip(SKIP_4) | instid1(SALU_CYCLE_1)
	s_and_b32 s14, s14, exec_lo
	s_cselect_b32 s9, s16, s9
	s_cselect_b32 s8, s15, s8
	;; [unrolled: 1-line block ×4, first 2 shown]
	v_cmp_lt_i64_e64 s12, s[8:9], s[10:11]
	s_delay_alu instid0(VALU_DEP_1)
	s_and_b32 vcc_lo, exec_lo, s12
	s_cbranch_vccnz .LBB24_11
.LBB24_12:
	v_mov_b32_e32 v0, s8
	v_dual_mov_b32 v2, 0 :: v_dual_mov_b32 v1, s9
	s_and_b32 vcc_lo, exec_lo, s1
	s_mov_b64 s[8:9], 0
	global_store_b64 v2, v[0:1], s[2:3] offset:32
	s_cbranch_vccnz .LBB24_15
; %bb.13:
	s_mov_b64 s[10:11], s[4:5]
	.p2align	6
.LBB24_14:                              ; =>This Inner Loop Header: Depth=1
	s_delay_alu instid0(SALU_CYCLE_1) | instskip(SKIP_1) | instid1(SALU_CYCLE_1)
	s_sub_u32 s12, s10, s8
	s_subb_u32 s13, s11, s9
	s_lshr_b32 s14, s13, 31
	s_delay_alu instid0(SALU_CYCLE_1) | instskip(SKIP_1) | instid1(SALU_CYCLE_1)
	s_add_u32 s12, s12, s14
	s_addc_u32 s13, s13, 0
	s_ashr_i64 s[12:13], s[12:13], 1
	s_delay_alu instid0(SALU_CYCLE_1) | instskip(SKIP_1) | instid1(SALU_CYCLE_1)
	s_add_u32 s12, s12, s8
	s_addc_u32 s13, s13, s9
	s_lshl_b64 s[14:15], s[12:13], 3
	s_delay_alu instid0(SALU_CYCLE_1)
	s_add_u32 s14, s6, s14
	s_addc_u32 s15, s7, s15
	s_load_b64 s[14:15], s[14:15], 0x0
	s_waitcnt lgkmcnt(0)
	v_cmp_lt_u64_e64 s14, s[14:15], 5
	s_add_u32 s15, s12, 1
	s_addc_u32 s16, s13, 0
	s_delay_alu instid0(VALU_DEP_1) | instskip(SKIP_4) | instid1(SALU_CYCLE_1)
	s_and_b32 s14, s14, exec_lo
	s_cselect_b32 s9, s16, s9
	s_cselect_b32 s8, s15, s8
	;; [unrolled: 1-line block ×4, first 2 shown]
	v_cmp_lt_i64_e64 s12, s[8:9], s[10:11]
	s_delay_alu instid0(VALU_DEP_1)
	s_and_b32 vcc_lo, exec_lo, s12
	s_cbranch_vccnz .LBB24_14
.LBB24_15:
	v_mov_b32_e32 v0, s8
	v_dual_mov_b32 v2, 0 :: v_dual_mov_b32 v1, s9
	s_and_b32 vcc_lo, exec_lo, s1
	s_mov_b64 s[8:9], 0
	global_store_b64 v2, v[0:1], s[2:3] offset:40
	s_cbranch_vccnz .LBB24_18
; %bb.16:
	s_mov_b64 s[10:11], s[4:5]
	.p2align	6
.LBB24_17:                              ; =>This Inner Loop Header: Depth=1
	s_delay_alu instid0(SALU_CYCLE_1) | instskip(SKIP_1) | instid1(SALU_CYCLE_1)
	s_sub_u32 s12, s10, s8
	s_subb_u32 s13, s11, s9
	s_lshr_b32 s14, s13, 31
	s_delay_alu instid0(SALU_CYCLE_1) | instskip(SKIP_1) | instid1(SALU_CYCLE_1)
	s_add_u32 s12, s12, s14
	s_addc_u32 s13, s13, 0
	s_ashr_i64 s[12:13], s[12:13], 1
	s_delay_alu instid0(SALU_CYCLE_1) | instskip(SKIP_1) | instid1(SALU_CYCLE_1)
	s_add_u32 s12, s12, s8
	s_addc_u32 s13, s13, s9
	s_lshl_b64 s[14:15], s[12:13], 3
	s_delay_alu instid0(SALU_CYCLE_1)
	s_add_u32 s14, s6, s14
	s_addc_u32 s15, s7, s15
	s_load_b64 s[14:15], s[14:15], 0x0
	s_waitcnt lgkmcnt(0)
	v_cmp_lt_u64_e64 s14, s[14:15], 6
	s_add_u32 s15, s12, 1
	s_addc_u32 s16, s13, 0
	s_delay_alu instid0(VALU_DEP_1) | instskip(SKIP_4) | instid1(SALU_CYCLE_1)
	s_and_b32 s14, s14, exec_lo
	s_cselect_b32 s9, s16, s9
	s_cselect_b32 s8, s15, s8
	;; [unrolled: 1-line block ×4, first 2 shown]
	v_cmp_lt_i64_e64 s12, s[8:9], s[10:11]
	s_delay_alu instid0(VALU_DEP_1)
	s_and_b32 vcc_lo, exec_lo, s12
	s_cbranch_vccnz .LBB24_17
.LBB24_18:
	v_mov_b32_e32 v0, s8
	v_dual_mov_b32 v2, 0 :: v_dual_mov_b32 v1, s9
	s_and_b32 vcc_lo, exec_lo, s1
	s_mov_b64 s[8:9], 0
	global_store_b64 v2, v[0:1], s[2:3] offset:48
	s_cbranch_vccnz .LBB24_21
; %bb.19:
	s_mov_b64 s[10:11], s[4:5]
	.p2align	6
.LBB24_20:                              ; =>This Inner Loop Header: Depth=1
	s_delay_alu instid0(SALU_CYCLE_1) | instskip(SKIP_1) | instid1(SALU_CYCLE_1)
	s_sub_u32 s1, s10, s8
	s_subb_u32 s13, s11, s9
	s_lshr_b32 s12, s13, 31
	s_delay_alu instid0(SALU_CYCLE_1) | instskip(SKIP_1) | instid1(SALU_CYCLE_1)
	s_add_u32 s12, s1, s12
	s_addc_u32 s13, s13, 0
	s_ashr_i64 s[12:13], s[12:13], 1
	s_delay_alu instid0(SALU_CYCLE_1) | instskip(SKIP_1) | instid1(SALU_CYCLE_1)
	s_add_u32 s12, s12, s8
	s_addc_u32 s13, s13, s9
	s_lshl_b64 s[14:15], s[12:13], 3
	s_delay_alu instid0(SALU_CYCLE_1)
	s_add_u32 s14, s6, s14
	s_addc_u32 s15, s7, s15
	s_load_b64 s[14:15], s[14:15], 0x0
	s_waitcnt lgkmcnt(0)
	v_cmp_lt_u64_e64 s1, s[14:15], 7
	s_add_u32 s14, s12, 1
	s_addc_u32 s15, s13, 0
	s_delay_alu instid0(VALU_DEP_1) | instskip(SKIP_4) | instid1(SALU_CYCLE_1)
	s_and_b32 s1, s1, exec_lo
	s_cselect_b32 s9, s15, s9
	s_cselect_b32 s8, s14, s8
	;; [unrolled: 1-line block ×4, first 2 shown]
	v_cmp_lt_i64_e64 s1, s[8:9], s[10:11]
	s_delay_alu instid0(VALU_DEP_1)
	s_and_b32 vcc_lo, exec_lo, s1
	s_cbranch_vccnz .LBB24_20
.LBB24_21:
	v_dual_mov_b32 v0, 0 :: v_dual_mov_b32 v1, s8
	v_mov_b32_e32 v2, s9
	s_mov_b32 vcc_lo, s0
	global_store_b64 v0, v[1:2], s[2:3] offset:56
	s_cbranch_vccz .LBB24_23
; %bb.22:
	v_mov_b32_e32 v1, v0
	s_mov_b64 s[0:1], 0
	global_store_b64 v0, v[0:1], s[2:3] offset:64
	s_cbranch_execz .LBB24_24
	s_branch .LBB24_28
.LBB24_23:
                                        ; implicit-def: $sgpr0_sgpr1
.LBB24_24:
	s_mov_b64 s[0:1], 0
	s_mov_b64 s[8:9], s[4:5]
	.p2align	6
.LBB24_25:                              ; =>This Inner Loop Header: Depth=1
	s_delay_alu instid0(SALU_CYCLE_1) | instskip(SKIP_1) | instid1(SALU_CYCLE_1)
	s_sub_u32 s10, s8, s0
	s_subb_u32 s11, s9, s1
	s_lshr_b32 s12, s11, 31
	s_delay_alu instid0(SALU_CYCLE_1) | instskip(SKIP_1) | instid1(SALU_CYCLE_1)
	s_add_u32 s10, s10, s12
	s_addc_u32 s11, s11, 0
	s_ashr_i64 s[10:11], s[10:11], 1
	s_delay_alu instid0(SALU_CYCLE_1) | instskip(SKIP_1) | instid1(SALU_CYCLE_1)
	s_add_u32 s10, s10, s0
	s_addc_u32 s11, s11, s1
	s_lshl_b64 s[12:13], s[10:11], 3
	s_delay_alu instid0(SALU_CYCLE_1)
	s_add_u32 s12, s6, s12
	s_addc_u32 s13, s7, s13
	s_load_b64 s[12:13], s[12:13], 0x0
	s_waitcnt lgkmcnt(0)
	v_cmp_lt_u64_e64 s12, s[12:13], 8
	s_add_u32 s13, s10, 1
	s_addc_u32 s14, s11, 0
	s_delay_alu instid0(VALU_DEP_1) | instskip(SKIP_4) | instid1(SALU_CYCLE_1)
	s_and_b32 s12, s12, exec_lo
	s_cselect_b32 s1, s14, s1
	s_cselect_b32 s0, s13, s0
	;; [unrolled: 1-line block ×4, first 2 shown]
	v_cmp_lt_i64_e64 s10, s[0:1], s[8:9]
	s_delay_alu instid0(VALU_DEP_1)
	s_and_b32 vcc_lo, exec_lo, s10
	s_cbranch_vccnz .LBB24_25
; %bb.26:
	v_mov_b32_e32 v0, s0
	v_dual_mov_b32 v2, 0 :: v_dual_mov_b32 v1, s1
	s_mov_b64 s[0:1], 0
	global_store_b64 v2, v[0:1], s[2:3] offset:64
	.p2align	6
.LBB24_27:                              ; =>This Inner Loop Header: Depth=1
	s_sub_u32 s8, s4, s0
	s_subb_u32 s9, s5, s1
	s_delay_alu instid0(SALU_CYCLE_1) | instskip(NEXT) | instid1(SALU_CYCLE_1)
	s_lshr_b32 s10, s9, 31
	s_add_u32 s8, s8, s10
	s_addc_u32 s9, s9, 0
	s_delay_alu instid0(SALU_CYCLE_1) | instskip(NEXT) | instid1(SALU_CYCLE_1)
	s_ashr_i64 s[8:9], s[8:9], 1
	s_add_u32 s8, s8, s0
	s_addc_u32 s9, s9, s1
	s_delay_alu instid0(SALU_CYCLE_1) | instskip(NEXT) | instid1(SALU_CYCLE_1)
	s_lshl_b64 s[10:11], s[8:9], 3
	s_add_u32 s10, s6, s10
	s_addc_u32 s11, s7, s11
	s_load_b64 s[10:11], s[10:11], 0x0
	s_waitcnt lgkmcnt(0)
	v_cmp_lt_u64_e64 s10, s[10:11], 9
	s_add_u32 s11, s8, 1
	s_addc_u32 s12, s9, 0
	s_delay_alu instid0(VALU_DEP_1) | instskip(SKIP_4) | instid1(SALU_CYCLE_1)
	s_and_b32 s10, s10, exec_lo
	s_cselect_b32 s1, s12, s1
	s_cselect_b32 s0, s11, s0
	;; [unrolled: 1-line block ×4, first 2 shown]
	v_cmp_ge_i64_e64 s8, s[0:1], s[4:5]
	s_delay_alu instid0(VALU_DEP_1)
	s_and_b32 vcc_lo, exec_lo, s8
	s_cbranch_vccz .LBB24_27
.LBB24_28:
	v_mov_b32_e32 v0, s0
	v_dual_mov_b32 v2, 0 :: v_dual_mov_b32 v1, s1
	global_store_b64 v2, v[0:1], s[2:3] offset:72
	s_nop 0
	s_sendmsg sendmsg(MSG_DEALLOC_VGPRS)
	s_endpgm
	.section	.rodata,"a",@progbits
	.p2align	6, 0x0
	.amdhsa_kernel _Z18lower_bound_kernelIyEvmPT_Pl
		.amdhsa_group_segment_fixed_size 0
		.amdhsa_private_segment_fixed_size 0
		.amdhsa_kernarg_size 24
		.amdhsa_user_sgpr_count 15
		.amdhsa_user_sgpr_dispatch_ptr 0
		.amdhsa_user_sgpr_queue_ptr 0
		.amdhsa_user_sgpr_kernarg_segment_ptr 1
		.amdhsa_user_sgpr_dispatch_id 0
		.amdhsa_user_sgpr_private_segment_size 0
		.amdhsa_wavefront_size32 1
		.amdhsa_uses_dynamic_stack 0
		.amdhsa_enable_private_segment 0
		.amdhsa_system_sgpr_workgroup_id_x 1
		.amdhsa_system_sgpr_workgroup_id_y 0
		.amdhsa_system_sgpr_workgroup_id_z 0
		.amdhsa_system_sgpr_workgroup_info 0
		.amdhsa_system_vgpr_workitem_id 0
		.amdhsa_next_free_vgpr 3
		.amdhsa_next_free_sgpr 17
		.amdhsa_reserve_vcc 1
		.amdhsa_float_round_mode_32 0
		.amdhsa_float_round_mode_16_64 0
		.amdhsa_float_denorm_mode_32 3
		.amdhsa_float_denorm_mode_16_64 3
		.amdhsa_dx10_clamp 1
		.amdhsa_ieee_mode 1
		.amdhsa_fp16_overflow 0
		.amdhsa_workgroup_processor_mode 1
		.amdhsa_memory_ordered 1
		.amdhsa_forward_progress 0
		.amdhsa_shared_vgpr_count 0
		.amdhsa_exception_fp_ieee_invalid_op 0
		.amdhsa_exception_fp_denorm_src 0
		.amdhsa_exception_fp_ieee_div_zero 0
		.amdhsa_exception_fp_ieee_overflow 0
		.amdhsa_exception_fp_ieee_underflow 0
		.amdhsa_exception_fp_ieee_inexact 0
		.amdhsa_exception_int_div_zero 0
	.end_amdhsa_kernel
	.section	.text._Z18lower_bound_kernelIyEvmPT_Pl,"axG",@progbits,_Z18lower_bound_kernelIyEvmPT_Pl,comdat
.Lfunc_end24:
	.size	_Z18lower_bound_kernelIyEvmPT_Pl, .Lfunc_end24-_Z18lower_bound_kernelIyEvmPT_Pl
                                        ; -- End function
	.section	.AMDGPU.csdata,"",@progbits
; Kernel info:
; codeLenInByte = 1604
; NumSgprs: 19
; NumVgprs: 3
; ScratchSize: 0
; MemoryBound: 0
; FloatMode: 240
; IeeeMode: 1
; LDSByteSize: 0 bytes/workgroup (compile time only)
; SGPRBlocks: 2
; VGPRBlocks: 0
; NumSGPRsForWavesPerEU: 19
; NumVGPRsForWavesPerEU: 3
; Occupancy: 16
; WaveLimiterHint : 0
; COMPUTE_PGM_RSRC2:SCRATCH_EN: 0
; COMPUTE_PGM_RSRC2:USER_SGPR: 15
; COMPUTE_PGM_RSRC2:TRAP_HANDLER: 0
; COMPUTE_PGM_RSRC2:TGID_X_EN: 1
; COMPUTE_PGM_RSRC2:TGID_Y_EN: 0
; COMPUTE_PGM_RSRC2:TGID_Z_EN: 0
; COMPUTE_PGM_RSRC2:TIDIG_COMP_CNT: 0
	.section	.text._ZN7rocprim17ROCPRIM_400000_NS6detail17trampoline_kernelINS0_14default_configENS1_27lower_bound_config_selectorIylEEZNS1_14transform_implILb0ES3_S5_N6thrust23THRUST_200600_302600_NS17counting_iteratorIyNS8_11use_defaultESA_SA_EEPlZNS1_13binary_searchIS3_S5_PySB_SC_NS1_21lower_bound_search_opENS8_6detail16wrapped_functionI11custom_lessbEEEE10hipError_tPvRmT1_T2_T3_mmT4_T5_P12ihipStream_tbEUlRKyE_EESK_SO_SP_mSQ_ST_bEUlT_E_NS1_11comp_targetILNS1_3genE0ELNS1_11target_archE4294967295ELNS1_3gpuE0ELNS1_3repE0EEENS1_30default_config_static_selectorELNS0_4arch9wavefront6targetE0EEEvSN_,"axG",@progbits,_ZN7rocprim17ROCPRIM_400000_NS6detail17trampoline_kernelINS0_14default_configENS1_27lower_bound_config_selectorIylEEZNS1_14transform_implILb0ES3_S5_N6thrust23THRUST_200600_302600_NS17counting_iteratorIyNS8_11use_defaultESA_SA_EEPlZNS1_13binary_searchIS3_S5_PySB_SC_NS1_21lower_bound_search_opENS8_6detail16wrapped_functionI11custom_lessbEEEE10hipError_tPvRmT1_T2_T3_mmT4_T5_P12ihipStream_tbEUlRKyE_EESK_SO_SP_mSQ_ST_bEUlT_E_NS1_11comp_targetILNS1_3genE0ELNS1_11target_archE4294967295ELNS1_3gpuE0ELNS1_3repE0EEENS1_30default_config_static_selectorELNS0_4arch9wavefront6targetE0EEEvSN_,comdat
	.protected	_ZN7rocprim17ROCPRIM_400000_NS6detail17trampoline_kernelINS0_14default_configENS1_27lower_bound_config_selectorIylEEZNS1_14transform_implILb0ES3_S5_N6thrust23THRUST_200600_302600_NS17counting_iteratorIyNS8_11use_defaultESA_SA_EEPlZNS1_13binary_searchIS3_S5_PySB_SC_NS1_21lower_bound_search_opENS8_6detail16wrapped_functionI11custom_lessbEEEE10hipError_tPvRmT1_T2_T3_mmT4_T5_P12ihipStream_tbEUlRKyE_EESK_SO_SP_mSQ_ST_bEUlT_E_NS1_11comp_targetILNS1_3genE0ELNS1_11target_archE4294967295ELNS1_3gpuE0ELNS1_3repE0EEENS1_30default_config_static_selectorELNS0_4arch9wavefront6targetE0EEEvSN_ ; -- Begin function _ZN7rocprim17ROCPRIM_400000_NS6detail17trampoline_kernelINS0_14default_configENS1_27lower_bound_config_selectorIylEEZNS1_14transform_implILb0ES3_S5_N6thrust23THRUST_200600_302600_NS17counting_iteratorIyNS8_11use_defaultESA_SA_EEPlZNS1_13binary_searchIS3_S5_PySB_SC_NS1_21lower_bound_search_opENS8_6detail16wrapped_functionI11custom_lessbEEEE10hipError_tPvRmT1_T2_T3_mmT4_T5_P12ihipStream_tbEUlRKyE_EESK_SO_SP_mSQ_ST_bEUlT_E_NS1_11comp_targetILNS1_3genE0ELNS1_11target_archE4294967295ELNS1_3gpuE0ELNS1_3repE0EEENS1_30default_config_static_selectorELNS0_4arch9wavefront6targetE0EEEvSN_
	.globl	_ZN7rocprim17ROCPRIM_400000_NS6detail17trampoline_kernelINS0_14default_configENS1_27lower_bound_config_selectorIylEEZNS1_14transform_implILb0ES3_S5_N6thrust23THRUST_200600_302600_NS17counting_iteratorIyNS8_11use_defaultESA_SA_EEPlZNS1_13binary_searchIS3_S5_PySB_SC_NS1_21lower_bound_search_opENS8_6detail16wrapped_functionI11custom_lessbEEEE10hipError_tPvRmT1_T2_T3_mmT4_T5_P12ihipStream_tbEUlRKyE_EESK_SO_SP_mSQ_ST_bEUlT_E_NS1_11comp_targetILNS1_3genE0ELNS1_11target_archE4294967295ELNS1_3gpuE0ELNS1_3repE0EEENS1_30default_config_static_selectorELNS0_4arch9wavefront6targetE0EEEvSN_
	.p2align	8
	.type	_ZN7rocprim17ROCPRIM_400000_NS6detail17trampoline_kernelINS0_14default_configENS1_27lower_bound_config_selectorIylEEZNS1_14transform_implILb0ES3_S5_N6thrust23THRUST_200600_302600_NS17counting_iteratorIyNS8_11use_defaultESA_SA_EEPlZNS1_13binary_searchIS3_S5_PySB_SC_NS1_21lower_bound_search_opENS8_6detail16wrapped_functionI11custom_lessbEEEE10hipError_tPvRmT1_T2_T3_mmT4_T5_P12ihipStream_tbEUlRKyE_EESK_SO_SP_mSQ_ST_bEUlT_E_NS1_11comp_targetILNS1_3genE0ELNS1_11target_archE4294967295ELNS1_3gpuE0ELNS1_3repE0EEENS1_30default_config_static_selectorELNS0_4arch9wavefront6targetE0EEEvSN_,@function
_ZN7rocprim17ROCPRIM_400000_NS6detail17trampoline_kernelINS0_14default_configENS1_27lower_bound_config_selectorIylEEZNS1_14transform_implILb0ES3_S5_N6thrust23THRUST_200600_302600_NS17counting_iteratorIyNS8_11use_defaultESA_SA_EEPlZNS1_13binary_searchIS3_S5_PySB_SC_NS1_21lower_bound_search_opENS8_6detail16wrapped_functionI11custom_lessbEEEE10hipError_tPvRmT1_T2_T3_mmT4_T5_P12ihipStream_tbEUlRKyE_EESK_SO_SP_mSQ_ST_bEUlT_E_NS1_11comp_targetILNS1_3genE0ELNS1_11target_archE4294967295ELNS1_3gpuE0ELNS1_3repE0EEENS1_30default_config_static_selectorELNS0_4arch9wavefront6targetE0EEEvSN_: ; @_ZN7rocprim17ROCPRIM_400000_NS6detail17trampoline_kernelINS0_14default_configENS1_27lower_bound_config_selectorIylEEZNS1_14transform_implILb0ES3_S5_N6thrust23THRUST_200600_302600_NS17counting_iteratorIyNS8_11use_defaultESA_SA_EEPlZNS1_13binary_searchIS3_S5_PySB_SC_NS1_21lower_bound_search_opENS8_6detail16wrapped_functionI11custom_lessbEEEE10hipError_tPvRmT1_T2_T3_mmT4_T5_P12ihipStream_tbEUlRKyE_EESK_SO_SP_mSQ_ST_bEUlT_E_NS1_11comp_targetILNS1_3genE0ELNS1_11target_archE4294967295ELNS1_3gpuE0ELNS1_3repE0EEENS1_30default_config_static_selectorELNS0_4arch9wavefront6targetE0EEEvSN_
; %bb.0:
	.section	.rodata,"a",@progbits
	.p2align	6, 0x0
	.amdhsa_kernel _ZN7rocprim17ROCPRIM_400000_NS6detail17trampoline_kernelINS0_14default_configENS1_27lower_bound_config_selectorIylEEZNS1_14transform_implILb0ES3_S5_N6thrust23THRUST_200600_302600_NS17counting_iteratorIyNS8_11use_defaultESA_SA_EEPlZNS1_13binary_searchIS3_S5_PySB_SC_NS1_21lower_bound_search_opENS8_6detail16wrapped_functionI11custom_lessbEEEE10hipError_tPvRmT1_T2_T3_mmT4_T5_P12ihipStream_tbEUlRKyE_EESK_SO_SP_mSQ_ST_bEUlT_E_NS1_11comp_targetILNS1_3genE0ELNS1_11target_archE4294967295ELNS1_3gpuE0ELNS1_3repE0EEENS1_30default_config_static_selectorELNS0_4arch9wavefront6targetE0EEEvSN_
		.amdhsa_group_segment_fixed_size 0
		.amdhsa_private_segment_fixed_size 0
		.amdhsa_kernarg_size 56
		.amdhsa_user_sgpr_count 15
		.amdhsa_user_sgpr_dispatch_ptr 0
		.amdhsa_user_sgpr_queue_ptr 0
		.amdhsa_user_sgpr_kernarg_segment_ptr 1
		.amdhsa_user_sgpr_dispatch_id 0
		.amdhsa_user_sgpr_private_segment_size 0
		.amdhsa_wavefront_size32 1
		.amdhsa_uses_dynamic_stack 0
		.amdhsa_enable_private_segment 0
		.amdhsa_system_sgpr_workgroup_id_x 1
		.amdhsa_system_sgpr_workgroup_id_y 0
		.amdhsa_system_sgpr_workgroup_id_z 0
		.amdhsa_system_sgpr_workgroup_info 0
		.amdhsa_system_vgpr_workitem_id 0
		.amdhsa_next_free_vgpr 1
		.amdhsa_next_free_sgpr 1
		.amdhsa_reserve_vcc 0
		.amdhsa_float_round_mode_32 0
		.amdhsa_float_round_mode_16_64 0
		.amdhsa_float_denorm_mode_32 3
		.amdhsa_float_denorm_mode_16_64 3
		.amdhsa_dx10_clamp 1
		.amdhsa_ieee_mode 1
		.amdhsa_fp16_overflow 0
		.amdhsa_workgroup_processor_mode 1
		.amdhsa_memory_ordered 1
		.amdhsa_forward_progress 0
		.amdhsa_shared_vgpr_count 0
		.amdhsa_exception_fp_ieee_invalid_op 0
		.amdhsa_exception_fp_denorm_src 0
		.amdhsa_exception_fp_ieee_div_zero 0
		.amdhsa_exception_fp_ieee_overflow 0
		.amdhsa_exception_fp_ieee_underflow 0
		.amdhsa_exception_fp_ieee_inexact 0
		.amdhsa_exception_int_div_zero 0
	.end_amdhsa_kernel
	.section	.text._ZN7rocprim17ROCPRIM_400000_NS6detail17trampoline_kernelINS0_14default_configENS1_27lower_bound_config_selectorIylEEZNS1_14transform_implILb0ES3_S5_N6thrust23THRUST_200600_302600_NS17counting_iteratorIyNS8_11use_defaultESA_SA_EEPlZNS1_13binary_searchIS3_S5_PySB_SC_NS1_21lower_bound_search_opENS8_6detail16wrapped_functionI11custom_lessbEEEE10hipError_tPvRmT1_T2_T3_mmT4_T5_P12ihipStream_tbEUlRKyE_EESK_SO_SP_mSQ_ST_bEUlT_E_NS1_11comp_targetILNS1_3genE0ELNS1_11target_archE4294967295ELNS1_3gpuE0ELNS1_3repE0EEENS1_30default_config_static_selectorELNS0_4arch9wavefront6targetE0EEEvSN_,"axG",@progbits,_ZN7rocprim17ROCPRIM_400000_NS6detail17trampoline_kernelINS0_14default_configENS1_27lower_bound_config_selectorIylEEZNS1_14transform_implILb0ES3_S5_N6thrust23THRUST_200600_302600_NS17counting_iteratorIyNS8_11use_defaultESA_SA_EEPlZNS1_13binary_searchIS3_S5_PySB_SC_NS1_21lower_bound_search_opENS8_6detail16wrapped_functionI11custom_lessbEEEE10hipError_tPvRmT1_T2_T3_mmT4_T5_P12ihipStream_tbEUlRKyE_EESK_SO_SP_mSQ_ST_bEUlT_E_NS1_11comp_targetILNS1_3genE0ELNS1_11target_archE4294967295ELNS1_3gpuE0ELNS1_3repE0EEENS1_30default_config_static_selectorELNS0_4arch9wavefront6targetE0EEEvSN_,comdat
.Lfunc_end25:
	.size	_ZN7rocprim17ROCPRIM_400000_NS6detail17trampoline_kernelINS0_14default_configENS1_27lower_bound_config_selectorIylEEZNS1_14transform_implILb0ES3_S5_N6thrust23THRUST_200600_302600_NS17counting_iteratorIyNS8_11use_defaultESA_SA_EEPlZNS1_13binary_searchIS3_S5_PySB_SC_NS1_21lower_bound_search_opENS8_6detail16wrapped_functionI11custom_lessbEEEE10hipError_tPvRmT1_T2_T3_mmT4_T5_P12ihipStream_tbEUlRKyE_EESK_SO_SP_mSQ_ST_bEUlT_E_NS1_11comp_targetILNS1_3genE0ELNS1_11target_archE4294967295ELNS1_3gpuE0ELNS1_3repE0EEENS1_30default_config_static_selectorELNS0_4arch9wavefront6targetE0EEEvSN_, .Lfunc_end25-_ZN7rocprim17ROCPRIM_400000_NS6detail17trampoline_kernelINS0_14default_configENS1_27lower_bound_config_selectorIylEEZNS1_14transform_implILb0ES3_S5_N6thrust23THRUST_200600_302600_NS17counting_iteratorIyNS8_11use_defaultESA_SA_EEPlZNS1_13binary_searchIS3_S5_PySB_SC_NS1_21lower_bound_search_opENS8_6detail16wrapped_functionI11custom_lessbEEEE10hipError_tPvRmT1_T2_T3_mmT4_T5_P12ihipStream_tbEUlRKyE_EESK_SO_SP_mSQ_ST_bEUlT_E_NS1_11comp_targetILNS1_3genE0ELNS1_11target_archE4294967295ELNS1_3gpuE0ELNS1_3repE0EEENS1_30default_config_static_selectorELNS0_4arch9wavefront6targetE0EEEvSN_
                                        ; -- End function
	.section	.AMDGPU.csdata,"",@progbits
; Kernel info:
; codeLenInByte = 0
; NumSgprs: 0
; NumVgprs: 0
; ScratchSize: 0
; MemoryBound: 0
; FloatMode: 240
; IeeeMode: 1
; LDSByteSize: 0 bytes/workgroup (compile time only)
; SGPRBlocks: 0
; VGPRBlocks: 0
; NumSGPRsForWavesPerEU: 1
; NumVGPRsForWavesPerEU: 1
; Occupancy: 16
; WaveLimiterHint : 0
; COMPUTE_PGM_RSRC2:SCRATCH_EN: 0
; COMPUTE_PGM_RSRC2:USER_SGPR: 15
; COMPUTE_PGM_RSRC2:TRAP_HANDLER: 0
; COMPUTE_PGM_RSRC2:TGID_X_EN: 1
; COMPUTE_PGM_RSRC2:TGID_Y_EN: 0
; COMPUTE_PGM_RSRC2:TGID_Z_EN: 0
; COMPUTE_PGM_RSRC2:TIDIG_COMP_CNT: 0
	.section	.text._ZN7rocprim17ROCPRIM_400000_NS6detail17trampoline_kernelINS0_14default_configENS1_27lower_bound_config_selectorIylEEZNS1_14transform_implILb0ES3_S5_N6thrust23THRUST_200600_302600_NS17counting_iteratorIyNS8_11use_defaultESA_SA_EEPlZNS1_13binary_searchIS3_S5_PySB_SC_NS1_21lower_bound_search_opENS8_6detail16wrapped_functionI11custom_lessbEEEE10hipError_tPvRmT1_T2_T3_mmT4_T5_P12ihipStream_tbEUlRKyE_EESK_SO_SP_mSQ_ST_bEUlT_E_NS1_11comp_targetILNS1_3genE5ELNS1_11target_archE942ELNS1_3gpuE9ELNS1_3repE0EEENS1_30default_config_static_selectorELNS0_4arch9wavefront6targetE0EEEvSN_,"axG",@progbits,_ZN7rocprim17ROCPRIM_400000_NS6detail17trampoline_kernelINS0_14default_configENS1_27lower_bound_config_selectorIylEEZNS1_14transform_implILb0ES3_S5_N6thrust23THRUST_200600_302600_NS17counting_iteratorIyNS8_11use_defaultESA_SA_EEPlZNS1_13binary_searchIS3_S5_PySB_SC_NS1_21lower_bound_search_opENS8_6detail16wrapped_functionI11custom_lessbEEEE10hipError_tPvRmT1_T2_T3_mmT4_T5_P12ihipStream_tbEUlRKyE_EESK_SO_SP_mSQ_ST_bEUlT_E_NS1_11comp_targetILNS1_3genE5ELNS1_11target_archE942ELNS1_3gpuE9ELNS1_3repE0EEENS1_30default_config_static_selectorELNS0_4arch9wavefront6targetE0EEEvSN_,comdat
	.protected	_ZN7rocprim17ROCPRIM_400000_NS6detail17trampoline_kernelINS0_14default_configENS1_27lower_bound_config_selectorIylEEZNS1_14transform_implILb0ES3_S5_N6thrust23THRUST_200600_302600_NS17counting_iteratorIyNS8_11use_defaultESA_SA_EEPlZNS1_13binary_searchIS3_S5_PySB_SC_NS1_21lower_bound_search_opENS8_6detail16wrapped_functionI11custom_lessbEEEE10hipError_tPvRmT1_T2_T3_mmT4_T5_P12ihipStream_tbEUlRKyE_EESK_SO_SP_mSQ_ST_bEUlT_E_NS1_11comp_targetILNS1_3genE5ELNS1_11target_archE942ELNS1_3gpuE9ELNS1_3repE0EEENS1_30default_config_static_selectorELNS0_4arch9wavefront6targetE0EEEvSN_ ; -- Begin function _ZN7rocprim17ROCPRIM_400000_NS6detail17trampoline_kernelINS0_14default_configENS1_27lower_bound_config_selectorIylEEZNS1_14transform_implILb0ES3_S5_N6thrust23THRUST_200600_302600_NS17counting_iteratorIyNS8_11use_defaultESA_SA_EEPlZNS1_13binary_searchIS3_S5_PySB_SC_NS1_21lower_bound_search_opENS8_6detail16wrapped_functionI11custom_lessbEEEE10hipError_tPvRmT1_T2_T3_mmT4_T5_P12ihipStream_tbEUlRKyE_EESK_SO_SP_mSQ_ST_bEUlT_E_NS1_11comp_targetILNS1_3genE5ELNS1_11target_archE942ELNS1_3gpuE9ELNS1_3repE0EEENS1_30default_config_static_selectorELNS0_4arch9wavefront6targetE0EEEvSN_
	.globl	_ZN7rocprim17ROCPRIM_400000_NS6detail17trampoline_kernelINS0_14default_configENS1_27lower_bound_config_selectorIylEEZNS1_14transform_implILb0ES3_S5_N6thrust23THRUST_200600_302600_NS17counting_iteratorIyNS8_11use_defaultESA_SA_EEPlZNS1_13binary_searchIS3_S5_PySB_SC_NS1_21lower_bound_search_opENS8_6detail16wrapped_functionI11custom_lessbEEEE10hipError_tPvRmT1_T2_T3_mmT4_T5_P12ihipStream_tbEUlRKyE_EESK_SO_SP_mSQ_ST_bEUlT_E_NS1_11comp_targetILNS1_3genE5ELNS1_11target_archE942ELNS1_3gpuE9ELNS1_3repE0EEENS1_30default_config_static_selectorELNS0_4arch9wavefront6targetE0EEEvSN_
	.p2align	8
	.type	_ZN7rocprim17ROCPRIM_400000_NS6detail17trampoline_kernelINS0_14default_configENS1_27lower_bound_config_selectorIylEEZNS1_14transform_implILb0ES3_S5_N6thrust23THRUST_200600_302600_NS17counting_iteratorIyNS8_11use_defaultESA_SA_EEPlZNS1_13binary_searchIS3_S5_PySB_SC_NS1_21lower_bound_search_opENS8_6detail16wrapped_functionI11custom_lessbEEEE10hipError_tPvRmT1_T2_T3_mmT4_T5_P12ihipStream_tbEUlRKyE_EESK_SO_SP_mSQ_ST_bEUlT_E_NS1_11comp_targetILNS1_3genE5ELNS1_11target_archE942ELNS1_3gpuE9ELNS1_3repE0EEENS1_30default_config_static_selectorELNS0_4arch9wavefront6targetE0EEEvSN_,@function
_ZN7rocprim17ROCPRIM_400000_NS6detail17trampoline_kernelINS0_14default_configENS1_27lower_bound_config_selectorIylEEZNS1_14transform_implILb0ES3_S5_N6thrust23THRUST_200600_302600_NS17counting_iteratorIyNS8_11use_defaultESA_SA_EEPlZNS1_13binary_searchIS3_S5_PySB_SC_NS1_21lower_bound_search_opENS8_6detail16wrapped_functionI11custom_lessbEEEE10hipError_tPvRmT1_T2_T3_mmT4_T5_P12ihipStream_tbEUlRKyE_EESK_SO_SP_mSQ_ST_bEUlT_E_NS1_11comp_targetILNS1_3genE5ELNS1_11target_archE942ELNS1_3gpuE9ELNS1_3repE0EEENS1_30default_config_static_selectorELNS0_4arch9wavefront6targetE0EEEvSN_: ; @_ZN7rocprim17ROCPRIM_400000_NS6detail17trampoline_kernelINS0_14default_configENS1_27lower_bound_config_selectorIylEEZNS1_14transform_implILb0ES3_S5_N6thrust23THRUST_200600_302600_NS17counting_iteratorIyNS8_11use_defaultESA_SA_EEPlZNS1_13binary_searchIS3_S5_PySB_SC_NS1_21lower_bound_search_opENS8_6detail16wrapped_functionI11custom_lessbEEEE10hipError_tPvRmT1_T2_T3_mmT4_T5_P12ihipStream_tbEUlRKyE_EESK_SO_SP_mSQ_ST_bEUlT_E_NS1_11comp_targetILNS1_3genE5ELNS1_11target_archE942ELNS1_3gpuE9ELNS1_3repE0EEENS1_30default_config_static_selectorELNS0_4arch9wavefront6targetE0EEEvSN_
; %bb.0:
	.section	.rodata,"a",@progbits
	.p2align	6, 0x0
	.amdhsa_kernel _ZN7rocprim17ROCPRIM_400000_NS6detail17trampoline_kernelINS0_14default_configENS1_27lower_bound_config_selectorIylEEZNS1_14transform_implILb0ES3_S5_N6thrust23THRUST_200600_302600_NS17counting_iteratorIyNS8_11use_defaultESA_SA_EEPlZNS1_13binary_searchIS3_S5_PySB_SC_NS1_21lower_bound_search_opENS8_6detail16wrapped_functionI11custom_lessbEEEE10hipError_tPvRmT1_T2_T3_mmT4_T5_P12ihipStream_tbEUlRKyE_EESK_SO_SP_mSQ_ST_bEUlT_E_NS1_11comp_targetILNS1_3genE5ELNS1_11target_archE942ELNS1_3gpuE9ELNS1_3repE0EEENS1_30default_config_static_selectorELNS0_4arch9wavefront6targetE0EEEvSN_
		.amdhsa_group_segment_fixed_size 0
		.amdhsa_private_segment_fixed_size 0
		.amdhsa_kernarg_size 56
		.amdhsa_user_sgpr_count 15
		.amdhsa_user_sgpr_dispatch_ptr 0
		.amdhsa_user_sgpr_queue_ptr 0
		.amdhsa_user_sgpr_kernarg_segment_ptr 1
		.amdhsa_user_sgpr_dispatch_id 0
		.amdhsa_user_sgpr_private_segment_size 0
		.amdhsa_wavefront_size32 1
		.amdhsa_uses_dynamic_stack 0
		.amdhsa_enable_private_segment 0
		.amdhsa_system_sgpr_workgroup_id_x 1
		.amdhsa_system_sgpr_workgroup_id_y 0
		.amdhsa_system_sgpr_workgroup_id_z 0
		.amdhsa_system_sgpr_workgroup_info 0
		.amdhsa_system_vgpr_workitem_id 0
		.amdhsa_next_free_vgpr 1
		.amdhsa_next_free_sgpr 1
		.amdhsa_reserve_vcc 0
		.amdhsa_float_round_mode_32 0
		.amdhsa_float_round_mode_16_64 0
		.amdhsa_float_denorm_mode_32 3
		.amdhsa_float_denorm_mode_16_64 3
		.amdhsa_dx10_clamp 1
		.amdhsa_ieee_mode 1
		.amdhsa_fp16_overflow 0
		.amdhsa_workgroup_processor_mode 1
		.amdhsa_memory_ordered 1
		.amdhsa_forward_progress 0
		.amdhsa_shared_vgpr_count 0
		.amdhsa_exception_fp_ieee_invalid_op 0
		.amdhsa_exception_fp_denorm_src 0
		.amdhsa_exception_fp_ieee_div_zero 0
		.amdhsa_exception_fp_ieee_overflow 0
		.amdhsa_exception_fp_ieee_underflow 0
		.amdhsa_exception_fp_ieee_inexact 0
		.amdhsa_exception_int_div_zero 0
	.end_amdhsa_kernel
	.section	.text._ZN7rocprim17ROCPRIM_400000_NS6detail17trampoline_kernelINS0_14default_configENS1_27lower_bound_config_selectorIylEEZNS1_14transform_implILb0ES3_S5_N6thrust23THRUST_200600_302600_NS17counting_iteratorIyNS8_11use_defaultESA_SA_EEPlZNS1_13binary_searchIS3_S5_PySB_SC_NS1_21lower_bound_search_opENS8_6detail16wrapped_functionI11custom_lessbEEEE10hipError_tPvRmT1_T2_T3_mmT4_T5_P12ihipStream_tbEUlRKyE_EESK_SO_SP_mSQ_ST_bEUlT_E_NS1_11comp_targetILNS1_3genE5ELNS1_11target_archE942ELNS1_3gpuE9ELNS1_3repE0EEENS1_30default_config_static_selectorELNS0_4arch9wavefront6targetE0EEEvSN_,"axG",@progbits,_ZN7rocprim17ROCPRIM_400000_NS6detail17trampoline_kernelINS0_14default_configENS1_27lower_bound_config_selectorIylEEZNS1_14transform_implILb0ES3_S5_N6thrust23THRUST_200600_302600_NS17counting_iteratorIyNS8_11use_defaultESA_SA_EEPlZNS1_13binary_searchIS3_S5_PySB_SC_NS1_21lower_bound_search_opENS8_6detail16wrapped_functionI11custom_lessbEEEE10hipError_tPvRmT1_T2_T3_mmT4_T5_P12ihipStream_tbEUlRKyE_EESK_SO_SP_mSQ_ST_bEUlT_E_NS1_11comp_targetILNS1_3genE5ELNS1_11target_archE942ELNS1_3gpuE9ELNS1_3repE0EEENS1_30default_config_static_selectorELNS0_4arch9wavefront6targetE0EEEvSN_,comdat
.Lfunc_end26:
	.size	_ZN7rocprim17ROCPRIM_400000_NS6detail17trampoline_kernelINS0_14default_configENS1_27lower_bound_config_selectorIylEEZNS1_14transform_implILb0ES3_S5_N6thrust23THRUST_200600_302600_NS17counting_iteratorIyNS8_11use_defaultESA_SA_EEPlZNS1_13binary_searchIS3_S5_PySB_SC_NS1_21lower_bound_search_opENS8_6detail16wrapped_functionI11custom_lessbEEEE10hipError_tPvRmT1_T2_T3_mmT4_T5_P12ihipStream_tbEUlRKyE_EESK_SO_SP_mSQ_ST_bEUlT_E_NS1_11comp_targetILNS1_3genE5ELNS1_11target_archE942ELNS1_3gpuE9ELNS1_3repE0EEENS1_30default_config_static_selectorELNS0_4arch9wavefront6targetE0EEEvSN_, .Lfunc_end26-_ZN7rocprim17ROCPRIM_400000_NS6detail17trampoline_kernelINS0_14default_configENS1_27lower_bound_config_selectorIylEEZNS1_14transform_implILb0ES3_S5_N6thrust23THRUST_200600_302600_NS17counting_iteratorIyNS8_11use_defaultESA_SA_EEPlZNS1_13binary_searchIS3_S5_PySB_SC_NS1_21lower_bound_search_opENS8_6detail16wrapped_functionI11custom_lessbEEEE10hipError_tPvRmT1_T2_T3_mmT4_T5_P12ihipStream_tbEUlRKyE_EESK_SO_SP_mSQ_ST_bEUlT_E_NS1_11comp_targetILNS1_3genE5ELNS1_11target_archE942ELNS1_3gpuE9ELNS1_3repE0EEENS1_30default_config_static_selectorELNS0_4arch9wavefront6targetE0EEEvSN_
                                        ; -- End function
	.section	.AMDGPU.csdata,"",@progbits
; Kernel info:
; codeLenInByte = 0
; NumSgprs: 0
; NumVgprs: 0
; ScratchSize: 0
; MemoryBound: 0
; FloatMode: 240
; IeeeMode: 1
; LDSByteSize: 0 bytes/workgroup (compile time only)
; SGPRBlocks: 0
; VGPRBlocks: 0
; NumSGPRsForWavesPerEU: 1
; NumVGPRsForWavesPerEU: 1
; Occupancy: 16
; WaveLimiterHint : 0
; COMPUTE_PGM_RSRC2:SCRATCH_EN: 0
; COMPUTE_PGM_RSRC2:USER_SGPR: 15
; COMPUTE_PGM_RSRC2:TRAP_HANDLER: 0
; COMPUTE_PGM_RSRC2:TGID_X_EN: 1
; COMPUTE_PGM_RSRC2:TGID_Y_EN: 0
; COMPUTE_PGM_RSRC2:TGID_Z_EN: 0
; COMPUTE_PGM_RSRC2:TIDIG_COMP_CNT: 0
	.section	.text._ZN7rocprim17ROCPRIM_400000_NS6detail17trampoline_kernelINS0_14default_configENS1_27lower_bound_config_selectorIylEEZNS1_14transform_implILb0ES3_S5_N6thrust23THRUST_200600_302600_NS17counting_iteratorIyNS8_11use_defaultESA_SA_EEPlZNS1_13binary_searchIS3_S5_PySB_SC_NS1_21lower_bound_search_opENS8_6detail16wrapped_functionI11custom_lessbEEEE10hipError_tPvRmT1_T2_T3_mmT4_T5_P12ihipStream_tbEUlRKyE_EESK_SO_SP_mSQ_ST_bEUlT_E_NS1_11comp_targetILNS1_3genE4ELNS1_11target_archE910ELNS1_3gpuE8ELNS1_3repE0EEENS1_30default_config_static_selectorELNS0_4arch9wavefront6targetE0EEEvSN_,"axG",@progbits,_ZN7rocprim17ROCPRIM_400000_NS6detail17trampoline_kernelINS0_14default_configENS1_27lower_bound_config_selectorIylEEZNS1_14transform_implILb0ES3_S5_N6thrust23THRUST_200600_302600_NS17counting_iteratorIyNS8_11use_defaultESA_SA_EEPlZNS1_13binary_searchIS3_S5_PySB_SC_NS1_21lower_bound_search_opENS8_6detail16wrapped_functionI11custom_lessbEEEE10hipError_tPvRmT1_T2_T3_mmT4_T5_P12ihipStream_tbEUlRKyE_EESK_SO_SP_mSQ_ST_bEUlT_E_NS1_11comp_targetILNS1_3genE4ELNS1_11target_archE910ELNS1_3gpuE8ELNS1_3repE0EEENS1_30default_config_static_selectorELNS0_4arch9wavefront6targetE0EEEvSN_,comdat
	.protected	_ZN7rocprim17ROCPRIM_400000_NS6detail17trampoline_kernelINS0_14default_configENS1_27lower_bound_config_selectorIylEEZNS1_14transform_implILb0ES3_S5_N6thrust23THRUST_200600_302600_NS17counting_iteratorIyNS8_11use_defaultESA_SA_EEPlZNS1_13binary_searchIS3_S5_PySB_SC_NS1_21lower_bound_search_opENS8_6detail16wrapped_functionI11custom_lessbEEEE10hipError_tPvRmT1_T2_T3_mmT4_T5_P12ihipStream_tbEUlRKyE_EESK_SO_SP_mSQ_ST_bEUlT_E_NS1_11comp_targetILNS1_3genE4ELNS1_11target_archE910ELNS1_3gpuE8ELNS1_3repE0EEENS1_30default_config_static_selectorELNS0_4arch9wavefront6targetE0EEEvSN_ ; -- Begin function _ZN7rocprim17ROCPRIM_400000_NS6detail17trampoline_kernelINS0_14default_configENS1_27lower_bound_config_selectorIylEEZNS1_14transform_implILb0ES3_S5_N6thrust23THRUST_200600_302600_NS17counting_iteratorIyNS8_11use_defaultESA_SA_EEPlZNS1_13binary_searchIS3_S5_PySB_SC_NS1_21lower_bound_search_opENS8_6detail16wrapped_functionI11custom_lessbEEEE10hipError_tPvRmT1_T2_T3_mmT4_T5_P12ihipStream_tbEUlRKyE_EESK_SO_SP_mSQ_ST_bEUlT_E_NS1_11comp_targetILNS1_3genE4ELNS1_11target_archE910ELNS1_3gpuE8ELNS1_3repE0EEENS1_30default_config_static_selectorELNS0_4arch9wavefront6targetE0EEEvSN_
	.globl	_ZN7rocprim17ROCPRIM_400000_NS6detail17trampoline_kernelINS0_14default_configENS1_27lower_bound_config_selectorIylEEZNS1_14transform_implILb0ES3_S5_N6thrust23THRUST_200600_302600_NS17counting_iteratorIyNS8_11use_defaultESA_SA_EEPlZNS1_13binary_searchIS3_S5_PySB_SC_NS1_21lower_bound_search_opENS8_6detail16wrapped_functionI11custom_lessbEEEE10hipError_tPvRmT1_T2_T3_mmT4_T5_P12ihipStream_tbEUlRKyE_EESK_SO_SP_mSQ_ST_bEUlT_E_NS1_11comp_targetILNS1_3genE4ELNS1_11target_archE910ELNS1_3gpuE8ELNS1_3repE0EEENS1_30default_config_static_selectorELNS0_4arch9wavefront6targetE0EEEvSN_
	.p2align	8
	.type	_ZN7rocprim17ROCPRIM_400000_NS6detail17trampoline_kernelINS0_14default_configENS1_27lower_bound_config_selectorIylEEZNS1_14transform_implILb0ES3_S5_N6thrust23THRUST_200600_302600_NS17counting_iteratorIyNS8_11use_defaultESA_SA_EEPlZNS1_13binary_searchIS3_S5_PySB_SC_NS1_21lower_bound_search_opENS8_6detail16wrapped_functionI11custom_lessbEEEE10hipError_tPvRmT1_T2_T3_mmT4_T5_P12ihipStream_tbEUlRKyE_EESK_SO_SP_mSQ_ST_bEUlT_E_NS1_11comp_targetILNS1_3genE4ELNS1_11target_archE910ELNS1_3gpuE8ELNS1_3repE0EEENS1_30default_config_static_selectorELNS0_4arch9wavefront6targetE0EEEvSN_,@function
_ZN7rocprim17ROCPRIM_400000_NS6detail17trampoline_kernelINS0_14default_configENS1_27lower_bound_config_selectorIylEEZNS1_14transform_implILb0ES3_S5_N6thrust23THRUST_200600_302600_NS17counting_iteratorIyNS8_11use_defaultESA_SA_EEPlZNS1_13binary_searchIS3_S5_PySB_SC_NS1_21lower_bound_search_opENS8_6detail16wrapped_functionI11custom_lessbEEEE10hipError_tPvRmT1_T2_T3_mmT4_T5_P12ihipStream_tbEUlRKyE_EESK_SO_SP_mSQ_ST_bEUlT_E_NS1_11comp_targetILNS1_3genE4ELNS1_11target_archE910ELNS1_3gpuE8ELNS1_3repE0EEENS1_30default_config_static_selectorELNS0_4arch9wavefront6targetE0EEEvSN_: ; @_ZN7rocprim17ROCPRIM_400000_NS6detail17trampoline_kernelINS0_14default_configENS1_27lower_bound_config_selectorIylEEZNS1_14transform_implILb0ES3_S5_N6thrust23THRUST_200600_302600_NS17counting_iteratorIyNS8_11use_defaultESA_SA_EEPlZNS1_13binary_searchIS3_S5_PySB_SC_NS1_21lower_bound_search_opENS8_6detail16wrapped_functionI11custom_lessbEEEE10hipError_tPvRmT1_T2_T3_mmT4_T5_P12ihipStream_tbEUlRKyE_EESK_SO_SP_mSQ_ST_bEUlT_E_NS1_11comp_targetILNS1_3genE4ELNS1_11target_archE910ELNS1_3gpuE8ELNS1_3repE0EEENS1_30default_config_static_selectorELNS0_4arch9wavefront6targetE0EEEvSN_
; %bb.0:
	.section	.rodata,"a",@progbits
	.p2align	6, 0x0
	.amdhsa_kernel _ZN7rocprim17ROCPRIM_400000_NS6detail17trampoline_kernelINS0_14default_configENS1_27lower_bound_config_selectorIylEEZNS1_14transform_implILb0ES3_S5_N6thrust23THRUST_200600_302600_NS17counting_iteratorIyNS8_11use_defaultESA_SA_EEPlZNS1_13binary_searchIS3_S5_PySB_SC_NS1_21lower_bound_search_opENS8_6detail16wrapped_functionI11custom_lessbEEEE10hipError_tPvRmT1_T2_T3_mmT4_T5_P12ihipStream_tbEUlRKyE_EESK_SO_SP_mSQ_ST_bEUlT_E_NS1_11comp_targetILNS1_3genE4ELNS1_11target_archE910ELNS1_3gpuE8ELNS1_3repE0EEENS1_30default_config_static_selectorELNS0_4arch9wavefront6targetE0EEEvSN_
		.amdhsa_group_segment_fixed_size 0
		.amdhsa_private_segment_fixed_size 0
		.amdhsa_kernarg_size 56
		.amdhsa_user_sgpr_count 15
		.amdhsa_user_sgpr_dispatch_ptr 0
		.amdhsa_user_sgpr_queue_ptr 0
		.amdhsa_user_sgpr_kernarg_segment_ptr 1
		.amdhsa_user_sgpr_dispatch_id 0
		.amdhsa_user_sgpr_private_segment_size 0
		.amdhsa_wavefront_size32 1
		.amdhsa_uses_dynamic_stack 0
		.amdhsa_enable_private_segment 0
		.amdhsa_system_sgpr_workgroup_id_x 1
		.amdhsa_system_sgpr_workgroup_id_y 0
		.amdhsa_system_sgpr_workgroup_id_z 0
		.amdhsa_system_sgpr_workgroup_info 0
		.amdhsa_system_vgpr_workitem_id 0
		.amdhsa_next_free_vgpr 1
		.amdhsa_next_free_sgpr 1
		.amdhsa_reserve_vcc 0
		.amdhsa_float_round_mode_32 0
		.amdhsa_float_round_mode_16_64 0
		.amdhsa_float_denorm_mode_32 3
		.amdhsa_float_denorm_mode_16_64 3
		.amdhsa_dx10_clamp 1
		.amdhsa_ieee_mode 1
		.amdhsa_fp16_overflow 0
		.amdhsa_workgroup_processor_mode 1
		.amdhsa_memory_ordered 1
		.amdhsa_forward_progress 0
		.amdhsa_shared_vgpr_count 0
		.amdhsa_exception_fp_ieee_invalid_op 0
		.amdhsa_exception_fp_denorm_src 0
		.amdhsa_exception_fp_ieee_div_zero 0
		.amdhsa_exception_fp_ieee_overflow 0
		.amdhsa_exception_fp_ieee_underflow 0
		.amdhsa_exception_fp_ieee_inexact 0
		.amdhsa_exception_int_div_zero 0
	.end_amdhsa_kernel
	.section	.text._ZN7rocprim17ROCPRIM_400000_NS6detail17trampoline_kernelINS0_14default_configENS1_27lower_bound_config_selectorIylEEZNS1_14transform_implILb0ES3_S5_N6thrust23THRUST_200600_302600_NS17counting_iteratorIyNS8_11use_defaultESA_SA_EEPlZNS1_13binary_searchIS3_S5_PySB_SC_NS1_21lower_bound_search_opENS8_6detail16wrapped_functionI11custom_lessbEEEE10hipError_tPvRmT1_T2_T3_mmT4_T5_P12ihipStream_tbEUlRKyE_EESK_SO_SP_mSQ_ST_bEUlT_E_NS1_11comp_targetILNS1_3genE4ELNS1_11target_archE910ELNS1_3gpuE8ELNS1_3repE0EEENS1_30default_config_static_selectorELNS0_4arch9wavefront6targetE0EEEvSN_,"axG",@progbits,_ZN7rocprim17ROCPRIM_400000_NS6detail17trampoline_kernelINS0_14default_configENS1_27lower_bound_config_selectorIylEEZNS1_14transform_implILb0ES3_S5_N6thrust23THRUST_200600_302600_NS17counting_iteratorIyNS8_11use_defaultESA_SA_EEPlZNS1_13binary_searchIS3_S5_PySB_SC_NS1_21lower_bound_search_opENS8_6detail16wrapped_functionI11custom_lessbEEEE10hipError_tPvRmT1_T2_T3_mmT4_T5_P12ihipStream_tbEUlRKyE_EESK_SO_SP_mSQ_ST_bEUlT_E_NS1_11comp_targetILNS1_3genE4ELNS1_11target_archE910ELNS1_3gpuE8ELNS1_3repE0EEENS1_30default_config_static_selectorELNS0_4arch9wavefront6targetE0EEEvSN_,comdat
.Lfunc_end27:
	.size	_ZN7rocprim17ROCPRIM_400000_NS6detail17trampoline_kernelINS0_14default_configENS1_27lower_bound_config_selectorIylEEZNS1_14transform_implILb0ES3_S5_N6thrust23THRUST_200600_302600_NS17counting_iteratorIyNS8_11use_defaultESA_SA_EEPlZNS1_13binary_searchIS3_S5_PySB_SC_NS1_21lower_bound_search_opENS8_6detail16wrapped_functionI11custom_lessbEEEE10hipError_tPvRmT1_T2_T3_mmT4_T5_P12ihipStream_tbEUlRKyE_EESK_SO_SP_mSQ_ST_bEUlT_E_NS1_11comp_targetILNS1_3genE4ELNS1_11target_archE910ELNS1_3gpuE8ELNS1_3repE0EEENS1_30default_config_static_selectorELNS0_4arch9wavefront6targetE0EEEvSN_, .Lfunc_end27-_ZN7rocprim17ROCPRIM_400000_NS6detail17trampoline_kernelINS0_14default_configENS1_27lower_bound_config_selectorIylEEZNS1_14transform_implILb0ES3_S5_N6thrust23THRUST_200600_302600_NS17counting_iteratorIyNS8_11use_defaultESA_SA_EEPlZNS1_13binary_searchIS3_S5_PySB_SC_NS1_21lower_bound_search_opENS8_6detail16wrapped_functionI11custom_lessbEEEE10hipError_tPvRmT1_T2_T3_mmT4_T5_P12ihipStream_tbEUlRKyE_EESK_SO_SP_mSQ_ST_bEUlT_E_NS1_11comp_targetILNS1_3genE4ELNS1_11target_archE910ELNS1_3gpuE8ELNS1_3repE0EEENS1_30default_config_static_selectorELNS0_4arch9wavefront6targetE0EEEvSN_
                                        ; -- End function
	.section	.AMDGPU.csdata,"",@progbits
; Kernel info:
; codeLenInByte = 0
; NumSgprs: 0
; NumVgprs: 0
; ScratchSize: 0
; MemoryBound: 0
; FloatMode: 240
; IeeeMode: 1
; LDSByteSize: 0 bytes/workgroup (compile time only)
; SGPRBlocks: 0
; VGPRBlocks: 0
; NumSGPRsForWavesPerEU: 1
; NumVGPRsForWavesPerEU: 1
; Occupancy: 16
; WaveLimiterHint : 0
; COMPUTE_PGM_RSRC2:SCRATCH_EN: 0
; COMPUTE_PGM_RSRC2:USER_SGPR: 15
; COMPUTE_PGM_RSRC2:TRAP_HANDLER: 0
; COMPUTE_PGM_RSRC2:TGID_X_EN: 1
; COMPUTE_PGM_RSRC2:TGID_Y_EN: 0
; COMPUTE_PGM_RSRC2:TGID_Z_EN: 0
; COMPUTE_PGM_RSRC2:TIDIG_COMP_CNT: 0
	.section	.text._ZN7rocprim17ROCPRIM_400000_NS6detail17trampoline_kernelINS0_14default_configENS1_27lower_bound_config_selectorIylEEZNS1_14transform_implILb0ES3_S5_N6thrust23THRUST_200600_302600_NS17counting_iteratorIyNS8_11use_defaultESA_SA_EEPlZNS1_13binary_searchIS3_S5_PySB_SC_NS1_21lower_bound_search_opENS8_6detail16wrapped_functionI11custom_lessbEEEE10hipError_tPvRmT1_T2_T3_mmT4_T5_P12ihipStream_tbEUlRKyE_EESK_SO_SP_mSQ_ST_bEUlT_E_NS1_11comp_targetILNS1_3genE3ELNS1_11target_archE908ELNS1_3gpuE7ELNS1_3repE0EEENS1_30default_config_static_selectorELNS0_4arch9wavefront6targetE0EEEvSN_,"axG",@progbits,_ZN7rocprim17ROCPRIM_400000_NS6detail17trampoline_kernelINS0_14default_configENS1_27lower_bound_config_selectorIylEEZNS1_14transform_implILb0ES3_S5_N6thrust23THRUST_200600_302600_NS17counting_iteratorIyNS8_11use_defaultESA_SA_EEPlZNS1_13binary_searchIS3_S5_PySB_SC_NS1_21lower_bound_search_opENS8_6detail16wrapped_functionI11custom_lessbEEEE10hipError_tPvRmT1_T2_T3_mmT4_T5_P12ihipStream_tbEUlRKyE_EESK_SO_SP_mSQ_ST_bEUlT_E_NS1_11comp_targetILNS1_3genE3ELNS1_11target_archE908ELNS1_3gpuE7ELNS1_3repE0EEENS1_30default_config_static_selectorELNS0_4arch9wavefront6targetE0EEEvSN_,comdat
	.protected	_ZN7rocprim17ROCPRIM_400000_NS6detail17trampoline_kernelINS0_14default_configENS1_27lower_bound_config_selectorIylEEZNS1_14transform_implILb0ES3_S5_N6thrust23THRUST_200600_302600_NS17counting_iteratorIyNS8_11use_defaultESA_SA_EEPlZNS1_13binary_searchIS3_S5_PySB_SC_NS1_21lower_bound_search_opENS8_6detail16wrapped_functionI11custom_lessbEEEE10hipError_tPvRmT1_T2_T3_mmT4_T5_P12ihipStream_tbEUlRKyE_EESK_SO_SP_mSQ_ST_bEUlT_E_NS1_11comp_targetILNS1_3genE3ELNS1_11target_archE908ELNS1_3gpuE7ELNS1_3repE0EEENS1_30default_config_static_selectorELNS0_4arch9wavefront6targetE0EEEvSN_ ; -- Begin function _ZN7rocprim17ROCPRIM_400000_NS6detail17trampoline_kernelINS0_14default_configENS1_27lower_bound_config_selectorIylEEZNS1_14transform_implILb0ES3_S5_N6thrust23THRUST_200600_302600_NS17counting_iteratorIyNS8_11use_defaultESA_SA_EEPlZNS1_13binary_searchIS3_S5_PySB_SC_NS1_21lower_bound_search_opENS8_6detail16wrapped_functionI11custom_lessbEEEE10hipError_tPvRmT1_T2_T3_mmT4_T5_P12ihipStream_tbEUlRKyE_EESK_SO_SP_mSQ_ST_bEUlT_E_NS1_11comp_targetILNS1_3genE3ELNS1_11target_archE908ELNS1_3gpuE7ELNS1_3repE0EEENS1_30default_config_static_selectorELNS0_4arch9wavefront6targetE0EEEvSN_
	.globl	_ZN7rocprim17ROCPRIM_400000_NS6detail17trampoline_kernelINS0_14default_configENS1_27lower_bound_config_selectorIylEEZNS1_14transform_implILb0ES3_S5_N6thrust23THRUST_200600_302600_NS17counting_iteratorIyNS8_11use_defaultESA_SA_EEPlZNS1_13binary_searchIS3_S5_PySB_SC_NS1_21lower_bound_search_opENS8_6detail16wrapped_functionI11custom_lessbEEEE10hipError_tPvRmT1_T2_T3_mmT4_T5_P12ihipStream_tbEUlRKyE_EESK_SO_SP_mSQ_ST_bEUlT_E_NS1_11comp_targetILNS1_3genE3ELNS1_11target_archE908ELNS1_3gpuE7ELNS1_3repE0EEENS1_30default_config_static_selectorELNS0_4arch9wavefront6targetE0EEEvSN_
	.p2align	8
	.type	_ZN7rocprim17ROCPRIM_400000_NS6detail17trampoline_kernelINS0_14default_configENS1_27lower_bound_config_selectorIylEEZNS1_14transform_implILb0ES3_S5_N6thrust23THRUST_200600_302600_NS17counting_iteratorIyNS8_11use_defaultESA_SA_EEPlZNS1_13binary_searchIS3_S5_PySB_SC_NS1_21lower_bound_search_opENS8_6detail16wrapped_functionI11custom_lessbEEEE10hipError_tPvRmT1_T2_T3_mmT4_T5_P12ihipStream_tbEUlRKyE_EESK_SO_SP_mSQ_ST_bEUlT_E_NS1_11comp_targetILNS1_3genE3ELNS1_11target_archE908ELNS1_3gpuE7ELNS1_3repE0EEENS1_30default_config_static_selectorELNS0_4arch9wavefront6targetE0EEEvSN_,@function
_ZN7rocprim17ROCPRIM_400000_NS6detail17trampoline_kernelINS0_14default_configENS1_27lower_bound_config_selectorIylEEZNS1_14transform_implILb0ES3_S5_N6thrust23THRUST_200600_302600_NS17counting_iteratorIyNS8_11use_defaultESA_SA_EEPlZNS1_13binary_searchIS3_S5_PySB_SC_NS1_21lower_bound_search_opENS8_6detail16wrapped_functionI11custom_lessbEEEE10hipError_tPvRmT1_T2_T3_mmT4_T5_P12ihipStream_tbEUlRKyE_EESK_SO_SP_mSQ_ST_bEUlT_E_NS1_11comp_targetILNS1_3genE3ELNS1_11target_archE908ELNS1_3gpuE7ELNS1_3repE0EEENS1_30default_config_static_selectorELNS0_4arch9wavefront6targetE0EEEvSN_: ; @_ZN7rocprim17ROCPRIM_400000_NS6detail17trampoline_kernelINS0_14default_configENS1_27lower_bound_config_selectorIylEEZNS1_14transform_implILb0ES3_S5_N6thrust23THRUST_200600_302600_NS17counting_iteratorIyNS8_11use_defaultESA_SA_EEPlZNS1_13binary_searchIS3_S5_PySB_SC_NS1_21lower_bound_search_opENS8_6detail16wrapped_functionI11custom_lessbEEEE10hipError_tPvRmT1_T2_T3_mmT4_T5_P12ihipStream_tbEUlRKyE_EESK_SO_SP_mSQ_ST_bEUlT_E_NS1_11comp_targetILNS1_3genE3ELNS1_11target_archE908ELNS1_3gpuE7ELNS1_3repE0EEENS1_30default_config_static_selectorELNS0_4arch9wavefront6targetE0EEEvSN_
; %bb.0:
	.section	.rodata,"a",@progbits
	.p2align	6, 0x0
	.amdhsa_kernel _ZN7rocprim17ROCPRIM_400000_NS6detail17trampoline_kernelINS0_14default_configENS1_27lower_bound_config_selectorIylEEZNS1_14transform_implILb0ES3_S5_N6thrust23THRUST_200600_302600_NS17counting_iteratorIyNS8_11use_defaultESA_SA_EEPlZNS1_13binary_searchIS3_S5_PySB_SC_NS1_21lower_bound_search_opENS8_6detail16wrapped_functionI11custom_lessbEEEE10hipError_tPvRmT1_T2_T3_mmT4_T5_P12ihipStream_tbEUlRKyE_EESK_SO_SP_mSQ_ST_bEUlT_E_NS1_11comp_targetILNS1_3genE3ELNS1_11target_archE908ELNS1_3gpuE7ELNS1_3repE0EEENS1_30default_config_static_selectorELNS0_4arch9wavefront6targetE0EEEvSN_
		.amdhsa_group_segment_fixed_size 0
		.amdhsa_private_segment_fixed_size 0
		.amdhsa_kernarg_size 56
		.amdhsa_user_sgpr_count 15
		.amdhsa_user_sgpr_dispatch_ptr 0
		.amdhsa_user_sgpr_queue_ptr 0
		.amdhsa_user_sgpr_kernarg_segment_ptr 1
		.amdhsa_user_sgpr_dispatch_id 0
		.amdhsa_user_sgpr_private_segment_size 0
		.amdhsa_wavefront_size32 1
		.amdhsa_uses_dynamic_stack 0
		.amdhsa_enable_private_segment 0
		.amdhsa_system_sgpr_workgroup_id_x 1
		.amdhsa_system_sgpr_workgroup_id_y 0
		.amdhsa_system_sgpr_workgroup_id_z 0
		.amdhsa_system_sgpr_workgroup_info 0
		.amdhsa_system_vgpr_workitem_id 0
		.amdhsa_next_free_vgpr 1
		.amdhsa_next_free_sgpr 1
		.amdhsa_reserve_vcc 0
		.amdhsa_float_round_mode_32 0
		.amdhsa_float_round_mode_16_64 0
		.amdhsa_float_denorm_mode_32 3
		.amdhsa_float_denorm_mode_16_64 3
		.amdhsa_dx10_clamp 1
		.amdhsa_ieee_mode 1
		.amdhsa_fp16_overflow 0
		.amdhsa_workgroup_processor_mode 1
		.amdhsa_memory_ordered 1
		.amdhsa_forward_progress 0
		.amdhsa_shared_vgpr_count 0
		.amdhsa_exception_fp_ieee_invalid_op 0
		.amdhsa_exception_fp_denorm_src 0
		.amdhsa_exception_fp_ieee_div_zero 0
		.amdhsa_exception_fp_ieee_overflow 0
		.amdhsa_exception_fp_ieee_underflow 0
		.amdhsa_exception_fp_ieee_inexact 0
		.amdhsa_exception_int_div_zero 0
	.end_amdhsa_kernel
	.section	.text._ZN7rocprim17ROCPRIM_400000_NS6detail17trampoline_kernelINS0_14default_configENS1_27lower_bound_config_selectorIylEEZNS1_14transform_implILb0ES3_S5_N6thrust23THRUST_200600_302600_NS17counting_iteratorIyNS8_11use_defaultESA_SA_EEPlZNS1_13binary_searchIS3_S5_PySB_SC_NS1_21lower_bound_search_opENS8_6detail16wrapped_functionI11custom_lessbEEEE10hipError_tPvRmT1_T2_T3_mmT4_T5_P12ihipStream_tbEUlRKyE_EESK_SO_SP_mSQ_ST_bEUlT_E_NS1_11comp_targetILNS1_3genE3ELNS1_11target_archE908ELNS1_3gpuE7ELNS1_3repE0EEENS1_30default_config_static_selectorELNS0_4arch9wavefront6targetE0EEEvSN_,"axG",@progbits,_ZN7rocprim17ROCPRIM_400000_NS6detail17trampoline_kernelINS0_14default_configENS1_27lower_bound_config_selectorIylEEZNS1_14transform_implILb0ES3_S5_N6thrust23THRUST_200600_302600_NS17counting_iteratorIyNS8_11use_defaultESA_SA_EEPlZNS1_13binary_searchIS3_S5_PySB_SC_NS1_21lower_bound_search_opENS8_6detail16wrapped_functionI11custom_lessbEEEE10hipError_tPvRmT1_T2_T3_mmT4_T5_P12ihipStream_tbEUlRKyE_EESK_SO_SP_mSQ_ST_bEUlT_E_NS1_11comp_targetILNS1_3genE3ELNS1_11target_archE908ELNS1_3gpuE7ELNS1_3repE0EEENS1_30default_config_static_selectorELNS0_4arch9wavefront6targetE0EEEvSN_,comdat
.Lfunc_end28:
	.size	_ZN7rocprim17ROCPRIM_400000_NS6detail17trampoline_kernelINS0_14default_configENS1_27lower_bound_config_selectorIylEEZNS1_14transform_implILb0ES3_S5_N6thrust23THRUST_200600_302600_NS17counting_iteratorIyNS8_11use_defaultESA_SA_EEPlZNS1_13binary_searchIS3_S5_PySB_SC_NS1_21lower_bound_search_opENS8_6detail16wrapped_functionI11custom_lessbEEEE10hipError_tPvRmT1_T2_T3_mmT4_T5_P12ihipStream_tbEUlRKyE_EESK_SO_SP_mSQ_ST_bEUlT_E_NS1_11comp_targetILNS1_3genE3ELNS1_11target_archE908ELNS1_3gpuE7ELNS1_3repE0EEENS1_30default_config_static_selectorELNS0_4arch9wavefront6targetE0EEEvSN_, .Lfunc_end28-_ZN7rocprim17ROCPRIM_400000_NS6detail17trampoline_kernelINS0_14default_configENS1_27lower_bound_config_selectorIylEEZNS1_14transform_implILb0ES3_S5_N6thrust23THRUST_200600_302600_NS17counting_iteratorIyNS8_11use_defaultESA_SA_EEPlZNS1_13binary_searchIS3_S5_PySB_SC_NS1_21lower_bound_search_opENS8_6detail16wrapped_functionI11custom_lessbEEEE10hipError_tPvRmT1_T2_T3_mmT4_T5_P12ihipStream_tbEUlRKyE_EESK_SO_SP_mSQ_ST_bEUlT_E_NS1_11comp_targetILNS1_3genE3ELNS1_11target_archE908ELNS1_3gpuE7ELNS1_3repE0EEENS1_30default_config_static_selectorELNS0_4arch9wavefront6targetE0EEEvSN_
                                        ; -- End function
	.section	.AMDGPU.csdata,"",@progbits
; Kernel info:
; codeLenInByte = 0
; NumSgprs: 0
; NumVgprs: 0
; ScratchSize: 0
; MemoryBound: 0
; FloatMode: 240
; IeeeMode: 1
; LDSByteSize: 0 bytes/workgroup (compile time only)
; SGPRBlocks: 0
; VGPRBlocks: 0
; NumSGPRsForWavesPerEU: 1
; NumVGPRsForWavesPerEU: 1
; Occupancy: 16
; WaveLimiterHint : 0
; COMPUTE_PGM_RSRC2:SCRATCH_EN: 0
; COMPUTE_PGM_RSRC2:USER_SGPR: 15
; COMPUTE_PGM_RSRC2:TRAP_HANDLER: 0
; COMPUTE_PGM_RSRC2:TGID_X_EN: 1
; COMPUTE_PGM_RSRC2:TGID_Y_EN: 0
; COMPUTE_PGM_RSRC2:TGID_Z_EN: 0
; COMPUTE_PGM_RSRC2:TIDIG_COMP_CNT: 0
	.section	.text._ZN7rocprim17ROCPRIM_400000_NS6detail17trampoline_kernelINS0_14default_configENS1_27lower_bound_config_selectorIylEEZNS1_14transform_implILb0ES3_S5_N6thrust23THRUST_200600_302600_NS17counting_iteratorIyNS8_11use_defaultESA_SA_EEPlZNS1_13binary_searchIS3_S5_PySB_SC_NS1_21lower_bound_search_opENS8_6detail16wrapped_functionI11custom_lessbEEEE10hipError_tPvRmT1_T2_T3_mmT4_T5_P12ihipStream_tbEUlRKyE_EESK_SO_SP_mSQ_ST_bEUlT_E_NS1_11comp_targetILNS1_3genE2ELNS1_11target_archE906ELNS1_3gpuE6ELNS1_3repE0EEENS1_30default_config_static_selectorELNS0_4arch9wavefront6targetE0EEEvSN_,"axG",@progbits,_ZN7rocprim17ROCPRIM_400000_NS6detail17trampoline_kernelINS0_14default_configENS1_27lower_bound_config_selectorIylEEZNS1_14transform_implILb0ES3_S5_N6thrust23THRUST_200600_302600_NS17counting_iteratorIyNS8_11use_defaultESA_SA_EEPlZNS1_13binary_searchIS3_S5_PySB_SC_NS1_21lower_bound_search_opENS8_6detail16wrapped_functionI11custom_lessbEEEE10hipError_tPvRmT1_T2_T3_mmT4_T5_P12ihipStream_tbEUlRKyE_EESK_SO_SP_mSQ_ST_bEUlT_E_NS1_11comp_targetILNS1_3genE2ELNS1_11target_archE906ELNS1_3gpuE6ELNS1_3repE0EEENS1_30default_config_static_selectorELNS0_4arch9wavefront6targetE0EEEvSN_,comdat
	.protected	_ZN7rocprim17ROCPRIM_400000_NS6detail17trampoline_kernelINS0_14default_configENS1_27lower_bound_config_selectorIylEEZNS1_14transform_implILb0ES3_S5_N6thrust23THRUST_200600_302600_NS17counting_iteratorIyNS8_11use_defaultESA_SA_EEPlZNS1_13binary_searchIS3_S5_PySB_SC_NS1_21lower_bound_search_opENS8_6detail16wrapped_functionI11custom_lessbEEEE10hipError_tPvRmT1_T2_T3_mmT4_T5_P12ihipStream_tbEUlRKyE_EESK_SO_SP_mSQ_ST_bEUlT_E_NS1_11comp_targetILNS1_3genE2ELNS1_11target_archE906ELNS1_3gpuE6ELNS1_3repE0EEENS1_30default_config_static_selectorELNS0_4arch9wavefront6targetE0EEEvSN_ ; -- Begin function _ZN7rocprim17ROCPRIM_400000_NS6detail17trampoline_kernelINS0_14default_configENS1_27lower_bound_config_selectorIylEEZNS1_14transform_implILb0ES3_S5_N6thrust23THRUST_200600_302600_NS17counting_iteratorIyNS8_11use_defaultESA_SA_EEPlZNS1_13binary_searchIS3_S5_PySB_SC_NS1_21lower_bound_search_opENS8_6detail16wrapped_functionI11custom_lessbEEEE10hipError_tPvRmT1_T2_T3_mmT4_T5_P12ihipStream_tbEUlRKyE_EESK_SO_SP_mSQ_ST_bEUlT_E_NS1_11comp_targetILNS1_3genE2ELNS1_11target_archE906ELNS1_3gpuE6ELNS1_3repE0EEENS1_30default_config_static_selectorELNS0_4arch9wavefront6targetE0EEEvSN_
	.globl	_ZN7rocprim17ROCPRIM_400000_NS6detail17trampoline_kernelINS0_14default_configENS1_27lower_bound_config_selectorIylEEZNS1_14transform_implILb0ES3_S5_N6thrust23THRUST_200600_302600_NS17counting_iteratorIyNS8_11use_defaultESA_SA_EEPlZNS1_13binary_searchIS3_S5_PySB_SC_NS1_21lower_bound_search_opENS8_6detail16wrapped_functionI11custom_lessbEEEE10hipError_tPvRmT1_T2_T3_mmT4_T5_P12ihipStream_tbEUlRKyE_EESK_SO_SP_mSQ_ST_bEUlT_E_NS1_11comp_targetILNS1_3genE2ELNS1_11target_archE906ELNS1_3gpuE6ELNS1_3repE0EEENS1_30default_config_static_selectorELNS0_4arch9wavefront6targetE0EEEvSN_
	.p2align	8
	.type	_ZN7rocprim17ROCPRIM_400000_NS6detail17trampoline_kernelINS0_14default_configENS1_27lower_bound_config_selectorIylEEZNS1_14transform_implILb0ES3_S5_N6thrust23THRUST_200600_302600_NS17counting_iteratorIyNS8_11use_defaultESA_SA_EEPlZNS1_13binary_searchIS3_S5_PySB_SC_NS1_21lower_bound_search_opENS8_6detail16wrapped_functionI11custom_lessbEEEE10hipError_tPvRmT1_T2_T3_mmT4_T5_P12ihipStream_tbEUlRKyE_EESK_SO_SP_mSQ_ST_bEUlT_E_NS1_11comp_targetILNS1_3genE2ELNS1_11target_archE906ELNS1_3gpuE6ELNS1_3repE0EEENS1_30default_config_static_selectorELNS0_4arch9wavefront6targetE0EEEvSN_,@function
_ZN7rocprim17ROCPRIM_400000_NS6detail17trampoline_kernelINS0_14default_configENS1_27lower_bound_config_selectorIylEEZNS1_14transform_implILb0ES3_S5_N6thrust23THRUST_200600_302600_NS17counting_iteratorIyNS8_11use_defaultESA_SA_EEPlZNS1_13binary_searchIS3_S5_PySB_SC_NS1_21lower_bound_search_opENS8_6detail16wrapped_functionI11custom_lessbEEEE10hipError_tPvRmT1_T2_T3_mmT4_T5_P12ihipStream_tbEUlRKyE_EESK_SO_SP_mSQ_ST_bEUlT_E_NS1_11comp_targetILNS1_3genE2ELNS1_11target_archE906ELNS1_3gpuE6ELNS1_3repE0EEENS1_30default_config_static_selectorELNS0_4arch9wavefront6targetE0EEEvSN_: ; @_ZN7rocprim17ROCPRIM_400000_NS6detail17trampoline_kernelINS0_14default_configENS1_27lower_bound_config_selectorIylEEZNS1_14transform_implILb0ES3_S5_N6thrust23THRUST_200600_302600_NS17counting_iteratorIyNS8_11use_defaultESA_SA_EEPlZNS1_13binary_searchIS3_S5_PySB_SC_NS1_21lower_bound_search_opENS8_6detail16wrapped_functionI11custom_lessbEEEE10hipError_tPvRmT1_T2_T3_mmT4_T5_P12ihipStream_tbEUlRKyE_EESK_SO_SP_mSQ_ST_bEUlT_E_NS1_11comp_targetILNS1_3genE2ELNS1_11target_archE906ELNS1_3gpuE6ELNS1_3repE0EEENS1_30default_config_static_selectorELNS0_4arch9wavefront6targetE0EEEvSN_
; %bb.0:
	.section	.rodata,"a",@progbits
	.p2align	6, 0x0
	.amdhsa_kernel _ZN7rocprim17ROCPRIM_400000_NS6detail17trampoline_kernelINS0_14default_configENS1_27lower_bound_config_selectorIylEEZNS1_14transform_implILb0ES3_S5_N6thrust23THRUST_200600_302600_NS17counting_iteratorIyNS8_11use_defaultESA_SA_EEPlZNS1_13binary_searchIS3_S5_PySB_SC_NS1_21lower_bound_search_opENS8_6detail16wrapped_functionI11custom_lessbEEEE10hipError_tPvRmT1_T2_T3_mmT4_T5_P12ihipStream_tbEUlRKyE_EESK_SO_SP_mSQ_ST_bEUlT_E_NS1_11comp_targetILNS1_3genE2ELNS1_11target_archE906ELNS1_3gpuE6ELNS1_3repE0EEENS1_30default_config_static_selectorELNS0_4arch9wavefront6targetE0EEEvSN_
		.amdhsa_group_segment_fixed_size 0
		.amdhsa_private_segment_fixed_size 0
		.amdhsa_kernarg_size 56
		.amdhsa_user_sgpr_count 15
		.amdhsa_user_sgpr_dispatch_ptr 0
		.amdhsa_user_sgpr_queue_ptr 0
		.amdhsa_user_sgpr_kernarg_segment_ptr 1
		.amdhsa_user_sgpr_dispatch_id 0
		.amdhsa_user_sgpr_private_segment_size 0
		.amdhsa_wavefront_size32 1
		.amdhsa_uses_dynamic_stack 0
		.amdhsa_enable_private_segment 0
		.amdhsa_system_sgpr_workgroup_id_x 1
		.amdhsa_system_sgpr_workgroup_id_y 0
		.amdhsa_system_sgpr_workgroup_id_z 0
		.amdhsa_system_sgpr_workgroup_info 0
		.amdhsa_system_vgpr_workitem_id 0
		.amdhsa_next_free_vgpr 1
		.amdhsa_next_free_sgpr 1
		.amdhsa_reserve_vcc 0
		.amdhsa_float_round_mode_32 0
		.amdhsa_float_round_mode_16_64 0
		.amdhsa_float_denorm_mode_32 3
		.amdhsa_float_denorm_mode_16_64 3
		.amdhsa_dx10_clamp 1
		.amdhsa_ieee_mode 1
		.amdhsa_fp16_overflow 0
		.amdhsa_workgroup_processor_mode 1
		.amdhsa_memory_ordered 1
		.amdhsa_forward_progress 0
		.amdhsa_shared_vgpr_count 0
		.amdhsa_exception_fp_ieee_invalid_op 0
		.amdhsa_exception_fp_denorm_src 0
		.amdhsa_exception_fp_ieee_div_zero 0
		.amdhsa_exception_fp_ieee_overflow 0
		.amdhsa_exception_fp_ieee_underflow 0
		.amdhsa_exception_fp_ieee_inexact 0
		.amdhsa_exception_int_div_zero 0
	.end_amdhsa_kernel
	.section	.text._ZN7rocprim17ROCPRIM_400000_NS6detail17trampoline_kernelINS0_14default_configENS1_27lower_bound_config_selectorIylEEZNS1_14transform_implILb0ES3_S5_N6thrust23THRUST_200600_302600_NS17counting_iteratorIyNS8_11use_defaultESA_SA_EEPlZNS1_13binary_searchIS3_S5_PySB_SC_NS1_21lower_bound_search_opENS8_6detail16wrapped_functionI11custom_lessbEEEE10hipError_tPvRmT1_T2_T3_mmT4_T5_P12ihipStream_tbEUlRKyE_EESK_SO_SP_mSQ_ST_bEUlT_E_NS1_11comp_targetILNS1_3genE2ELNS1_11target_archE906ELNS1_3gpuE6ELNS1_3repE0EEENS1_30default_config_static_selectorELNS0_4arch9wavefront6targetE0EEEvSN_,"axG",@progbits,_ZN7rocprim17ROCPRIM_400000_NS6detail17trampoline_kernelINS0_14default_configENS1_27lower_bound_config_selectorIylEEZNS1_14transform_implILb0ES3_S5_N6thrust23THRUST_200600_302600_NS17counting_iteratorIyNS8_11use_defaultESA_SA_EEPlZNS1_13binary_searchIS3_S5_PySB_SC_NS1_21lower_bound_search_opENS8_6detail16wrapped_functionI11custom_lessbEEEE10hipError_tPvRmT1_T2_T3_mmT4_T5_P12ihipStream_tbEUlRKyE_EESK_SO_SP_mSQ_ST_bEUlT_E_NS1_11comp_targetILNS1_3genE2ELNS1_11target_archE906ELNS1_3gpuE6ELNS1_3repE0EEENS1_30default_config_static_selectorELNS0_4arch9wavefront6targetE0EEEvSN_,comdat
.Lfunc_end29:
	.size	_ZN7rocprim17ROCPRIM_400000_NS6detail17trampoline_kernelINS0_14default_configENS1_27lower_bound_config_selectorIylEEZNS1_14transform_implILb0ES3_S5_N6thrust23THRUST_200600_302600_NS17counting_iteratorIyNS8_11use_defaultESA_SA_EEPlZNS1_13binary_searchIS3_S5_PySB_SC_NS1_21lower_bound_search_opENS8_6detail16wrapped_functionI11custom_lessbEEEE10hipError_tPvRmT1_T2_T3_mmT4_T5_P12ihipStream_tbEUlRKyE_EESK_SO_SP_mSQ_ST_bEUlT_E_NS1_11comp_targetILNS1_3genE2ELNS1_11target_archE906ELNS1_3gpuE6ELNS1_3repE0EEENS1_30default_config_static_selectorELNS0_4arch9wavefront6targetE0EEEvSN_, .Lfunc_end29-_ZN7rocprim17ROCPRIM_400000_NS6detail17trampoline_kernelINS0_14default_configENS1_27lower_bound_config_selectorIylEEZNS1_14transform_implILb0ES3_S5_N6thrust23THRUST_200600_302600_NS17counting_iteratorIyNS8_11use_defaultESA_SA_EEPlZNS1_13binary_searchIS3_S5_PySB_SC_NS1_21lower_bound_search_opENS8_6detail16wrapped_functionI11custom_lessbEEEE10hipError_tPvRmT1_T2_T3_mmT4_T5_P12ihipStream_tbEUlRKyE_EESK_SO_SP_mSQ_ST_bEUlT_E_NS1_11comp_targetILNS1_3genE2ELNS1_11target_archE906ELNS1_3gpuE6ELNS1_3repE0EEENS1_30default_config_static_selectorELNS0_4arch9wavefront6targetE0EEEvSN_
                                        ; -- End function
	.section	.AMDGPU.csdata,"",@progbits
; Kernel info:
; codeLenInByte = 0
; NumSgprs: 0
; NumVgprs: 0
; ScratchSize: 0
; MemoryBound: 0
; FloatMode: 240
; IeeeMode: 1
; LDSByteSize: 0 bytes/workgroup (compile time only)
; SGPRBlocks: 0
; VGPRBlocks: 0
; NumSGPRsForWavesPerEU: 1
; NumVGPRsForWavesPerEU: 1
; Occupancy: 16
; WaveLimiterHint : 0
; COMPUTE_PGM_RSRC2:SCRATCH_EN: 0
; COMPUTE_PGM_RSRC2:USER_SGPR: 15
; COMPUTE_PGM_RSRC2:TRAP_HANDLER: 0
; COMPUTE_PGM_RSRC2:TGID_X_EN: 1
; COMPUTE_PGM_RSRC2:TGID_Y_EN: 0
; COMPUTE_PGM_RSRC2:TGID_Z_EN: 0
; COMPUTE_PGM_RSRC2:TIDIG_COMP_CNT: 0
	.section	.text._ZN7rocprim17ROCPRIM_400000_NS6detail17trampoline_kernelINS0_14default_configENS1_27lower_bound_config_selectorIylEEZNS1_14transform_implILb0ES3_S5_N6thrust23THRUST_200600_302600_NS17counting_iteratorIyNS8_11use_defaultESA_SA_EEPlZNS1_13binary_searchIS3_S5_PySB_SC_NS1_21lower_bound_search_opENS8_6detail16wrapped_functionI11custom_lessbEEEE10hipError_tPvRmT1_T2_T3_mmT4_T5_P12ihipStream_tbEUlRKyE_EESK_SO_SP_mSQ_ST_bEUlT_E_NS1_11comp_targetILNS1_3genE10ELNS1_11target_archE1201ELNS1_3gpuE5ELNS1_3repE0EEENS1_30default_config_static_selectorELNS0_4arch9wavefront6targetE0EEEvSN_,"axG",@progbits,_ZN7rocprim17ROCPRIM_400000_NS6detail17trampoline_kernelINS0_14default_configENS1_27lower_bound_config_selectorIylEEZNS1_14transform_implILb0ES3_S5_N6thrust23THRUST_200600_302600_NS17counting_iteratorIyNS8_11use_defaultESA_SA_EEPlZNS1_13binary_searchIS3_S5_PySB_SC_NS1_21lower_bound_search_opENS8_6detail16wrapped_functionI11custom_lessbEEEE10hipError_tPvRmT1_T2_T3_mmT4_T5_P12ihipStream_tbEUlRKyE_EESK_SO_SP_mSQ_ST_bEUlT_E_NS1_11comp_targetILNS1_3genE10ELNS1_11target_archE1201ELNS1_3gpuE5ELNS1_3repE0EEENS1_30default_config_static_selectorELNS0_4arch9wavefront6targetE0EEEvSN_,comdat
	.protected	_ZN7rocprim17ROCPRIM_400000_NS6detail17trampoline_kernelINS0_14default_configENS1_27lower_bound_config_selectorIylEEZNS1_14transform_implILb0ES3_S5_N6thrust23THRUST_200600_302600_NS17counting_iteratorIyNS8_11use_defaultESA_SA_EEPlZNS1_13binary_searchIS3_S5_PySB_SC_NS1_21lower_bound_search_opENS8_6detail16wrapped_functionI11custom_lessbEEEE10hipError_tPvRmT1_T2_T3_mmT4_T5_P12ihipStream_tbEUlRKyE_EESK_SO_SP_mSQ_ST_bEUlT_E_NS1_11comp_targetILNS1_3genE10ELNS1_11target_archE1201ELNS1_3gpuE5ELNS1_3repE0EEENS1_30default_config_static_selectorELNS0_4arch9wavefront6targetE0EEEvSN_ ; -- Begin function _ZN7rocprim17ROCPRIM_400000_NS6detail17trampoline_kernelINS0_14default_configENS1_27lower_bound_config_selectorIylEEZNS1_14transform_implILb0ES3_S5_N6thrust23THRUST_200600_302600_NS17counting_iteratorIyNS8_11use_defaultESA_SA_EEPlZNS1_13binary_searchIS3_S5_PySB_SC_NS1_21lower_bound_search_opENS8_6detail16wrapped_functionI11custom_lessbEEEE10hipError_tPvRmT1_T2_T3_mmT4_T5_P12ihipStream_tbEUlRKyE_EESK_SO_SP_mSQ_ST_bEUlT_E_NS1_11comp_targetILNS1_3genE10ELNS1_11target_archE1201ELNS1_3gpuE5ELNS1_3repE0EEENS1_30default_config_static_selectorELNS0_4arch9wavefront6targetE0EEEvSN_
	.globl	_ZN7rocprim17ROCPRIM_400000_NS6detail17trampoline_kernelINS0_14default_configENS1_27lower_bound_config_selectorIylEEZNS1_14transform_implILb0ES3_S5_N6thrust23THRUST_200600_302600_NS17counting_iteratorIyNS8_11use_defaultESA_SA_EEPlZNS1_13binary_searchIS3_S5_PySB_SC_NS1_21lower_bound_search_opENS8_6detail16wrapped_functionI11custom_lessbEEEE10hipError_tPvRmT1_T2_T3_mmT4_T5_P12ihipStream_tbEUlRKyE_EESK_SO_SP_mSQ_ST_bEUlT_E_NS1_11comp_targetILNS1_3genE10ELNS1_11target_archE1201ELNS1_3gpuE5ELNS1_3repE0EEENS1_30default_config_static_selectorELNS0_4arch9wavefront6targetE0EEEvSN_
	.p2align	8
	.type	_ZN7rocprim17ROCPRIM_400000_NS6detail17trampoline_kernelINS0_14default_configENS1_27lower_bound_config_selectorIylEEZNS1_14transform_implILb0ES3_S5_N6thrust23THRUST_200600_302600_NS17counting_iteratorIyNS8_11use_defaultESA_SA_EEPlZNS1_13binary_searchIS3_S5_PySB_SC_NS1_21lower_bound_search_opENS8_6detail16wrapped_functionI11custom_lessbEEEE10hipError_tPvRmT1_T2_T3_mmT4_T5_P12ihipStream_tbEUlRKyE_EESK_SO_SP_mSQ_ST_bEUlT_E_NS1_11comp_targetILNS1_3genE10ELNS1_11target_archE1201ELNS1_3gpuE5ELNS1_3repE0EEENS1_30default_config_static_selectorELNS0_4arch9wavefront6targetE0EEEvSN_,@function
_ZN7rocprim17ROCPRIM_400000_NS6detail17trampoline_kernelINS0_14default_configENS1_27lower_bound_config_selectorIylEEZNS1_14transform_implILb0ES3_S5_N6thrust23THRUST_200600_302600_NS17counting_iteratorIyNS8_11use_defaultESA_SA_EEPlZNS1_13binary_searchIS3_S5_PySB_SC_NS1_21lower_bound_search_opENS8_6detail16wrapped_functionI11custom_lessbEEEE10hipError_tPvRmT1_T2_T3_mmT4_T5_P12ihipStream_tbEUlRKyE_EESK_SO_SP_mSQ_ST_bEUlT_E_NS1_11comp_targetILNS1_3genE10ELNS1_11target_archE1201ELNS1_3gpuE5ELNS1_3repE0EEENS1_30default_config_static_selectorELNS0_4arch9wavefront6targetE0EEEvSN_: ; @_ZN7rocprim17ROCPRIM_400000_NS6detail17trampoline_kernelINS0_14default_configENS1_27lower_bound_config_selectorIylEEZNS1_14transform_implILb0ES3_S5_N6thrust23THRUST_200600_302600_NS17counting_iteratorIyNS8_11use_defaultESA_SA_EEPlZNS1_13binary_searchIS3_S5_PySB_SC_NS1_21lower_bound_search_opENS8_6detail16wrapped_functionI11custom_lessbEEEE10hipError_tPvRmT1_T2_T3_mmT4_T5_P12ihipStream_tbEUlRKyE_EESK_SO_SP_mSQ_ST_bEUlT_E_NS1_11comp_targetILNS1_3genE10ELNS1_11target_archE1201ELNS1_3gpuE5ELNS1_3repE0EEENS1_30default_config_static_selectorELNS0_4arch9wavefront6targetE0EEEvSN_
; %bb.0:
	.section	.rodata,"a",@progbits
	.p2align	6, 0x0
	.amdhsa_kernel _ZN7rocprim17ROCPRIM_400000_NS6detail17trampoline_kernelINS0_14default_configENS1_27lower_bound_config_selectorIylEEZNS1_14transform_implILb0ES3_S5_N6thrust23THRUST_200600_302600_NS17counting_iteratorIyNS8_11use_defaultESA_SA_EEPlZNS1_13binary_searchIS3_S5_PySB_SC_NS1_21lower_bound_search_opENS8_6detail16wrapped_functionI11custom_lessbEEEE10hipError_tPvRmT1_T2_T3_mmT4_T5_P12ihipStream_tbEUlRKyE_EESK_SO_SP_mSQ_ST_bEUlT_E_NS1_11comp_targetILNS1_3genE10ELNS1_11target_archE1201ELNS1_3gpuE5ELNS1_3repE0EEENS1_30default_config_static_selectorELNS0_4arch9wavefront6targetE0EEEvSN_
		.amdhsa_group_segment_fixed_size 0
		.amdhsa_private_segment_fixed_size 0
		.amdhsa_kernarg_size 56
		.amdhsa_user_sgpr_count 15
		.amdhsa_user_sgpr_dispatch_ptr 0
		.amdhsa_user_sgpr_queue_ptr 0
		.amdhsa_user_sgpr_kernarg_segment_ptr 1
		.amdhsa_user_sgpr_dispatch_id 0
		.amdhsa_user_sgpr_private_segment_size 0
		.amdhsa_wavefront_size32 1
		.amdhsa_uses_dynamic_stack 0
		.amdhsa_enable_private_segment 0
		.amdhsa_system_sgpr_workgroup_id_x 1
		.amdhsa_system_sgpr_workgroup_id_y 0
		.amdhsa_system_sgpr_workgroup_id_z 0
		.amdhsa_system_sgpr_workgroup_info 0
		.amdhsa_system_vgpr_workitem_id 0
		.amdhsa_next_free_vgpr 1
		.amdhsa_next_free_sgpr 1
		.amdhsa_reserve_vcc 0
		.amdhsa_float_round_mode_32 0
		.amdhsa_float_round_mode_16_64 0
		.amdhsa_float_denorm_mode_32 3
		.amdhsa_float_denorm_mode_16_64 3
		.amdhsa_dx10_clamp 1
		.amdhsa_ieee_mode 1
		.amdhsa_fp16_overflow 0
		.amdhsa_workgroup_processor_mode 1
		.amdhsa_memory_ordered 1
		.amdhsa_forward_progress 0
		.amdhsa_shared_vgpr_count 0
		.amdhsa_exception_fp_ieee_invalid_op 0
		.amdhsa_exception_fp_denorm_src 0
		.amdhsa_exception_fp_ieee_div_zero 0
		.amdhsa_exception_fp_ieee_overflow 0
		.amdhsa_exception_fp_ieee_underflow 0
		.amdhsa_exception_fp_ieee_inexact 0
		.amdhsa_exception_int_div_zero 0
	.end_amdhsa_kernel
	.section	.text._ZN7rocprim17ROCPRIM_400000_NS6detail17trampoline_kernelINS0_14default_configENS1_27lower_bound_config_selectorIylEEZNS1_14transform_implILb0ES3_S5_N6thrust23THRUST_200600_302600_NS17counting_iteratorIyNS8_11use_defaultESA_SA_EEPlZNS1_13binary_searchIS3_S5_PySB_SC_NS1_21lower_bound_search_opENS8_6detail16wrapped_functionI11custom_lessbEEEE10hipError_tPvRmT1_T2_T3_mmT4_T5_P12ihipStream_tbEUlRKyE_EESK_SO_SP_mSQ_ST_bEUlT_E_NS1_11comp_targetILNS1_3genE10ELNS1_11target_archE1201ELNS1_3gpuE5ELNS1_3repE0EEENS1_30default_config_static_selectorELNS0_4arch9wavefront6targetE0EEEvSN_,"axG",@progbits,_ZN7rocprim17ROCPRIM_400000_NS6detail17trampoline_kernelINS0_14default_configENS1_27lower_bound_config_selectorIylEEZNS1_14transform_implILb0ES3_S5_N6thrust23THRUST_200600_302600_NS17counting_iteratorIyNS8_11use_defaultESA_SA_EEPlZNS1_13binary_searchIS3_S5_PySB_SC_NS1_21lower_bound_search_opENS8_6detail16wrapped_functionI11custom_lessbEEEE10hipError_tPvRmT1_T2_T3_mmT4_T5_P12ihipStream_tbEUlRKyE_EESK_SO_SP_mSQ_ST_bEUlT_E_NS1_11comp_targetILNS1_3genE10ELNS1_11target_archE1201ELNS1_3gpuE5ELNS1_3repE0EEENS1_30default_config_static_selectorELNS0_4arch9wavefront6targetE0EEEvSN_,comdat
.Lfunc_end30:
	.size	_ZN7rocprim17ROCPRIM_400000_NS6detail17trampoline_kernelINS0_14default_configENS1_27lower_bound_config_selectorIylEEZNS1_14transform_implILb0ES3_S5_N6thrust23THRUST_200600_302600_NS17counting_iteratorIyNS8_11use_defaultESA_SA_EEPlZNS1_13binary_searchIS3_S5_PySB_SC_NS1_21lower_bound_search_opENS8_6detail16wrapped_functionI11custom_lessbEEEE10hipError_tPvRmT1_T2_T3_mmT4_T5_P12ihipStream_tbEUlRKyE_EESK_SO_SP_mSQ_ST_bEUlT_E_NS1_11comp_targetILNS1_3genE10ELNS1_11target_archE1201ELNS1_3gpuE5ELNS1_3repE0EEENS1_30default_config_static_selectorELNS0_4arch9wavefront6targetE0EEEvSN_, .Lfunc_end30-_ZN7rocprim17ROCPRIM_400000_NS6detail17trampoline_kernelINS0_14default_configENS1_27lower_bound_config_selectorIylEEZNS1_14transform_implILb0ES3_S5_N6thrust23THRUST_200600_302600_NS17counting_iteratorIyNS8_11use_defaultESA_SA_EEPlZNS1_13binary_searchIS3_S5_PySB_SC_NS1_21lower_bound_search_opENS8_6detail16wrapped_functionI11custom_lessbEEEE10hipError_tPvRmT1_T2_T3_mmT4_T5_P12ihipStream_tbEUlRKyE_EESK_SO_SP_mSQ_ST_bEUlT_E_NS1_11comp_targetILNS1_3genE10ELNS1_11target_archE1201ELNS1_3gpuE5ELNS1_3repE0EEENS1_30default_config_static_selectorELNS0_4arch9wavefront6targetE0EEEvSN_
                                        ; -- End function
	.section	.AMDGPU.csdata,"",@progbits
; Kernel info:
; codeLenInByte = 0
; NumSgprs: 0
; NumVgprs: 0
; ScratchSize: 0
; MemoryBound: 0
; FloatMode: 240
; IeeeMode: 1
; LDSByteSize: 0 bytes/workgroup (compile time only)
; SGPRBlocks: 0
; VGPRBlocks: 0
; NumSGPRsForWavesPerEU: 1
; NumVGPRsForWavesPerEU: 1
; Occupancy: 16
; WaveLimiterHint : 0
; COMPUTE_PGM_RSRC2:SCRATCH_EN: 0
; COMPUTE_PGM_RSRC2:USER_SGPR: 15
; COMPUTE_PGM_RSRC2:TRAP_HANDLER: 0
; COMPUTE_PGM_RSRC2:TGID_X_EN: 1
; COMPUTE_PGM_RSRC2:TGID_Y_EN: 0
; COMPUTE_PGM_RSRC2:TGID_Z_EN: 0
; COMPUTE_PGM_RSRC2:TIDIG_COMP_CNT: 0
	.section	.text._ZN7rocprim17ROCPRIM_400000_NS6detail17trampoline_kernelINS0_14default_configENS1_27lower_bound_config_selectorIylEEZNS1_14transform_implILb0ES3_S5_N6thrust23THRUST_200600_302600_NS17counting_iteratorIyNS8_11use_defaultESA_SA_EEPlZNS1_13binary_searchIS3_S5_PySB_SC_NS1_21lower_bound_search_opENS8_6detail16wrapped_functionI11custom_lessbEEEE10hipError_tPvRmT1_T2_T3_mmT4_T5_P12ihipStream_tbEUlRKyE_EESK_SO_SP_mSQ_ST_bEUlT_E_NS1_11comp_targetILNS1_3genE10ELNS1_11target_archE1200ELNS1_3gpuE4ELNS1_3repE0EEENS1_30default_config_static_selectorELNS0_4arch9wavefront6targetE0EEEvSN_,"axG",@progbits,_ZN7rocprim17ROCPRIM_400000_NS6detail17trampoline_kernelINS0_14default_configENS1_27lower_bound_config_selectorIylEEZNS1_14transform_implILb0ES3_S5_N6thrust23THRUST_200600_302600_NS17counting_iteratorIyNS8_11use_defaultESA_SA_EEPlZNS1_13binary_searchIS3_S5_PySB_SC_NS1_21lower_bound_search_opENS8_6detail16wrapped_functionI11custom_lessbEEEE10hipError_tPvRmT1_T2_T3_mmT4_T5_P12ihipStream_tbEUlRKyE_EESK_SO_SP_mSQ_ST_bEUlT_E_NS1_11comp_targetILNS1_3genE10ELNS1_11target_archE1200ELNS1_3gpuE4ELNS1_3repE0EEENS1_30default_config_static_selectorELNS0_4arch9wavefront6targetE0EEEvSN_,comdat
	.protected	_ZN7rocprim17ROCPRIM_400000_NS6detail17trampoline_kernelINS0_14default_configENS1_27lower_bound_config_selectorIylEEZNS1_14transform_implILb0ES3_S5_N6thrust23THRUST_200600_302600_NS17counting_iteratorIyNS8_11use_defaultESA_SA_EEPlZNS1_13binary_searchIS3_S5_PySB_SC_NS1_21lower_bound_search_opENS8_6detail16wrapped_functionI11custom_lessbEEEE10hipError_tPvRmT1_T2_T3_mmT4_T5_P12ihipStream_tbEUlRKyE_EESK_SO_SP_mSQ_ST_bEUlT_E_NS1_11comp_targetILNS1_3genE10ELNS1_11target_archE1200ELNS1_3gpuE4ELNS1_3repE0EEENS1_30default_config_static_selectorELNS0_4arch9wavefront6targetE0EEEvSN_ ; -- Begin function _ZN7rocprim17ROCPRIM_400000_NS6detail17trampoline_kernelINS0_14default_configENS1_27lower_bound_config_selectorIylEEZNS1_14transform_implILb0ES3_S5_N6thrust23THRUST_200600_302600_NS17counting_iteratorIyNS8_11use_defaultESA_SA_EEPlZNS1_13binary_searchIS3_S5_PySB_SC_NS1_21lower_bound_search_opENS8_6detail16wrapped_functionI11custom_lessbEEEE10hipError_tPvRmT1_T2_T3_mmT4_T5_P12ihipStream_tbEUlRKyE_EESK_SO_SP_mSQ_ST_bEUlT_E_NS1_11comp_targetILNS1_3genE10ELNS1_11target_archE1200ELNS1_3gpuE4ELNS1_3repE0EEENS1_30default_config_static_selectorELNS0_4arch9wavefront6targetE0EEEvSN_
	.globl	_ZN7rocprim17ROCPRIM_400000_NS6detail17trampoline_kernelINS0_14default_configENS1_27lower_bound_config_selectorIylEEZNS1_14transform_implILb0ES3_S5_N6thrust23THRUST_200600_302600_NS17counting_iteratorIyNS8_11use_defaultESA_SA_EEPlZNS1_13binary_searchIS3_S5_PySB_SC_NS1_21lower_bound_search_opENS8_6detail16wrapped_functionI11custom_lessbEEEE10hipError_tPvRmT1_T2_T3_mmT4_T5_P12ihipStream_tbEUlRKyE_EESK_SO_SP_mSQ_ST_bEUlT_E_NS1_11comp_targetILNS1_3genE10ELNS1_11target_archE1200ELNS1_3gpuE4ELNS1_3repE0EEENS1_30default_config_static_selectorELNS0_4arch9wavefront6targetE0EEEvSN_
	.p2align	8
	.type	_ZN7rocprim17ROCPRIM_400000_NS6detail17trampoline_kernelINS0_14default_configENS1_27lower_bound_config_selectorIylEEZNS1_14transform_implILb0ES3_S5_N6thrust23THRUST_200600_302600_NS17counting_iteratorIyNS8_11use_defaultESA_SA_EEPlZNS1_13binary_searchIS3_S5_PySB_SC_NS1_21lower_bound_search_opENS8_6detail16wrapped_functionI11custom_lessbEEEE10hipError_tPvRmT1_T2_T3_mmT4_T5_P12ihipStream_tbEUlRKyE_EESK_SO_SP_mSQ_ST_bEUlT_E_NS1_11comp_targetILNS1_3genE10ELNS1_11target_archE1200ELNS1_3gpuE4ELNS1_3repE0EEENS1_30default_config_static_selectorELNS0_4arch9wavefront6targetE0EEEvSN_,@function
_ZN7rocprim17ROCPRIM_400000_NS6detail17trampoline_kernelINS0_14default_configENS1_27lower_bound_config_selectorIylEEZNS1_14transform_implILb0ES3_S5_N6thrust23THRUST_200600_302600_NS17counting_iteratorIyNS8_11use_defaultESA_SA_EEPlZNS1_13binary_searchIS3_S5_PySB_SC_NS1_21lower_bound_search_opENS8_6detail16wrapped_functionI11custom_lessbEEEE10hipError_tPvRmT1_T2_T3_mmT4_T5_P12ihipStream_tbEUlRKyE_EESK_SO_SP_mSQ_ST_bEUlT_E_NS1_11comp_targetILNS1_3genE10ELNS1_11target_archE1200ELNS1_3gpuE4ELNS1_3repE0EEENS1_30default_config_static_selectorELNS0_4arch9wavefront6targetE0EEEvSN_: ; @_ZN7rocprim17ROCPRIM_400000_NS6detail17trampoline_kernelINS0_14default_configENS1_27lower_bound_config_selectorIylEEZNS1_14transform_implILb0ES3_S5_N6thrust23THRUST_200600_302600_NS17counting_iteratorIyNS8_11use_defaultESA_SA_EEPlZNS1_13binary_searchIS3_S5_PySB_SC_NS1_21lower_bound_search_opENS8_6detail16wrapped_functionI11custom_lessbEEEE10hipError_tPvRmT1_T2_T3_mmT4_T5_P12ihipStream_tbEUlRKyE_EESK_SO_SP_mSQ_ST_bEUlT_E_NS1_11comp_targetILNS1_3genE10ELNS1_11target_archE1200ELNS1_3gpuE4ELNS1_3repE0EEENS1_30default_config_static_selectorELNS0_4arch9wavefront6targetE0EEEvSN_
; %bb.0:
	.section	.rodata,"a",@progbits
	.p2align	6, 0x0
	.amdhsa_kernel _ZN7rocprim17ROCPRIM_400000_NS6detail17trampoline_kernelINS0_14default_configENS1_27lower_bound_config_selectorIylEEZNS1_14transform_implILb0ES3_S5_N6thrust23THRUST_200600_302600_NS17counting_iteratorIyNS8_11use_defaultESA_SA_EEPlZNS1_13binary_searchIS3_S5_PySB_SC_NS1_21lower_bound_search_opENS8_6detail16wrapped_functionI11custom_lessbEEEE10hipError_tPvRmT1_T2_T3_mmT4_T5_P12ihipStream_tbEUlRKyE_EESK_SO_SP_mSQ_ST_bEUlT_E_NS1_11comp_targetILNS1_3genE10ELNS1_11target_archE1200ELNS1_3gpuE4ELNS1_3repE0EEENS1_30default_config_static_selectorELNS0_4arch9wavefront6targetE0EEEvSN_
		.amdhsa_group_segment_fixed_size 0
		.amdhsa_private_segment_fixed_size 0
		.amdhsa_kernarg_size 56
		.amdhsa_user_sgpr_count 15
		.amdhsa_user_sgpr_dispatch_ptr 0
		.amdhsa_user_sgpr_queue_ptr 0
		.amdhsa_user_sgpr_kernarg_segment_ptr 1
		.amdhsa_user_sgpr_dispatch_id 0
		.amdhsa_user_sgpr_private_segment_size 0
		.amdhsa_wavefront_size32 1
		.amdhsa_uses_dynamic_stack 0
		.amdhsa_enable_private_segment 0
		.amdhsa_system_sgpr_workgroup_id_x 1
		.amdhsa_system_sgpr_workgroup_id_y 0
		.amdhsa_system_sgpr_workgroup_id_z 0
		.amdhsa_system_sgpr_workgroup_info 0
		.amdhsa_system_vgpr_workitem_id 0
		.amdhsa_next_free_vgpr 1
		.amdhsa_next_free_sgpr 1
		.amdhsa_reserve_vcc 0
		.amdhsa_float_round_mode_32 0
		.amdhsa_float_round_mode_16_64 0
		.amdhsa_float_denorm_mode_32 3
		.amdhsa_float_denorm_mode_16_64 3
		.amdhsa_dx10_clamp 1
		.amdhsa_ieee_mode 1
		.amdhsa_fp16_overflow 0
		.amdhsa_workgroup_processor_mode 1
		.amdhsa_memory_ordered 1
		.amdhsa_forward_progress 0
		.amdhsa_shared_vgpr_count 0
		.amdhsa_exception_fp_ieee_invalid_op 0
		.amdhsa_exception_fp_denorm_src 0
		.amdhsa_exception_fp_ieee_div_zero 0
		.amdhsa_exception_fp_ieee_overflow 0
		.amdhsa_exception_fp_ieee_underflow 0
		.amdhsa_exception_fp_ieee_inexact 0
		.amdhsa_exception_int_div_zero 0
	.end_amdhsa_kernel
	.section	.text._ZN7rocprim17ROCPRIM_400000_NS6detail17trampoline_kernelINS0_14default_configENS1_27lower_bound_config_selectorIylEEZNS1_14transform_implILb0ES3_S5_N6thrust23THRUST_200600_302600_NS17counting_iteratorIyNS8_11use_defaultESA_SA_EEPlZNS1_13binary_searchIS3_S5_PySB_SC_NS1_21lower_bound_search_opENS8_6detail16wrapped_functionI11custom_lessbEEEE10hipError_tPvRmT1_T2_T3_mmT4_T5_P12ihipStream_tbEUlRKyE_EESK_SO_SP_mSQ_ST_bEUlT_E_NS1_11comp_targetILNS1_3genE10ELNS1_11target_archE1200ELNS1_3gpuE4ELNS1_3repE0EEENS1_30default_config_static_selectorELNS0_4arch9wavefront6targetE0EEEvSN_,"axG",@progbits,_ZN7rocprim17ROCPRIM_400000_NS6detail17trampoline_kernelINS0_14default_configENS1_27lower_bound_config_selectorIylEEZNS1_14transform_implILb0ES3_S5_N6thrust23THRUST_200600_302600_NS17counting_iteratorIyNS8_11use_defaultESA_SA_EEPlZNS1_13binary_searchIS3_S5_PySB_SC_NS1_21lower_bound_search_opENS8_6detail16wrapped_functionI11custom_lessbEEEE10hipError_tPvRmT1_T2_T3_mmT4_T5_P12ihipStream_tbEUlRKyE_EESK_SO_SP_mSQ_ST_bEUlT_E_NS1_11comp_targetILNS1_3genE10ELNS1_11target_archE1200ELNS1_3gpuE4ELNS1_3repE0EEENS1_30default_config_static_selectorELNS0_4arch9wavefront6targetE0EEEvSN_,comdat
.Lfunc_end31:
	.size	_ZN7rocprim17ROCPRIM_400000_NS6detail17trampoline_kernelINS0_14default_configENS1_27lower_bound_config_selectorIylEEZNS1_14transform_implILb0ES3_S5_N6thrust23THRUST_200600_302600_NS17counting_iteratorIyNS8_11use_defaultESA_SA_EEPlZNS1_13binary_searchIS3_S5_PySB_SC_NS1_21lower_bound_search_opENS8_6detail16wrapped_functionI11custom_lessbEEEE10hipError_tPvRmT1_T2_T3_mmT4_T5_P12ihipStream_tbEUlRKyE_EESK_SO_SP_mSQ_ST_bEUlT_E_NS1_11comp_targetILNS1_3genE10ELNS1_11target_archE1200ELNS1_3gpuE4ELNS1_3repE0EEENS1_30default_config_static_selectorELNS0_4arch9wavefront6targetE0EEEvSN_, .Lfunc_end31-_ZN7rocprim17ROCPRIM_400000_NS6detail17trampoline_kernelINS0_14default_configENS1_27lower_bound_config_selectorIylEEZNS1_14transform_implILb0ES3_S5_N6thrust23THRUST_200600_302600_NS17counting_iteratorIyNS8_11use_defaultESA_SA_EEPlZNS1_13binary_searchIS3_S5_PySB_SC_NS1_21lower_bound_search_opENS8_6detail16wrapped_functionI11custom_lessbEEEE10hipError_tPvRmT1_T2_T3_mmT4_T5_P12ihipStream_tbEUlRKyE_EESK_SO_SP_mSQ_ST_bEUlT_E_NS1_11comp_targetILNS1_3genE10ELNS1_11target_archE1200ELNS1_3gpuE4ELNS1_3repE0EEENS1_30default_config_static_selectorELNS0_4arch9wavefront6targetE0EEEvSN_
                                        ; -- End function
	.section	.AMDGPU.csdata,"",@progbits
; Kernel info:
; codeLenInByte = 0
; NumSgprs: 0
; NumVgprs: 0
; ScratchSize: 0
; MemoryBound: 0
; FloatMode: 240
; IeeeMode: 1
; LDSByteSize: 0 bytes/workgroup (compile time only)
; SGPRBlocks: 0
; VGPRBlocks: 0
; NumSGPRsForWavesPerEU: 1
; NumVGPRsForWavesPerEU: 1
; Occupancy: 16
; WaveLimiterHint : 0
; COMPUTE_PGM_RSRC2:SCRATCH_EN: 0
; COMPUTE_PGM_RSRC2:USER_SGPR: 15
; COMPUTE_PGM_RSRC2:TRAP_HANDLER: 0
; COMPUTE_PGM_RSRC2:TGID_X_EN: 1
; COMPUTE_PGM_RSRC2:TGID_Y_EN: 0
; COMPUTE_PGM_RSRC2:TGID_Z_EN: 0
; COMPUTE_PGM_RSRC2:TIDIG_COMP_CNT: 0
	.section	.text._ZN7rocprim17ROCPRIM_400000_NS6detail17trampoline_kernelINS0_14default_configENS1_27lower_bound_config_selectorIylEEZNS1_14transform_implILb0ES3_S5_N6thrust23THRUST_200600_302600_NS17counting_iteratorIyNS8_11use_defaultESA_SA_EEPlZNS1_13binary_searchIS3_S5_PySB_SC_NS1_21lower_bound_search_opENS8_6detail16wrapped_functionI11custom_lessbEEEE10hipError_tPvRmT1_T2_T3_mmT4_T5_P12ihipStream_tbEUlRKyE_EESK_SO_SP_mSQ_ST_bEUlT_E_NS1_11comp_targetILNS1_3genE9ELNS1_11target_archE1100ELNS1_3gpuE3ELNS1_3repE0EEENS1_30default_config_static_selectorELNS0_4arch9wavefront6targetE0EEEvSN_,"axG",@progbits,_ZN7rocprim17ROCPRIM_400000_NS6detail17trampoline_kernelINS0_14default_configENS1_27lower_bound_config_selectorIylEEZNS1_14transform_implILb0ES3_S5_N6thrust23THRUST_200600_302600_NS17counting_iteratorIyNS8_11use_defaultESA_SA_EEPlZNS1_13binary_searchIS3_S5_PySB_SC_NS1_21lower_bound_search_opENS8_6detail16wrapped_functionI11custom_lessbEEEE10hipError_tPvRmT1_T2_T3_mmT4_T5_P12ihipStream_tbEUlRKyE_EESK_SO_SP_mSQ_ST_bEUlT_E_NS1_11comp_targetILNS1_3genE9ELNS1_11target_archE1100ELNS1_3gpuE3ELNS1_3repE0EEENS1_30default_config_static_selectorELNS0_4arch9wavefront6targetE0EEEvSN_,comdat
	.protected	_ZN7rocprim17ROCPRIM_400000_NS6detail17trampoline_kernelINS0_14default_configENS1_27lower_bound_config_selectorIylEEZNS1_14transform_implILb0ES3_S5_N6thrust23THRUST_200600_302600_NS17counting_iteratorIyNS8_11use_defaultESA_SA_EEPlZNS1_13binary_searchIS3_S5_PySB_SC_NS1_21lower_bound_search_opENS8_6detail16wrapped_functionI11custom_lessbEEEE10hipError_tPvRmT1_T2_T3_mmT4_T5_P12ihipStream_tbEUlRKyE_EESK_SO_SP_mSQ_ST_bEUlT_E_NS1_11comp_targetILNS1_3genE9ELNS1_11target_archE1100ELNS1_3gpuE3ELNS1_3repE0EEENS1_30default_config_static_selectorELNS0_4arch9wavefront6targetE0EEEvSN_ ; -- Begin function _ZN7rocprim17ROCPRIM_400000_NS6detail17trampoline_kernelINS0_14default_configENS1_27lower_bound_config_selectorIylEEZNS1_14transform_implILb0ES3_S5_N6thrust23THRUST_200600_302600_NS17counting_iteratorIyNS8_11use_defaultESA_SA_EEPlZNS1_13binary_searchIS3_S5_PySB_SC_NS1_21lower_bound_search_opENS8_6detail16wrapped_functionI11custom_lessbEEEE10hipError_tPvRmT1_T2_T3_mmT4_T5_P12ihipStream_tbEUlRKyE_EESK_SO_SP_mSQ_ST_bEUlT_E_NS1_11comp_targetILNS1_3genE9ELNS1_11target_archE1100ELNS1_3gpuE3ELNS1_3repE0EEENS1_30default_config_static_selectorELNS0_4arch9wavefront6targetE0EEEvSN_
	.globl	_ZN7rocprim17ROCPRIM_400000_NS6detail17trampoline_kernelINS0_14default_configENS1_27lower_bound_config_selectorIylEEZNS1_14transform_implILb0ES3_S5_N6thrust23THRUST_200600_302600_NS17counting_iteratorIyNS8_11use_defaultESA_SA_EEPlZNS1_13binary_searchIS3_S5_PySB_SC_NS1_21lower_bound_search_opENS8_6detail16wrapped_functionI11custom_lessbEEEE10hipError_tPvRmT1_T2_T3_mmT4_T5_P12ihipStream_tbEUlRKyE_EESK_SO_SP_mSQ_ST_bEUlT_E_NS1_11comp_targetILNS1_3genE9ELNS1_11target_archE1100ELNS1_3gpuE3ELNS1_3repE0EEENS1_30default_config_static_selectorELNS0_4arch9wavefront6targetE0EEEvSN_
	.p2align	8
	.type	_ZN7rocprim17ROCPRIM_400000_NS6detail17trampoline_kernelINS0_14default_configENS1_27lower_bound_config_selectorIylEEZNS1_14transform_implILb0ES3_S5_N6thrust23THRUST_200600_302600_NS17counting_iteratorIyNS8_11use_defaultESA_SA_EEPlZNS1_13binary_searchIS3_S5_PySB_SC_NS1_21lower_bound_search_opENS8_6detail16wrapped_functionI11custom_lessbEEEE10hipError_tPvRmT1_T2_T3_mmT4_T5_P12ihipStream_tbEUlRKyE_EESK_SO_SP_mSQ_ST_bEUlT_E_NS1_11comp_targetILNS1_3genE9ELNS1_11target_archE1100ELNS1_3gpuE3ELNS1_3repE0EEENS1_30default_config_static_selectorELNS0_4arch9wavefront6targetE0EEEvSN_,@function
_ZN7rocprim17ROCPRIM_400000_NS6detail17trampoline_kernelINS0_14default_configENS1_27lower_bound_config_selectorIylEEZNS1_14transform_implILb0ES3_S5_N6thrust23THRUST_200600_302600_NS17counting_iteratorIyNS8_11use_defaultESA_SA_EEPlZNS1_13binary_searchIS3_S5_PySB_SC_NS1_21lower_bound_search_opENS8_6detail16wrapped_functionI11custom_lessbEEEE10hipError_tPvRmT1_T2_T3_mmT4_T5_P12ihipStream_tbEUlRKyE_EESK_SO_SP_mSQ_ST_bEUlT_E_NS1_11comp_targetILNS1_3genE9ELNS1_11target_archE1100ELNS1_3gpuE3ELNS1_3repE0EEENS1_30default_config_static_selectorELNS0_4arch9wavefront6targetE0EEEvSN_: ; @_ZN7rocprim17ROCPRIM_400000_NS6detail17trampoline_kernelINS0_14default_configENS1_27lower_bound_config_selectorIylEEZNS1_14transform_implILb0ES3_S5_N6thrust23THRUST_200600_302600_NS17counting_iteratorIyNS8_11use_defaultESA_SA_EEPlZNS1_13binary_searchIS3_S5_PySB_SC_NS1_21lower_bound_search_opENS8_6detail16wrapped_functionI11custom_lessbEEEE10hipError_tPvRmT1_T2_T3_mmT4_T5_P12ihipStream_tbEUlRKyE_EESK_SO_SP_mSQ_ST_bEUlT_E_NS1_11comp_targetILNS1_3genE9ELNS1_11target_archE1100ELNS1_3gpuE3ELNS1_3repE0EEENS1_30default_config_static_selectorELNS0_4arch9wavefront6targetE0EEEvSN_
; %bb.0:
	s_clause 0x3
	s_load_b128 s[8:11], s[0:1], 0x0
	s_load_b32 s2, s[0:1], 0x38
	s_load_b64 s[12:13], s[0:1], 0x28
	s_load_b128 s[4:7], s[0:1], 0x18
	s_waitcnt lgkmcnt(0)
	s_add_u32 s3, s10, s8
	s_addc_u32 s14, s11, s9
	s_add_i32 s2, s2, -1
	s_lshl_b32 s8, s15, 8
	s_mov_b32 s9, 0
	s_cmp_lg_u32 s15, s2
	s_mov_b32 s15, -1
	s_cbranch_scc0 .LBB32_6
; %bb.1:
	v_dual_mov_b32 v2, 0 :: v_dual_mov_b32 v1, 0
	v_mov_b32_e32 v3, 0
	s_cmp_eq_u64 s[12:13], 0
	s_cbranch_scc1 .LBB32_5
; %bb.2:
	s_add_u32 s2, s3, s8
	s_addc_u32 s15, s14, 0
	v_add_co_u32 v4, s2, s2, v0
	v_mov_b32_e32 v2, 0
	v_dual_mov_b32 v3, 0 :: v_dual_mov_b32 v6, s12
	v_add_co_ci_u32_e64 v5, null, s15, 0, s2
	v_mov_b32_e32 v7, s13
	s_mov_b32 s15, 0
	s_set_inst_prefetch_distance 0x1
	.p2align	6
.LBB32_3:                               ; =>This Inner Loop Header: Depth=1
	v_sub_co_u32 v8, vcc_lo, v6, v2
	s_delay_alu instid0(VALU_DEP_2) | instskip(NEXT) | instid1(VALU_DEP_1)
	v_sub_co_ci_u32_e32 v9, vcc_lo, v7, v3, vcc_lo
	v_lshrrev_b64 v[10:11], 1, v[8:9]
	v_lshrrev_b64 v[8:9], 6, v[8:9]
	s_delay_alu instid0(VALU_DEP_2) | instskip(NEXT) | instid1(VALU_DEP_3)
	v_add_co_u32 v10, vcc_lo, v10, v2
	v_add_co_ci_u32_e32 v11, vcc_lo, v11, v3, vcc_lo
	s_delay_alu instid0(VALU_DEP_2) | instskip(NEXT) | instid1(VALU_DEP_2)
	v_add_co_u32 v8, vcc_lo, v10, v8
	v_add_co_ci_u32_e32 v9, vcc_lo, v11, v9, vcc_lo
	s_delay_alu instid0(VALU_DEP_1) | instskip(NEXT) | instid1(VALU_DEP_1)
	v_lshlrev_b64 v[10:11], 3, v[8:9]
	v_add_co_u32 v10, vcc_lo, s6, v10
	s_delay_alu instid0(VALU_DEP_2)
	v_add_co_ci_u32_e32 v11, vcc_lo, s7, v11, vcc_lo
	v_add_co_u32 v12, vcc_lo, v8, 1
	global_load_b64 v[10:11], v[10:11], off
	s_waitcnt vmcnt(0)
	v_cmp_lt_u64_e64 s2, v[10:11], v[4:5]
	v_add_co_ci_u32_e32 v10, vcc_lo, 0, v9, vcc_lo
	s_delay_alu instid0(VALU_DEP_2) | instskip(SKIP_1) | instid1(VALU_DEP_3)
	v_cndmask_b32_e64 v7, v9, v7, s2
	v_cndmask_b32_e64 v6, v8, v6, s2
	;; [unrolled: 1-line block ×4, first 2 shown]
	s_delay_alu instid0(VALU_DEP_1) | instskip(SKIP_1) | instid1(SALU_CYCLE_1)
	v_cmp_ge_u64_e32 vcc_lo, v[2:3], v[6:7]
	s_or_b32 s15, vcc_lo, s15
	s_and_not1_b32 exec_lo, exec_lo, s15
	s_cbranch_execnz .LBB32_3
; %bb.4:
	s_set_inst_prefetch_distance 0x2
	s_or_b32 exec_lo, exec_lo, s15
.LBB32_5:
	s_mov_b32 s2, -1
	s_cbranch_execz .LBB32_7
	s_branch .LBB32_13
.LBB32_6:
	s_mov_b32 s2, s9
                                        ; implicit-def: $vgpr2_vgpr3
	s_and_not1_b32 vcc_lo, exec_lo, s15
	s_cbranch_vccnz .LBB32_13
.LBB32_7:
	s_load_b32 s0, s[0:1], 0x10
	v_mov_b32_e32 v1, 0
                                        ; implicit-def: $vgpr2_vgpr3
	s_waitcnt lgkmcnt(0)
	s_sub_i32 s0, s0, s8
	s_delay_alu instid0(SALU_CYCLE_1) | instskip(NEXT) | instid1(VALU_DEP_1)
	v_cmp_gt_u32_e64 s2, s0, v0
	s_and_saveexec_b32 s1, s2
	s_cbranch_execz .LBB32_12
; %bb.8:
	v_mov_b32_e32 v2, 0
	v_mov_b32_e32 v3, 0
	s_cmp_eq_u64 s[12:13], 0
	s_cbranch_scc1 .LBB32_12
; %bb.9:
	s_add_u32 s0, s3, s8
	s_addc_u32 s3, s14, 0
	v_add_co_u32 v4, s0, s0, v0
	v_mov_b32_e32 v2, 0
	v_dual_mov_b32 v3, 0 :: v_dual_mov_b32 v6, s12
	v_add_co_ci_u32_e64 v5, null, s3, 0, s0
	v_mov_b32_e32 v7, s13
	s_mov_b32 s3, 0
	s_set_inst_prefetch_distance 0x1
	.p2align	6
.LBB32_10:                              ; =>This Inner Loop Header: Depth=1
	v_sub_co_u32 v8, vcc_lo, v6, v2
	s_delay_alu instid0(VALU_DEP_2) | instskip(NEXT) | instid1(VALU_DEP_1)
	v_sub_co_ci_u32_e32 v9, vcc_lo, v7, v3, vcc_lo
	v_lshrrev_b64 v[10:11], 1, v[8:9]
	v_lshrrev_b64 v[8:9], 6, v[8:9]
	s_delay_alu instid0(VALU_DEP_2) | instskip(NEXT) | instid1(VALU_DEP_3)
	v_add_co_u32 v10, vcc_lo, v10, v2
	v_add_co_ci_u32_e32 v11, vcc_lo, v11, v3, vcc_lo
	s_delay_alu instid0(VALU_DEP_2) | instskip(NEXT) | instid1(VALU_DEP_2)
	v_add_co_u32 v8, vcc_lo, v10, v8
	v_add_co_ci_u32_e32 v9, vcc_lo, v11, v9, vcc_lo
	s_delay_alu instid0(VALU_DEP_1) | instskip(NEXT) | instid1(VALU_DEP_1)
	v_lshlrev_b64 v[10:11], 3, v[8:9]
	v_add_co_u32 v10, vcc_lo, s6, v10
	s_delay_alu instid0(VALU_DEP_2)
	v_add_co_ci_u32_e32 v11, vcc_lo, s7, v11, vcc_lo
	v_add_co_u32 v12, vcc_lo, v8, 1
	global_load_b64 v[10:11], v[10:11], off
	s_waitcnt vmcnt(0)
	v_cmp_lt_u64_e64 s0, v[10:11], v[4:5]
	v_add_co_ci_u32_e32 v10, vcc_lo, 0, v9, vcc_lo
	s_delay_alu instid0(VALU_DEP_2) | instskip(SKIP_1) | instid1(VALU_DEP_3)
	v_cndmask_b32_e64 v7, v9, v7, s0
	v_cndmask_b32_e64 v6, v8, v6, s0
	;; [unrolled: 1-line block ×4, first 2 shown]
	s_delay_alu instid0(VALU_DEP_1) | instskip(SKIP_1) | instid1(SALU_CYCLE_1)
	v_cmp_ge_u64_e32 vcc_lo, v[2:3], v[6:7]
	s_or_b32 s3, vcc_lo, s3
	s_and_not1_b32 exec_lo, exec_lo, s3
	s_cbranch_execnz .LBB32_10
; %bb.11:
	s_set_inst_prefetch_distance 0x2
	s_or_b32 exec_lo, exec_lo, s3
.LBB32_12:
	s_delay_alu instid0(SALU_CYCLE_1)
	s_or_b32 exec_lo, exec_lo, s1
.LBB32_13:
	s_and_saveexec_b32 s0, s2
	s_cbranch_execnz .LBB32_15
; %bb.14:
	s_endpgm
.LBB32_15:
	s_lshl_b64 s[0:1], s[10:11], 3
	v_lshlrev_b64 v[0:1], 3, v[0:1]
	s_add_u32 s2, s4, s0
	s_addc_u32 s3, s5, s1
	s_lshl_b64 s[0:1], s[8:9], 3
	s_delay_alu instid0(SALU_CYCLE_1)
	s_add_u32 s0, s2, s0
	s_addc_u32 s1, s3, s1
	v_add_co_u32 v0, vcc_lo, s0, v0
	v_add_co_ci_u32_e32 v1, vcc_lo, s1, v1, vcc_lo
	global_store_b64 v[0:1], v[2:3], off
	s_nop 0
	s_sendmsg sendmsg(MSG_DEALLOC_VGPRS)
	s_endpgm
	.section	.rodata,"a",@progbits
	.p2align	6, 0x0
	.amdhsa_kernel _ZN7rocprim17ROCPRIM_400000_NS6detail17trampoline_kernelINS0_14default_configENS1_27lower_bound_config_selectorIylEEZNS1_14transform_implILb0ES3_S5_N6thrust23THRUST_200600_302600_NS17counting_iteratorIyNS8_11use_defaultESA_SA_EEPlZNS1_13binary_searchIS3_S5_PySB_SC_NS1_21lower_bound_search_opENS8_6detail16wrapped_functionI11custom_lessbEEEE10hipError_tPvRmT1_T2_T3_mmT4_T5_P12ihipStream_tbEUlRKyE_EESK_SO_SP_mSQ_ST_bEUlT_E_NS1_11comp_targetILNS1_3genE9ELNS1_11target_archE1100ELNS1_3gpuE3ELNS1_3repE0EEENS1_30default_config_static_selectorELNS0_4arch9wavefront6targetE0EEEvSN_
		.amdhsa_group_segment_fixed_size 0
		.amdhsa_private_segment_fixed_size 0
		.amdhsa_kernarg_size 312
		.amdhsa_user_sgpr_count 15
		.amdhsa_user_sgpr_dispatch_ptr 0
		.amdhsa_user_sgpr_queue_ptr 0
		.amdhsa_user_sgpr_kernarg_segment_ptr 1
		.amdhsa_user_sgpr_dispatch_id 0
		.amdhsa_user_sgpr_private_segment_size 0
		.amdhsa_wavefront_size32 1
		.amdhsa_uses_dynamic_stack 0
		.amdhsa_enable_private_segment 0
		.amdhsa_system_sgpr_workgroup_id_x 1
		.amdhsa_system_sgpr_workgroup_id_y 0
		.amdhsa_system_sgpr_workgroup_id_z 0
		.amdhsa_system_sgpr_workgroup_info 0
		.amdhsa_system_vgpr_workitem_id 0
		.amdhsa_next_free_vgpr 13
		.amdhsa_next_free_sgpr 16
		.amdhsa_reserve_vcc 1
		.amdhsa_float_round_mode_32 0
		.amdhsa_float_round_mode_16_64 0
		.amdhsa_float_denorm_mode_32 3
		.amdhsa_float_denorm_mode_16_64 3
		.amdhsa_dx10_clamp 1
		.amdhsa_ieee_mode 1
		.amdhsa_fp16_overflow 0
		.amdhsa_workgroup_processor_mode 1
		.amdhsa_memory_ordered 1
		.amdhsa_forward_progress 0
		.amdhsa_shared_vgpr_count 0
		.amdhsa_exception_fp_ieee_invalid_op 0
		.amdhsa_exception_fp_denorm_src 0
		.amdhsa_exception_fp_ieee_div_zero 0
		.amdhsa_exception_fp_ieee_overflow 0
		.amdhsa_exception_fp_ieee_underflow 0
		.amdhsa_exception_fp_ieee_inexact 0
		.amdhsa_exception_int_div_zero 0
	.end_amdhsa_kernel
	.section	.text._ZN7rocprim17ROCPRIM_400000_NS6detail17trampoline_kernelINS0_14default_configENS1_27lower_bound_config_selectorIylEEZNS1_14transform_implILb0ES3_S5_N6thrust23THRUST_200600_302600_NS17counting_iteratorIyNS8_11use_defaultESA_SA_EEPlZNS1_13binary_searchIS3_S5_PySB_SC_NS1_21lower_bound_search_opENS8_6detail16wrapped_functionI11custom_lessbEEEE10hipError_tPvRmT1_T2_T3_mmT4_T5_P12ihipStream_tbEUlRKyE_EESK_SO_SP_mSQ_ST_bEUlT_E_NS1_11comp_targetILNS1_3genE9ELNS1_11target_archE1100ELNS1_3gpuE3ELNS1_3repE0EEENS1_30default_config_static_selectorELNS0_4arch9wavefront6targetE0EEEvSN_,"axG",@progbits,_ZN7rocprim17ROCPRIM_400000_NS6detail17trampoline_kernelINS0_14default_configENS1_27lower_bound_config_selectorIylEEZNS1_14transform_implILb0ES3_S5_N6thrust23THRUST_200600_302600_NS17counting_iteratorIyNS8_11use_defaultESA_SA_EEPlZNS1_13binary_searchIS3_S5_PySB_SC_NS1_21lower_bound_search_opENS8_6detail16wrapped_functionI11custom_lessbEEEE10hipError_tPvRmT1_T2_T3_mmT4_T5_P12ihipStream_tbEUlRKyE_EESK_SO_SP_mSQ_ST_bEUlT_E_NS1_11comp_targetILNS1_3genE9ELNS1_11target_archE1100ELNS1_3gpuE3ELNS1_3repE0EEENS1_30default_config_static_selectorELNS0_4arch9wavefront6targetE0EEEvSN_,comdat
.Lfunc_end32:
	.size	_ZN7rocprim17ROCPRIM_400000_NS6detail17trampoline_kernelINS0_14default_configENS1_27lower_bound_config_selectorIylEEZNS1_14transform_implILb0ES3_S5_N6thrust23THRUST_200600_302600_NS17counting_iteratorIyNS8_11use_defaultESA_SA_EEPlZNS1_13binary_searchIS3_S5_PySB_SC_NS1_21lower_bound_search_opENS8_6detail16wrapped_functionI11custom_lessbEEEE10hipError_tPvRmT1_T2_T3_mmT4_T5_P12ihipStream_tbEUlRKyE_EESK_SO_SP_mSQ_ST_bEUlT_E_NS1_11comp_targetILNS1_3genE9ELNS1_11target_archE1100ELNS1_3gpuE3ELNS1_3repE0EEENS1_30default_config_static_selectorELNS0_4arch9wavefront6targetE0EEEvSN_, .Lfunc_end32-_ZN7rocprim17ROCPRIM_400000_NS6detail17trampoline_kernelINS0_14default_configENS1_27lower_bound_config_selectorIylEEZNS1_14transform_implILb0ES3_S5_N6thrust23THRUST_200600_302600_NS17counting_iteratorIyNS8_11use_defaultESA_SA_EEPlZNS1_13binary_searchIS3_S5_PySB_SC_NS1_21lower_bound_search_opENS8_6detail16wrapped_functionI11custom_lessbEEEE10hipError_tPvRmT1_T2_T3_mmT4_T5_P12ihipStream_tbEUlRKyE_EESK_SO_SP_mSQ_ST_bEUlT_E_NS1_11comp_targetILNS1_3genE9ELNS1_11target_archE1100ELNS1_3gpuE3ELNS1_3repE0EEENS1_30default_config_static_selectorELNS0_4arch9wavefront6targetE0EEEvSN_
                                        ; -- End function
	.section	.AMDGPU.csdata,"",@progbits
; Kernel info:
; codeLenInByte = 732
; NumSgprs: 18
; NumVgprs: 13
; ScratchSize: 0
; MemoryBound: 0
; FloatMode: 240
; IeeeMode: 1
; LDSByteSize: 0 bytes/workgroup (compile time only)
; SGPRBlocks: 2
; VGPRBlocks: 1
; NumSGPRsForWavesPerEU: 18
; NumVGPRsForWavesPerEU: 13
; Occupancy: 16
; WaveLimiterHint : 0
; COMPUTE_PGM_RSRC2:SCRATCH_EN: 0
; COMPUTE_PGM_RSRC2:USER_SGPR: 15
; COMPUTE_PGM_RSRC2:TRAP_HANDLER: 0
; COMPUTE_PGM_RSRC2:TGID_X_EN: 1
; COMPUTE_PGM_RSRC2:TGID_Y_EN: 0
; COMPUTE_PGM_RSRC2:TGID_Z_EN: 0
; COMPUTE_PGM_RSRC2:TIDIG_COMP_CNT: 0
	.section	.text._ZN7rocprim17ROCPRIM_400000_NS6detail17trampoline_kernelINS0_14default_configENS1_27lower_bound_config_selectorIylEEZNS1_14transform_implILb0ES3_S5_N6thrust23THRUST_200600_302600_NS17counting_iteratorIyNS8_11use_defaultESA_SA_EEPlZNS1_13binary_searchIS3_S5_PySB_SC_NS1_21lower_bound_search_opENS8_6detail16wrapped_functionI11custom_lessbEEEE10hipError_tPvRmT1_T2_T3_mmT4_T5_P12ihipStream_tbEUlRKyE_EESK_SO_SP_mSQ_ST_bEUlT_E_NS1_11comp_targetILNS1_3genE8ELNS1_11target_archE1030ELNS1_3gpuE2ELNS1_3repE0EEENS1_30default_config_static_selectorELNS0_4arch9wavefront6targetE0EEEvSN_,"axG",@progbits,_ZN7rocprim17ROCPRIM_400000_NS6detail17trampoline_kernelINS0_14default_configENS1_27lower_bound_config_selectorIylEEZNS1_14transform_implILb0ES3_S5_N6thrust23THRUST_200600_302600_NS17counting_iteratorIyNS8_11use_defaultESA_SA_EEPlZNS1_13binary_searchIS3_S5_PySB_SC_NS1_21lower_bound_search_opENS8_6detail16wrapped_functionI11custom_lessbEEEE10hipError_tPvRmT1_T2_T3_mmT4_T5_P12ihipStream_tbEUlRKyE_EESK_SO_SP_mSQ_ST_bEUlT_E_NS1_11comp_targetILNS1_3genE8ELNS1_11target_archE1030ELNS1_3gpuE2ELNS1_3repE0EEENS1_30default_config_static_selectorELNS0_4arch9wavefront6targetE0EEEvSN_,comdat
	.protected	_ZN7rocprim17ROCPRIM_400000_NS6detail17trampoline_kernelINS0_14default_configENS1_27lower_bound_config_selectorIylEEZNS1_14transform_implILb0ES3_S5_N6thrust23THRUST_200600_302600_NS17counting_iteratorIyNS8_11use_defaultESA_SA_EEPlZNS1_13binary_searchIS3_S5_PySB_SC_NS1_21lower_bound_search_opENS8_6detail16wrapped_functionI11custom_lessbEEEE10hipError_tPvRmT1_T2_T3_mmT4_T5_P12ihipStream_tbEUlRKyE_EESK_SO_SP_mSQ_ST_bEUlT_E_NS1_11comp_targetILNS1_3genE8ELNS1_11target_archE1030ELNS1_3gpuE2ELNS1_3repE0EEENS1_30default_config_static_selectorELNS0_4arch9wavefront6targetE0EEEvSN_ ; -- Begin function _ZN7rocprim17ROCPRIM_400000_NS6detail17trampoline_kernelINS0_14default_configENS1_27lower_bound_config_selectorIylEEZNS1_14transform_implILb0ES3_S5_N6thrust23THRUST_200600_302600_NS17counting_iteratorIyNS8_11use_defaultESA_SA_EEPlZNS1_13binary_searchIS3_S5_PySB_SC_NS1_21lower_bound_search_opENS8_6detail16wrapped_functionI11custom_lessbEEEE10hipError_tPvRmT1_T2_T3_mmT4_T5_P12ihipStream_tbEUlRKyE_EESK_SO_SP_mSQ_ST_bEUlT_E_NS1_11comp_targetILNS1_3genE8ELNS1_11target_archE1030ELNS1_3gpuE2ELNS1_3repE0EEENS1_30default_config_static_selectorELNS0_4arch9wavefront6targetE0EEEvSN_
	.globl	_ZN7rocprim17ROCPRIM_400000_NS6detail17trampoline_kernelINS0_14default_configENS1_27lower_bound_config_selectorIylEEZNS1_14transform_implILb0ES3_S5_N6thrust23THRUST_200600_302600_NS17counting_iteratorIyNS8_11use_defaultESA_SA_EEPlZNS1_13binary_searchIS3_S5_PySB_SC_NS1_21lower_bound_search_opENS8_6detail16wrapped_functionI11custom_lessbEEEE10hipError_tPvRmT1_T2_T3_mmT4_T5_P12ihipStream_tbEUlRKyE_EESK_SO_SP_mSQ_ST_bEUlT_E_NS1_11comp_targetILNS1_3genE8ELNS1_11target_archE1030ELNS1_3gpuE2ELNS1_3repE0EEENS1_30default_config_static_selectorELNS0_4arch9wavefront6targetE0EEEvSN_
	.p2align	8
	.type	_ZN7rocprim17ROCPRIM_400000_NS6detail17trampoline_kernelINS0_14default_configENS1_27lower_bound_config_selectorIylEEZNS1_14transform_implILb0ES3_S5_N6thrust23THRUST_200600_302600_NS17counting_iteratorIyNS8_11use_defaultESA_SA_EEPlZNS1_13binary_searchIS3_S5_PySB_SC_NS1_21lower_bound_search_opENS8_6detail16wrapped_functionI11custom_lessbEEEE10hipError_tPvRmT1_T2_T3_mmT4_T5_P12ihipStream_tbEUlRKyE_EESK_SO_SP_mSQ_ST_bEUlT_E_NS1_11comp_targetILNS1_3genE8ELNS1_11target_archE1030ELNS1_3gpuE2ELNS1_3repE0EEENS1_30default_config_static_selectorELNS0_4arch9wavefront6targetE0EEEvSN_,@function
_ZN7rocprim17ROCPRIM_400000_NS6detail17trampoline_kernelINS0_14default_configENS1_27lower_bound_config_selectorIylEEZNS1_14transform_implILb0ES3_S5_N6thrust23THRUST_200600_302600_NS17counting_iteratorIyNS8_11use_defaultESA_SA_EEPlZNS1_13binary_searchIS3_S5_PySB_SC_NS1_21lower_bound_search_opENS8_6detail16wrapped_functionI11custom_lessbEEEE10hipError_tPvRmT1_T2_T3_mmT4_T5_P12ihipStream_tbEUlRKyE_EESK_SO_SP_mSQ_ST_bEUlT_E_NS1_11comp_targetILNS1_3genE8ELNS1_11target_archE1030ELNS1_3gpuE2ELNS1_3repE0EEENS1_30default_config_static_selectorELNS0_4arch9wavefront6targetE0EEEvSN_: ; @_ZN7rocprim17ROCPRIM_400000_NS6detail17trampoline_kernelINS0_14default_configENS1_27lower_bound_config_selectorIylEEZNS1_14transform_implILb0ES3_S5_N6thrust23THRUST_200600_302600_NS17counting_iteratorIyNS8_11use_defaultESA_SA_EEPlZNS1_13binary_searchIS3_S5_PySB_SC_NS1_21lower_bound_search_opENS8_6detail16wrapped_functionI11custom_lessbEEEE10hipError_tPvRmT1_T2_T3_mmT4_T5_P12ihipStream_tbEUlRKyE_EESK_SO_SP_mSQ_ST_bEUlT_E_NS1_11comp_targetILNS1_3genE8ELNS1_11target_archE1030ELNS1_3gpuE2ELNS1_3repE0EEENS1_30default_config_static_selectorELNS0_4arch9wavefront6targetE0EEEvSN_
; %bb.0:
	.section	.rodata,"a",@progbits
	.p2align	6, 0x0
	.amdhsa_kernel _ZN7rocprim17ROCPRIM_400000_NS6detail17trampoline_kernelINS0_14default_configENS1_27lower_bound_config_selectorIylEEZNS1_14transform_implILb0ES3_S5_N6thrust23THRUST_200600_302600_NS17counting_iteratorIyNS8_11use_defaultESA_SA_EEPlZNS1_13binary_searchIS3_S5_PySB_SC_NS1_21lower_bound_search_opENS8_6detail16wrapped_functionI11custom_lessbEEEE10hipError_tPvRmT1_T2_T3_mmT4_T5_P12ihipStream_tbEUlRKyE_EESK_SO_SP_mSQ_ST_bEUlT_E_NS1_11comp_targetILNS1_3genE8ELNS1_11target_archE1030ELNS1_3gpuE2ELNS1_3repE0EEENS1_30default_config_static_selectorELNS0_4arch9wavefront6targetE0EEEvSN_
		.amdhsa_group_segment_fixed_size 0
		.amdhsa_private_segment_fixed_size 0
		.amdhsa_kernarg_size 56
		.amdhsa_user_sgpr_count 15
		.amdhsa_user_sgpr_dispatch_ptr 0
		.amdhsa_user_sgpr_queue_ptr 0
		.amdhsa_user_sgpr_kernarg_segment_ptr 1
		.amdhsa_user_sgpr_dispatch_id 0
		.amdhsa_user_sgpr_private_segment_size 0
		.amdhsa_wavefront_size32 1
		.amdhsa_uses_dynamic_stack 0
		.amdhsa_enable_private_segment 0
		.amdhsa_system_sgpr_workgroup_id_x 1
		.amdhsa_system_sgpr_workgroup_id_y 0
		.amdhsa_system_sgpr_workgroup_id_z 0
		.amdhsa_system_sgpr_workgroup_info 0
		.amdhsa_system_vgpr_workitem_id 0
		.amdhsa_next_free_vgpr 1
		.amdhsa_next_free_sgpr 1
		.amdhsa_reserve_vcc 0
		.amdhsa_float_round_mode_32 0
		.amdhsa_float_round_mode_16_64 0
		.amdhsa_float_denorm_mode_32 3
		.amdhsa_float_denorm_mode_16_64 3
		.amdhsa_dx10_clamp 1
		.amdhsa_ieee_mode 1
		.amdhsa_fp16_overflow 0
		.amdhsa_workgroup_processor_mode 1
		.amdhsa_memory_ordered 1
		.amdhsa_forward_progress 0
		.amdhsa_shared_vgpr_count 0
		.amdhsa_exception_fp_ieee_invalid_op 0
		.amdhsa_exception_fp_denorm_src 0
		.amdhsa_exception_fp_ieee_div_zero 0
		.amdhsa_exception_fp_ieee_overflow 0
		.amdhsa_exception_fp_ieee_underflow 0
		.amdhsa_exception_fp_ieee_inexact 0
		.amdhsa_exception_int_div_zero 0
	.end_amdhsa_kernel
	.section	.text._ZN7rocprim17ROCPRIM_400000_NS6detail17trampoline_kernelINS0_14default_configENS1_27lower_bound_config_selectorIylEEZNS1_14transform_implILb0ES3_S5_N6thrust23THRUST_200600_302600_NS17counting_iteratorIyNS8_11use_defaultESA_SA_EEPlZNS1_13binary_searchIS3_S5_PySB_SC_NS1_21lower_bound_search_opENS8_6detail16wrapped_functionI11custom_lessbEEEE10hipError_tPvRmT1_T2_T3_mmT4_T5_P12ihipStream_tbEUlRKyE_EESK_SO_SP_mSQ_ST_bEUlT_E_NS1_11comp_targetILNS1_3genE8ELNS1_11target_archE1030ELNS1_3gpuE2ELNS1_3repE0EEENS1_30default_config_static_selectorELNS0_4arch9wavefront6targetE0EEEvSN_,"axG",@progbits,_ZN7rocprim17ROCPRIM_400000_NS6detail17trampoline_kernelINS0_14default_configENS1_27lower_bound_config_selectorIylEEZNS1_14transform_implILb0ES3_S5_N6thrust23THRUST_200600_302600_NS17counting_iteratorIyNS8_11use_defaultESA_SA_EEPlZNS1_13binary_searchIS3_S5_PySB_SC_NS1_21lower_bound_search_opENS8_6detail16wrapped_functionI11custom_lessbEEEE10hipError_tPvRmT1_T2_T3_mmT4_T5_P12ihipStream_tbEUlRKyE_EESK_SO_SP_mSQ_ST_bEUlT_E_NS1_11comp_targetILNS1_3genE8ELNS1_11target_archE1030ELNS1_3gpuE2ELNS1_3repE0EEENS1_30default_config_static_selectorELNS0_4arch9wavefront6targetE0EEEvSN_,comdat
.Lfunc_end33:
	.size	_ZN7rocprim17ROCPRIM_400000_NS6detail17trampoline_kernelINS0_14default_configENS1_27lower_bound_config_selectorIylEEZNS1_14transform_implILb0ES3_S5_N6thrust23THRUST_200600_302600_NS17counting_iteratorIyNS8_11use_defaultESA_SA_EEPlZNS1_13binary_searchIS3_S5_PySB_SC_NS1_21lower_bound_search_opENS8_6detail16wrapped_functionI11custom_lessbEEEE10hipError_tPvRmT1_T2_T3_mmT4_T5_P12ihipStream_tbEUlRKyE_EESK_SO_SP_mSQ_ST_bEUlT_E_NS1_11comp_targetILNS1_3genE8ELNS1_11target_archE1030ELNS1_3gpuE2ELNS1_3repE0EEENS1_30default_config_static_selectorELNS0_4arch9wavefront6targetE0EEEvSN_, .Lfunc_end33-_ZN7rocprim17ROCPRIM_400000_NS6detail17trampoline_kernelINS0_14default_configENS1_27lower_bound_config_selectorIylEEZNS1_14transform_implILb0ES3_S5_N6thrust23THRUST_200600_302600_NS17counting_iteratorIyNS8_11use_defaultESA_SA_EEPlZNS1_13binary_searchIS3_S5_PySB_SC_NS1_21lower_bound_search_opENS8_6detail16wrapped_functionI11custom_lessbEEEE10hipError_tPvRmT1_T2_T3_mmT4_T5_P12ihipStream_tbEUlRKyE_EESK_SO_SP_mSQ_ST_bEUlT_E_NS1_11comp_targetILNS1_3genE8ELNS1_11target_archE1030ELNS1_3gpuE2ELNS1_3repE0EEENS1_30default_config_static_selectorELNS0_4arch9wavefront6targetE0EEEvSN_
                                        ; -- End function
	.section	.AMDGPU.csdata,"",@progbits
; Kernel info:
; codeLenInByte = 0
; NumSgprs: 0
; NumVgprs: 0
; ScratchSize: 0
; MemoryBound: 0
; FloatMode: 240
; IeeeMode: 1
; LDSByteSize: 0 bytes/workgroup (compile time only)
; SGPRBlocks: 0
; VGPRBlocks: 0
; NumSGPRsForWavesPerEU: 1
; NumVGPRsForWavesPerEU: 1
; Occupancy: 16
; WaveLimiterHint : 0
; COMPUTE_PGM_RSRC2:SCRATCH_EN: 0
; COMPUTE_PGM_RSRC2:USER_SGPR: 15
; COMPUTE_PGM_RSRC2:TRAP_HANDLER: 0
; COMPUTE_PGM_RSRC2:TGID_X_EN: 1
; COMPUTE_PGM_RSRC2:TGID_Y_EN: 0
; COMPUTE_PGM_RSRC2:TGID_Z_EN: 0
; COMPUTE_PGM_RSRC2:TIDIG_COMP_CNT: 0
	.section	.text._ZN6thrust23THRUST_200600_302600_NS11hip_rocprim14__parallel_for6kernelILj256ENS1_20__uninitialized_fill7functorINS0_10device_ptrIjEEjEEmLj1EEEvT0_T1_SA_,"axG",@progbits,_ZN6thrust23THRUST_200600_302600_NS11hip_rocprim14__parallel_for6kernelILj256ENS1_20__uninitialized_fill7functorINS0_10device_ptrIjEEjEEmLj1EEEvT0_T1_SA_,comdat
	.protected	_ZN6thrust23THRUST_200600_302600_NS11hip_rocprim14__parallel_for6kernelILj256ENS1_20__uninitialized_fill7functorINS0_10device_ptrIjEEjEEmLj1EEEvT0_T1_SA_ ; -- Begin function _ZN6thrust23THRUST_200600_302600_NS11hip_rocprim14__parallel_for6kernelILj256ENS1_20__uninitialized_fill7functorINS0_10device_ptrIjEEjEEmLj1EEEvT0_T1_SA_
	.globl	_ZN6thrust23THRUST_200600_302600_NS11hip_rocprim14__parallel_for6kernelILj256ENS1_20__uninitialized_fill7functorINS0_10device_ptrIjEEjEEmLj1EEEvT0_T1_SA_
	.p2align	8
	.type	_ZN6thrust23THRUST_200600_302600_NS11hip_rocprim14__parallel_for6kernelILj256ENS1_20__uninitialized_fill7functorINS0_10device_ptrIjEEjEEmLj1EEEvT0_T1_SA_,@function
_ZN6thrust23THRUST_200600_302600_NS11hip_rocprim14__parallel_for6kernelILj256ENS1_20__uninitialized_fill7functorINS0_10device_ptrIjEEjEEmLj1EEEvT0_T1_SA_: ; @_ZN6thrust23THRUST_200600_302600_NS11hip_rocprim14__parallel_for6kernelILj256ENS1_20__uninitialized_fill7functorINS0_10device_ptrIjEEjEEmLj1EEEvT0_T1_SA_
; %bb.0:
	s_load_b128 s[4:7], s[0:1], 0x10
	s_lshl_b32 s2, s15, 8
	s_waitcnt lgkmcnt(0)
	s_add_u32 s2, s2, s6
	s_addc_u32 s3, 0, s7
	s_sub_u32 s4, s4, s2
	s_subb_u32 s5, s5, s3
	s_delay_alu instid0(SALU_CYCLE_1) | instskip(NEXT) | instid1(VALU_DEP_1)
	v_cmp_gt_u64_e64 s5, 0x100, s[4:5]
	s_and_b32 vcc_lo, exec_lo, s5
	s_mov_b32 s5, 0
	s_cbranch_vccz .LBB34_2
; %bb.1:
	v_cmp_gt_u32_e32 vcc_lo, s4, v0
	s_and_b32 s5, vcc_lo, exec_lo
	s_cbranch_execz .LBB34_3
	s_branch .LBB34_4
.LBB34_2:
.LBB34_3:
	s_or_b32 s5, s5, exec_lo
.LBB34_4:
	s_delay_alu instid0(SALU_CYCLE_1)
	s_and_saveexec_b32 s4, s5
	s_cbranch_execnz .LBB34_6
; %bb.5:
	s_endpgm
.LBB34_6:
	s_clause 0x1
	s_load_b64 s[4:5], s[0:1], 0x0
	s_load_b32 s6, s[0:1], 0x8
	v_mov_b32_e32 v1, 0
	s_lshl_b64 s[0:1], s[2:3], 2
	s_waitcnt lgkmcnt(0)
	s_add_u32 s0, s4, s0
	v_mov_b32_e32 v2, s6
	v_lshlrev_b64 v[0:1], 2, v[0:1]
	s_addc_u32 s1, s5, s1
	s_delay_alu instid0(VALU_DEP_1) | instskip(NEXT) | instid1(VALU_DEP_2)
	v_add_co_u32 v0, vcc_lo, s0, v0
	v_add_co_ci_u32_e32 v1, vcc_lo, s1, v1, vcc_lo
	flat_store_b32 v[0:1], v2
	s_endpgm
	.section	.rodata,"a",@progbits
	.p2align	6, 0x0
	.amdhsa_kernel _ZN6thrust23THRUST_200600_302600_NS11hip_rocprim14__parallel_for6kernelILj256ENS1_20__uninitialized_fill7functorINS0_10device_ptrIjEEjEEmLj1EEEvT0_T1_SA_
		.amdhsa_group_segment_fixed_size 0
		.amdhsa_private_segment_fixed_size 0
		.amdhsa_kernarg_size 32
		.amdhsa_user_sgpr_count 15
		.amdhsa_user_sgpr_dispatch_ptr 0
		.amdhsa_user_sgpr_queue_ptr 0
		.amdhsa_user_sgpr_kernarg_segment_ptr 1
		.amdhsa_user_sgpr_dispatch_id 0
		.amdhsa_user_sgpr_private_segment_size 0
		.amdhsa_wavefront_size32 1
		.amdhsa_uses_dynamic_stack 0
		.amdhsa_enable_private_segment 0
		.amdhsa_system_sgpr_workgroup_id_x 1
		.amdhsa_system_sgpr_workgroup_id_y 0
		.amdhsa_system_sgpr_workgroup_id_z 0
		.amdhsa_system_sgpr_workgroup_info 0
		.amdhsa_system_vgpr_workitem_id 0
		.amdhsa_next_free_vgpr 3
		.amdhsa_next_free_sgpr 16
		.amdhsa_reserve_vcc 1
		.amdhsa_float_round_mode_32 0
		.amdhsa_float_round_mode_16_64 0
		.amdhsa_float_denorm_mode_32 3
		.amdhsa_float_denorm_mode_16_64 3
		.amdhsa_dx10_clamp 1
		.amdhsa_ieee_mode 1
		.amdhsa_fp16_overflow 0
		.amdhsa_workgroup_processor_mode 1
		.amdhsa_memory_ordered 1
		.amdhsa_forward_progress 0
		.amdhsa_shared_vgpr_count 0
		.amdhsa_exception_fp_ieee_invalid_op 0
		.amdhsa_exception_fp_denorm_src 0
		.amdhsa_exception_fp_ieee_div_zero 0
		.amdhsa_exception_fp_ieee_overflow 0
		.amdhsa_exception_fp_ieee_underflow 0
		.amdhsa_exception_fp_ieee_inexact 0
		.amdhsa_exception_int_div_zero 0
	.end_amdhsa_kernel
	.section	.text._ZN6thrust23THRUST_200600_302600_NS11hip_rocprim14__parallel_for6kernelILj256ENS1_20__uninitialized_fill7functorINS0_10device_ptrIjEEjEEmLj1EEEvT0_T1_SA_,"axG",@progbits,_ZN6thrust23THRUST_200600_302600_NS11hip_rocprim14__parallel_for6kernelILj256ENS1_20__uninitialized_fill7functorINS0_10device_ptrIjEEjEEmLj1EEEvT0_T1_SA_,comdat
.Lfunc_end34:
	.size	_ZN6thrust23THRUST_200600_302600_NS11hip_rocprim14__parallel_for6kernelILj256ENS1_20__uninitialized_fill7functorINS0_10device_ptrIjEEjEEmLj1EEEvT0_T1_SA_, .Lfunc_end34-_ZN6thrust23THRUST_200600_302600_NS11hip_rocprim14__parallel_for6kernelILj256ENS1_20__uninitialized_fill7functorINS0_10device_ptrIjEEjEEmLj1EEEvT0_T1_SA_
                                        ; -- End function
	.section	.AMDGPU.csdata,"",@progbits
; Kernel info:
; codeLenInByte = 176
; NumSgprs: 18
; NumVgprs: 3
; ScratchSize: 0
; MemoryBound: 0
; FloatMode: 240
; IeeeMode: 1
; LDSByteSize: 0 bytes/workgroup (compile time only)
; SGPRBlocks: 2
; VGPRBlocks: 0
; NumSGPRsForWavesPerEU: 18
; NumVGPRsForWavesPerEU: 3
; Occupancy: 16
; WaveLimiterHint : 0
; COMPUTE_PGM_RSRC2:SCRATCH_EN: 0
; COMPUTE_PGM_RSRC2:USER_SGPR: 15
; COMPUTE_PGM_RSRC2:TRAP_HANDLER: 0
; COMPUTE_PGM_RSRC2:TGID_X_EN: 1
; COMPUTE_PGM_RSRC2:TGID_Y_EN: 0
; COMPUTE_PGM_RSRC2:TGID_Z_EN: 0
; COMPUTE_PGM_RSRC2:TIDIG_COMP_CNT: 0
	.section	.text._Z18lower_bound_kernelIjEvmPT_Pl,"axG",@progbits,_Z18lower_bound_kernelIjEvmPT_Pl,comdat
	.protected	_Z18lower_bound_kernelIjEvmPT_Pl ; -- Begin function _Z18lower_bound_kernelIjEvmPT_Pl
	.globl	_Z18lower_bound_kernelIjEvmPT_Pl
	.p2align	8
	.type	_Z18lower_bound_kernelIjEvmPT_Pl,@function
_Z18lower_bound_kernelIjEvmPT_Pl:       ; @_Z18lower_bound_kernelIjEvmPT_Pl
; %bb.0:
	s_clause 0x1
	s_load_b128 s[4:7], s[0:1], 0x0
	s_load_b64 s[2:3], s[0:1], 0x10
	v_mov_b32_e32 v0, 0
	s_mov_b64 s[8:9], 0
	s_delay_alu instid0(VALU_DEP_1) | instskip(SKIP_4) | instid1(SALU_CYCLE_1)
	v_mov_b32_e32 v1, v0
	s_waitcnt lgkmcnt(0)
	v_cmp_lt_i64_e64 s0, s[4:5], 1
	global_store_b64 v0, v[0:1], s[2:3]
	s_and_b32 s0, exec_lo, s0
	s_mov_b32 vcc_lo, s0
	s_cbranch_vccnz .LBB35_3
; %bb.1:
	s_mov_b64 s[10:11], s[4:5]
	.p2align	6
.LBB35_2:                               ; =>This Inner Loop Header: Depth=1
	s_delay_alu instid0(SALU_CYCLE_1) | instskip(SKIP_1) | instid1(SALU_CYCLE_1)
	s_sub_u32 s1, s10, s8
	s_subb_u32 s13, s11, s9
	s_lshr_b32 s12, s13, 31
	s_delay_alu instid0(SALU_CYCLE_1) | instskip(SKIP_1) | instid1(SALU_CYCLE_1)
	s_add_u32 s12, s1, s12
	s_addc_u32 s13, s13, 0
	s_ashr_i64 s[12:13], s[12:13], 1
	s_delay_alu instid0(SALU_CYCLE_1) | instskip(SKIP_1) | instid1(SALU_CYCLE_1)
	s_add_u32 s12, s12, s8
	s_addc_u32 s13, s13, s9
	s_lshl_b64 s[14:15], s[12:13], 2
	s_delay_alu instid0(SALU_CYCLE_1)
	s_add_u32 s14, s6, s14
	s_addc_u32 s15, s7, s15
	s_load_b32 s1, s[14:15], 0x0
	s_add_u32 s14, s12, 1
	s_addc_u32 s15, s13, 0
	s_waitcnt lgkmcnt(0)
	s_cmp_eq_u32 s1, 0
	s_cselect_b32 s9, s15, s9
	s_cselect_b32 s8, s14, s8
	;; [unrolled: 1-line block ×4, first 2 shown]
	s_delay_alu instid0(SALU_CYCLE_1) | instskip(NEXT) | instid1(VALU_DEP_1)
	v_cmp_lt_i64_e64 s1, s[8:9], s[10:11]
	s_and_b32 vcc_lo, exec_lo, s1
	s_cbranch_vccnz .LBB35_2
.LBB35_3:
	v_cmp_gt_i64_e64 s10, s[4:5], 0
	v_mov_b32_e32 v2, 0
	s_delay_alu instid0(VALU_DEP_2) | instskip(SKIP_1) | instid1(VALU_DEP_1)
	v_cndmask_b32_e64 v0, 0, 1, s10
	s_and_not1_b32 vcc_lo, exec_lo, s10
	v_cmp_ne_u32_e64 s1, 1, v0
	v_dual_mov_b32 v0, s8 :: v_dual_mov_b32 v1, s9
	s_mov_b64 s[8:9], 0
	global_store_b64 v2, v[0:1], s[2:3] offset:8
	s_cbranch_vccnz .LBB35_6
; %bb.4:
	s_mov_b64 s[10:11], s[4:5]
	.p2align	6
.LBB35_5:                               ; =>This Inner Loop Header: Depth=1
	s_delay_alu instid0(SALU_CYCLE_1) | instskip(SKIP_1) | instid1(SALU_CYCLE_1)
	s_sub_u32 s12, s10, s8
	s_subb_u32 s13, s11, s9
	s_lshr_b32 s14, s13, 31
	s_delay_alu instid0(SALU_CYCLE_1) | instskip(SKIP_1) | instid1(SALU_CYCLE_1)
	s_add_u32 s12, s12, s14
	s_addc_u32 s13, s13, 0
	s_ashr_i64 s[12:13], s[12:13], 1
	s_delay_alu instid0(SALU_CYCLE_1) | instskip(SKIP_1) | instid1(SALU_CYCLE_1)
	s_add_u32 s12, s12, s8
	s_addc_u32 s13, s13, s9
	s_lshl_b64 s[14:15], s[12:13], 2
	s_delay_alu instid0(SALU_CYCLE_1)
	s_add_u32 s14, s6, s14
	s_addc_u32 s15, s7, s15
	s_load_b32 s14, s[14:15], 0x0
	s_add_u32 s15, s12, 1
	s_addc_u32 s16, s13, 0
	s_waitcnt lgkmcnt(0)
	s_cmp_lt_u32 s14, 2
	s_cselect_b32 s9, s16, s9
	s_cselect_b32 s8, s15, s8
	;; [unrolled: 1-line block ×4, first 2 shown]
	s_delay_alu instid0(SALU_CYCLE_1) | instskip(NEXT) | instid1(VALU_DEP_1)
	v_cmp_lt_i64_e64 s12, s[8:9], s[10:11]
	s_and_b32 vcc_lo, exec_lo, s12
	s_cbranch_vccnz .LBB35_5
.LBB35_6:
	v_mov_b32_e32 v0, s8
	v_dual_mov_b32 v2, 0 :: v_dual_mov_b32 v1, s9
	s_and_b32 vcc_lo, exec_lo, s1
	s_mov_b64 s[8:9], 0
	global_store_b64 v2, v[0:1], s[2:3] offset:16
	s_cbranch_vccnz .LBB35_9
; %bb.7:
	s_mov_b64 s[10:11], s[4:5]
	.p2align	6
.LBB35_8:                               ; =>This Inner Loop Header: Depth=1
	s_delay_alu instid0(SALU_CYCLE_1) | instskip(SKIP_1) | instid1(SALU_CYCLE_1)
	s_sub_u32 s12, s10, s8
	s_subb_u32 s13, s11, s9
	s_lshr_b32 s14, s13, 31
	s_delay_alu instid0(SALU_CYCLE_1) | instskip(SKIP_1) | instid1(SALU_CYCLE_1)
	s_add_u32 s12, s12, s14
	s_addc_u32 s13, s13, 0
	s_ashr_i64 s[12:13], s[12:13], 1
	s_delay_alu instid0(SALU_CYCLE_1) | instskip(SKIP_1) | instid1(SALU_CYCLE_1)
	s_add_u32 s12, s12, s8
	s_addc_u32 s13, s13, s9
	s_lshl_b64 s[14:15], s[12:13], 2
	s_delay_alu instid0(SALU_CYCLE_1)
	s_add_u32 s14, s6, s14
	s_addc_u32 s15, s7, s15
	s_load_b32 s14, s[14:15], 0x0
	s_add_u32 s15, s12, 1
	s_addc_u32 s16, s13, 0
	s_waitcnt lgkmcnt(0)
	s_cmp_lt_u32 s14, 3
	s_cselect_b32 s9, s16, s9
	s_cselect_b32 s8, s15, s8
	;; [unrolled: 1-line block ×4, first 2 shown]
	s_delay_alu instid0(SALU_CYCLE_1) | instskip(NEXT) | instid1(VALU_DEP_1)
	v_cmp_lt_i64_e64 s12, s[8:9], s[10:11]
	s_and_b32 vcc_lo, exec_lo, s12
	s_cbranch_vccnz .LBB35_8
.LBB35_9:
	v_mov_b32_e32 v0, s8
	v_dual_mov_b32 v2, 0 :: v_dual_mov_b32 v1, s9
	s_and_b32 vcc_lo, exec_lo, s1
	s_mov_b64 s[8:9], 0
	global_store_b64 v2, v[0:1], s[2:3] offset:24
	s_cbranch_vccnz .LBB35_12
; %bb.10:
	s_mov_b64 s[10:11], s[4:5]
	.p2align	6
.LBB35_11:                              ; =>This Inner Loop Header: Depth=1
	s_delay_alu instid0(SALU_CYCLE_1) | instskip(SKIP_1) | instid1(SALU_CYCLE_1)
	s_sub_u32 s12, s10, s8
	s_subb_u32 s13, s11, s9
	s_lshr_b32 s14, s13, 31
	s_delay_alu instid0(SALU_CYCLE_1) | instskip(SKIP_1) | instid1(SALU_CYCLE_1)
	s_add_u32 s12, s12, s14
	s_addc_u32 s13, s13, 0
	s_ashr_i64 s[12:13], s[12:13], 1
	s_delay_alu instid0(SALU_CYCLE_1) | instskip(SKIP_1) | instid1(SALU_CYCLE_1)
	s_add_u32 s12, s12, s8
	s_addc_u32 s13, s13, s9
	s_lshl_b64 s[14:15], s[12:13], 2
	s_delay_alu instid0(SALU_CYCLE_1)
	s_add_u32 s14, s6, s14
	s_addc_u32 s15, s7, s15
	s_load_b32 s14, s[14:15], 0x0
	s_add_u32 s15, s12, 1
	s_addc_u32 s16, s13, 0
	s_waitcnt lgkmcnt(0)
	s_cmp_lt_u32 s14, 4
	s_cselect_b32 s9, s16, s9
	s_cselect_b32 s8, s15, s8
	;; [unrolled: 1-line block ×4, first 2 shown]
	s_delay_alu instid0(SALU_CYCLE_1) | instskip(NEXT) | instid1(VALU_DEP_1)
	v_cmp_lt_i64_e64 s12, s[8:9], s[10:11]
	s_and_b32 vcc_lo, exec_lo, s12
	s_cbranch_vccnz .LBB35_11
.LBB35_12:
	v_mov_b32_e32 v0, s8
	v_dual_mov_b32 v2, 0 :: v_dual_mov_b32 v1, s9
	s_and_b32 vcc_lo, exec_lo, s1
	s_mov_b64 s[8:9], 0
	global_store_b64 v2, v[0:1], s[2:3] offset:32
	s_cbranch_vccnz .LBB35_15
; %bb.13:
	s_mov_b64 s[10:11], s[4:5]
	.p2align	6
.LBB35_14:                              ; =>This Inner Loop Header: Depth=1
	s_delay_alu instid0(SALU_CYCLE_1) | instskip(SKIP_1) | instid1(SALU_CYCLE_1)
	s_sub_u32 s12, s10, s8
	s_subb_u32 s13, s11, s9
	s_lshr_b32 s14, s13, 31
	s_delay_alu instid0(SALU_CYCLE_1) | instskip(SKIP_1) | instid1(SALU_CYCLE_1)
	s_add_u32 s12, s12, s14
	s_addc_u32 s13, s13, 0
	s_ashr_i64 s[12:13], s[12:13], 1
	s_delay_alu instid0(SALU_CYCLE_1) | instskip(SKIP_1) | instid1(SALU_CYCLE_1)
	s_add_u32 s12, s12, s8
	s_addc_u32 s13, s13, s9
	s_lshl_b64 s[14:15], s[12:13], 2
	s_delay_alu instid0(SALU_CYCLE_1)
	s_add_u32 s14, s6, s14
	s_addc_u32 s15, s7, s15
	s_load_b32 s14, s[14:15], 0x0
	s_add_u32 s15, s12, 1
	s_addc_u32 s16, s13, 0
	s_waitcnt lgkmcnt(0)
	s_cmp_lt_u32 s14, 5
	s_cselect_b32 s9, s16, s9
	s_cselect_b32 s8, s15, s8
	;; [unrolled: 1-line block ×4, first 2 shown]
	s_delay_alu instid0(SALU_CYCLE_1) | instskip(NEXT) | instid1(VALU_DEP_1)
	v_cmp_lt_i64_e64 s12, s[8:9], s[10:11]
	s_and_b32 vcc_lo, exec_lo, s12
	s_cbranch_vccnz .LBB35_14
.LBB35_15:
	v_mov_b32_e32 v0, s8
	v_dual_mov_b32 v2, 0 :: v_dual_mov_b32 v1, s9
	s_and_b32 vcc_lo, exec_lo, s1
	s_mov_b64 s[8:9], 0
	global_store_b64 v2, v[0:1], s[2:3] offset:40
	s_cbranch_vccnz .LBB35_18
; %bb.16:
	s_mov_b64 s[10:11], s[4:5]
	.p2align	6
.LBB35_17:                              ; =>This Inner Loop Header: Depth=1
	s_delay_alu instid0(SALU_CYCLE_1) | instskip(SKIP_1) | instid1(SALU_CYCLE_1)
	s_sub_u32 s12, s10, s8
	s_subb_u32 s13, s11, s9
	s_lshr_b32 s14, s13, 31
	s_delay_alu instid0(SALU_CYCLE_1) | instskip(SKIP_1) | instid1(SALU_CYCLE_1)
	s_add_u32 s12, s12, s14
	s_addc_u32 s13, s13, 0
	s_ashr_i64 s[12:13], s[12:13], 1
	s_delay_alu instid0(SALU_CYCLE_1) | instskip(SKIP_1) | instid1(SALU_CYCLE_1)
	s_add_u32 s12, s12, s8
	s_addc_u32 s13, s13, s9
	s_lshl_b64 s[14:15], s[12:13], 2
	s_delay_alu instid0(SALU_CYCLE_1)
	s_add_u32 s14, s6, s14
	s_addc_u32 s15, s7, s15
	s_load_b32 s14, s[14:15], 0x0
	s_add_u32 s15, s12, 1
	s_addc_u32 s16, s13, 0
	s_waitcnt lgkmcnt(0)
	s_cmp_lt_u32 s14, 6
	s_cselect_b32 s9, s16, s9
	s_cselect_b32 s8, s15, s8
	;; [unrolled: 1-line block ×4, first 2 shown]
	s_delay_alu instid0(SALU_CYCLE_1) | instskip(NEXT) | instid1(VALU_DEP_1)
	v_cmp_lt_i64_e64 s12, s[8:9], s[10:11]
	s_and_b32 vcc_lo, exec_lo, s12
	s_cbranch_vccnz .LBB35_17
.LBB35_18:
	v_mov_b32_e32 v0, s8
	v_dual_mov_b32 v2, 0 :: v_dual_mov_b32 v1, s9
	s_and_b32 vcc_lo, exec_lo, s1
	s_mov_b64 s[8:9], 0
	global_store_b64 v2, v[0:1], s[2:3] offset:48
	s_cbranch_vccnz .LBB35_21
; %bb.19:
	s_mov_b64 s[10:11], s[4:5]
	.p2align	6
.LBB35_20:                              ; =>This Inner Loop Header: Depth=1
	s_delay_alu instid0(SALU_CYCLE_1) | instskip(SKIP_1) | instid1(SALU_CYCLE_1)
	s_sub_u32 s1, s10, s8
	s_subb_u32 s13, s11, s9
	s_lshr_b32 s12, s13, 31
	s_delay_alu instid0(SALU_CYCLE_1) | instskip(SKIP_1) | instid1(SALU_CYCLE_1)
	s_add_u32 s12, s1, s12
	s_addc_u32 s13, s13, 0
	s_ashr_i64 s[12:13], s[12:13], 1
	s_delay_alu instid0(SALU_CYCLE_1) | instskip(SKIP_1) | instid1(SALU_CYCLE_1)
	s_add_u32 s12, s12, s8
	s_addc_u32 s13, s13, s9
	s_lshl_b64 s[14:15], s[12:13], 2
	s_delay_alu instid0(SALU_CYCLE_1)
	s_add_u32 s14, s6, s14
	s_addc_u32 s15, s7, s15
	s_load_b32 s1, s[14:15], 0x0
	s_add_u32 s14, s12, 1
	s_addc_u32 s15, s13, 0
	s_waitcnt lgkmcnt(0)
	s_cmp_lt_u32 s1, 7
	s_cselect_b32 s9, s15, s9
	s_cselect_b32 s8, s14, s8
	;; [unrolled: 1-line block ×4, first 2 shown]
	s_delay_alu instid0(SALU_CYCLE_1) | instskip(NEXT) | instid1(VALU_DEP_1)
	v_cmp_lt_i64_e64 s1, s[8:9], s[10:11]
	s_and_b32 vcc_lo, exec_lo, s1
	s_cbranch_vccnz .LBB35_20
.LBB35_21:
	v_dual_mov_b32 v0, 0 :: v_dual_mov_b32 v1, s8
	v_mov_b32_e32 v2, s9
	s_mov_b32 vcc_lo, s0
	global_store_b64 v0, v[1:2], s[2:3] offset:56
	s_cbranch_vccz .LBB35_23
; %bb.22:
	v_mov_b32_e32 v1, v0
	s_mov_b64 s[0:1], 0
	global_store_b64 v0, v[0:1], s[2:3] offset:64
	s_cbranch_execz .LBB35_24
	s_branch .LBB35_28
.LBB35_23:
                                        ; implicit-def: $sgpr0_sgpr1
.LBB35_24:
	s_mov_b64 s[0:1], 0
	s_mov_b64 s[8:9], s[4:5]
	.p2align	6
.LBB35_25:                              ; =>This Inner Loop Header: Depth=1
	s_delay_alu instid0(SALU_CYCLE_1) | instskip(SKIP_1) | instid1(SALU_CYCLE_1)
	s_sub_u32 s10, s8, s0
	s_subb_u32 s11, s9, s1
	s_lshr_b32 s12, s11, 31
	s_delay_alu instid0(SALU_CYCLE_1) | instskip(SKIP_1) | instid1(SALU_CYCLE_1)
	s_add_u32 s10, s10, s12
	s_addc_u32 s11, s11, 0
	s_ashr_i64 s[10:11], s[10:11], 1
	s_delay_alu instid0(SALU_CYCLE_1) | instskip(SKIP_1) | instid1(SALU_CYCLE_1)
	s_add_u32 s10, s10, s0
	s_addc_u32 s11, s11, s1
	s_lshl_b64 s[12:13], s[10:11], 2
	s_delay_alu instid0(SALU_CYCLE_1)
	s_add_u32 s12, s6, s12
	s_addc_u32 s13, s7, s13
	s_load_b32 s12, s[12:13], 0x0
	s_add_u32 s13, s10, 1
	s_addc_u32 s14, s11, 0
	s_waitcnt lgkmcnt(0)
	s_cmp_lt_u32 s12, 8
	s_cselect_b32 s1, s14, s1
	s_cselect_b32 s0, s13, s0
	;; [unrolled: 1-line block ×4, first 2 shown]
	s_delay_alu instid0(SALU_CYCLE_1) | instskip(NEXT) | instid1(VALU_DEP_1)
	v_cmp_lt_i64_e64 s10, s[0:1], s[8:9]
	s_and_b32 vcc_lo, exec_lo, s10
	s_cbranch_vccnz .LBB35_25
; %bb.26:
	v_mov_b32_e32 v0, s0
	v_dual_mov_b32 v2, 0 :: v_dual_mov_b32 v1, s1
	s_mov_b64 s[0:1], 0
	global_store_b64 v2, v[0:1], s[2:3] offset:64
	.p2align	6
.LBB35_27:                              ; =>This Inner Loop Header: Depth=1
	s_sub_u32 s8, s4, s0
	s_subb_u32 s9, s5, s1
	s_delay_alu instid0(SALU_CYCLE_1) | instskip(NEXT) | instid1(SALU_CYCLE_1)
	s_lshr_b32 s10, s9, 31
	s_add_u32 s8, s8, s10
	s_addc_u32 s9, s9, 0
	s_delay_alu instid0(SALU_CYCLE_1) | instskip(NEXT) | instid1(SALU_CYCLE_1)
	s_ashr_i64 s[8:9], s[8:9], 1
	s_add_u32 s8, s8, s0
	s_addc_u32 s9, s9, s1
	s_delay_alu instid0(SALU_CYCLE_1) | instskip(NEXT) | instid1(SALU_CYCLE_1)
	s_lshl_b64 s[10:11], s[8:9], 2
	s_add_u32 s10, s6, s10
	s_addc_u32 s11, s7, s11
	s_load_b32 s10, s[10:11], 0x0
	s_add_u32 s11, s8, 1
	s_addc_u32 s12, s9, 0
	s_waitcnt lgkmcnt(0)
	s_cmp_lt_u32 s10, 9
	s_cselect_b32 s1, s12, s1
	s_cselect_b32 s0, s11, s0
	;; [unrolled: 1-line block ×4, first 2 shown]
	s_delay_alu instid0(SALU_CYCLE_1) | instskip(NEXT) | instid1(VALU_DEP_1)
	v_cmp_ge_i64_e64 s8, s[0:1], s[4:5]
	s_and_b32 vcc_lo, exec_lo, s8
	s_cbranch_vccz .LBB35_27
.LBB35_28:
	v_mov_b32_e32 v0, s0
	v_dual_mov_b32 v2, 0 :: v_dual_mov_b32 v1, s1
	global_store_b64 v2, v[0:1], s[2:3] offset:72
	s_nop 0
	s_sendmsg sendmsg(MSG_DEALLOC_VGPRS)
	s_endpgm
	.section	.rodata,"a",@progbits
	.p2align	6, 0x0
	.amdhsa_kernel _Z18lower_bound_kernelIjEvmPT_Pl
		.amdhsa_group_segment_fixed_size 0
		.amdhsa_private_segment_fixed_size 0
		.amdhsa_kernarg_size 24
		.amdhsa_user_sgpr_count 15
		.amdhsa_user_sgpr_dispatch_ptr 0
		.amdhsa_user_sgpr_queue_ptr 0
		.amdhsa_user_sgpr_kernarg_segment_ptr 1
		.amdhsa_user_sgpr_dispatch_id 0
		.amdhsa_user_sgpr_private_segment_size 0
		.amdhsa_wavefront_size32 1
		.amdhsa_uses_dynamic_stack 0
		.amdhsa_enable_private_segment 0
		.amdhsa_system_sgpr_workgroup_id_x 1
		.amdhsa_system_sgpr_workgroup_id_y 0
		.amdhsa_system_sgpr_workgroup_id_z 0
		.amdhsa_system_sgpr_workgroup_info 0
		.amdhsa_system_vgpr_workitem_id 0
		.amdhsa_next_free_vgpr 3
		.amdhsa_next_free_sgpr 17
		.amdhsa_reserve_vcc 1
		.amdhsa_float_round_mode_32 0
		.amdhsa_float_round_mode_16_64 0
		.amdhsa_float_denorm_mode_32 3
		.amdhsa_float_denorm_mode_16_64 3
		.amdhsa_dx10_clamp 1
		.amdhsa_ieee_mode 1
		.amdhsa_fp16_overflow 0
		.amdhsa_workgroup_processor_mode 1
		.amdhsa_memory_ordered 1
		.amdhsa_forward_progress 0
		.amdhsa_shared_vgpr_count 0
		.amdhsa_exception_fp_ieee_invalid_op 0
		.amdhsa_exception_fp_denorm_src 0
		.amdhsa_exception_fp_ieee_div_zero 0
		.amdhsa_exception_fp_ieee_overflow 0
		.amdhsa_exception_fp_ieee_underflow 0
		.amdhsa_exception_fp_ieee_inexact 0
		.amdhsa_exception_int_div_zero 0
	.end_amdhsa_kernel
	.section	.text._Z18lower_bound_kernelIjEvmPT_Pl,"axG",@progbits,_Z18lower_bound_kernelIjEvmPT_Pl,comdat
.Lfunc_end35:
	.size	_Z18lower_bound_kernelIjEvmPT_Pl, .Lfunc_end35-_Z18lower_bound_kernelIjEvmPT_Pl
                                        ; -- End function
	.section	.AMDGPU.csdata,"",@progbits
; Kernel info:
; codeLenInByte = 1508
; NumSgprs: 19
; NumVgprs: 3
; ScratchSize: 0
; MemoryBound: 0
; FloatMode: 240
; IeeeMode: 1
; LDSByteSize: 0 bytes/workgroup (compile time only)
; SGPRBlocks: 2
; VGPRBlocks: 0
; NumSGPRsForWavesPerEU: 19
; NumVGPRsForWavesPerEU: 3
; Occupancy: 16
; WaveLimiterHint : 0
; COMPUTE_PGM_RSRC2:SCRATCH_EN: 0
; COMPUTE_PGM_RSRC2:USER_SGPR: 15
; COMPUTE_PGM_RSRC2:TRAP_HANDLER: 0
; COMPUTE_PGM_RSRC2:TGID_X_EN: 1
; COMPUTE_PGM_RSRC2:TGID_Y_EN: 0
; COMPUTE_PGM_RSRC2:TGID_Z_EN: 0
; COMPUTE_PGM_RSRC2:TIDIG_COMP_CNT: 0
	.section	.text._ZN7rocprim17ROCPRIM_400000_NS6detail17trampoline_kernelINS0_14default_configENS1_27lower_bound_config_selectorIjlEEZNS1_14transform_implILb0ES3_S5_N6thrust23THRUST_200600_302600_NS17counting_iteratorIjNS8_11use_defaultESA_SA_EEPlZNS1_13binary_searchIS3_S5_PjSB_SC_NS1_21lower_bound_search_opENS8_6detail16wrapped_functionI11custom_lessbEEEE10hipError_tPvRmT1_T2_T3_mmT4_T5_P12ihipStream_tbEUlRKjE_EESK_SO_SP_mSQ_ST_bEUlT_E_NS1_11comp_targetILNS1_3genE0ELNS1_11target_archE4294967295ELNS1_3gpuE0ELNS1_3repE0EEENS1_30default_config_static_selectorELNS0_4arch9wavefront6targetE0EEEvSN_,"axG",@progbits,_ZN7rocprim17ROCPRIM_400000_NS6detail17trampoline_kernelINS0_14default_configENS1_27lower_bound_config_selectorIjlEEZNS1_14transform_implILb0ES3_S5_N6thrust23THRUST_200600_302600_NS17counting_iteratorIjNS8_11use_defaultESA_SA_EEPlZNS1_13binary_searchIS3_S5_PjSB_SC_NS1_21lower_bound_search_opENS8_6detail16wrapped_functionI11custom_lessbEEEE10hipError_tPvRmT1_T2_T3_mmT4_T5_P12ihipStream_tbEUlRKjE_EESK_SO_SP_mSQ_ST_bEUlT_E_NS1_11comp_targetILNS1_3genE0ELNS1_11target_archE4294967295ELNS1_3gpuE0ELNS1_3repE0EEENS1_30default_config_static_selectorELNS0_4arch9wavefront6targetE0EEEvSN_,comdat
	.protected	_ZN7rocprim17ROCPRIM_400000_NS6detail17trampoline_kernelINS0_14default_configENS1_27lower_bound_config_selectorIjlEEZNS1_14transform_implILb0ES3_S5_N6thrust23THRUST_200600_302600_NS17counting_iteratorIjNS8_11use_defaultESA_SA_EEPlZNS1_13binary_searchIS3_S5_PjSB_SC_NS1_21lower_bound_search_opENS8_6detail16wrapped_functionI11custom_lessbEEEE10hipError_tPvRmT1_T2_T3_mmT4_T5_P12ihipStream_tbEUlRKjE_EESK_SO_SP_mSQ_ST_bEUlT_E_NS1_11comp_targetILNS1_3genE0ELNS1_11target_archE4294967295ELNS1_3gpuE0ELNS1_3repE0EEENS1_30default_config_static_selectorELNS0_4arch9wavefront6targetE0EEEvSN_ ; -- Begin function _ZN7rocprim17ROCPRIM_400000_NS6detail17trampoline_kernelINS0_14default_configENS1_27lower_bound_config_selectorIjlEEZNS1_14transform_implILb0ES3_S5_N6thrust23THRUST_200600_302600_NS17counting_iteratorIjNS8_11use_defaultESA_SA_EEPlZNS1_13binary_searchIS3_S5_PjSB_SC_NS1_21lower_bound_search_opENS8_6detail16wrapped_functionI11custom_lessbEEEE10hipError_tPvRmT1_T2_T3_mmT4_T5_P12ihipStream_tbEUlRKjE_EESK_SO_SP_mSQ_ST_bEUlT_E_NS1_11comp_targetILNS1_3genE0ELNS1_11target_archE4294967295ELNS1_3gpuE0ELNS1_3repE0EEENS1_30default_config_static_selectorELNS0_4arch9wavefront6targetE0EEEvSN_
	.globl	_ZN7rocprim17ROCPRIM_400000_NS6detail17trampoline_kernelINS0_14default_configENS1_27lower_bound_config_selectorIjlEEZNS1_14transform_implILb0ES3_S5_N6thrust23THRUST_200600_302600_NS17counting_iteratorIjNS8_11use_defaultESA_SA_EEPlZNS1_13binary_searchIS3_S5_PjSB_SC_NS1_21lower_bound_search_opENS8_6detail16wrapped_functionI11custom_lessbEEEE10hipError_tPvRmT1_T2_T3_mmT4_T5_P12ihipStream_tbEUlRKjE_EESK_SO_SP_mSQ_ST_bEUlT_E_NS1_11comp_targetILNS1_3genE0ELNS1_11target_archE4294967295ELNS1_3gpuE0ELNS1_3repE0EEENS1_30default_config_static_selectorELNS0_4arch9wavefront6targetE0EEEvSN_
	.p2align	8
	.type	_ZN7rocprim17ROCPRIM_400000_NS6detail17trampoline_kernelINS0_14default_configENS1_27lower_bound_config_selectorIjlEEZNS1_14transform_implILb0ES3_S5_N6thrust23THRUST_200600_302600_NS17counting_iteratorIjNS8_11use_defaultESA_SA_EEPlZNS1_13binary_searchIS3_S5_PjSB_SC_NS1_21lower_bound_search_opENS8_6detail16wrapped_functionI11custom_lessbEEEE10hipError_tPvRmT1_T2_T3_mmT4_T5_P12ihipStream_tbEUlRKjE_EESK_SO_SP_mSQ_ST_bEUlT_E_NS1_11comp_targetILNS1_3genE0ELNS1_11target_archE4294967295ELNS1_3gpuE0ELNS1_3repE0EEENS1_30default_config_static_selectorELNS0_4arch9wavefront6targetE0EEEvSN_,@function
_ZN7rocprim17ROCPRIM_400000_NS6detail17trampoline_kernelINS0_14default_configENS1_27lower_bound_config_selectorIjlEEZNS1_14transform_implILb0ES3_S5_N6thrust23THRUST_200600_302600_NS17counting_iteratorIjNS8_11use_defaultESA_SA_EEPlZNS1_13binary_searchIS3_S5_PjSB_SC_NS1_21lower_bound_search_opENS8_6detail16wrapped_functionI11custom_lessbEEEE10hipError_tPvRmT1_T2_T3_mmT4_T5_P12ihipStream_tbEUlRKjE_EESK_SO_SP_mSQ_ST_bEUlT_E_NS1_11comp_targetILNS1_3genE0ELNS1_11target_archE4294967295ELNS1_3gpuE0ELNS1_3repE0EEENS1_30default_config_static_selectorELNS0_4arch9wavefront6targetE0EEEvSN_: ; @_ZN7rocprim17ROCPRIM_400000_NS6detail17trampoline_kernelINS0_14default_configENS1_27lower_bound_config_selectorIjlEEZNS1_14transform_implILb0ES3_S5_N6thrust23THRUST_200600_302600_NS17counting_iteratorIjNS8_11use_defaultESA_SA_EEPlZNS1_13binary_searchIS3_S5_PjSB_SC_NS1_21lower_bound_search_opENS8_6detail16wrapped_functionI11custom_lessbEEEE10hipError_tPvRmT1_T2_T3_mmT4_T5_P12ihipStream_tbEUlRKjE_EESK_SO_SP_mSQ_ST_bEUlT_E_NS1_11comp_targetILNS1_3genE0ELNS1_11target_archE4294967295ELNS1_3gpuE0ELNS1_3repE0EEENS1_30default_config_static_selectorELNS0_4arch9wavefront6targetE0EEEvSN_
; %bb.0:
	.section	.rodata,"a",@progbits
	.p2align	6, 0x0
	.amdhsa_kernel _ZN7rocprim17ROCPRIM_400000_NS6detail17trampoline_kernelINS0_14default_configENS1_27lower_bound_config_selectorIjlEEZNS1_14transform_implILb0ES3_S5_N6thrust23THRUST_200600_302600_NS17counting_iteratorIjNS8_11use_defaultESA_SA_EEPlZNS1_13binary_searchIS3_S5_PjSB_SC_NS1_21lower_bound_search_opENS8_6detail16wrapped_functionI11custom_lessbEEEE10hipError_tPvRmT1_T2_T3_mmT4_T5_P12ihipStream_tbEUlRKjE_EESK_SO_SP_mSQ_ST_bEUlT_E_NS1_11comp_targetILNS1_3genE0ELNS1_11target_archE4294967295ELNS1_3gpuE0ELNS1_3repE0EEENS1_30default_config_static_selectorELNS0_4arch9wavefront6targetE0EEEvSN_
		.amdhsa_group_segment_fixed_size 0
		.amdhsa_private_segment_fixed_size 0
		.amdhsa_kernarg_size 56
		.amdhsa_user_sgpr_count 15
		.amdhsa_user_sgpr_dispatch_ptr 0
		.amdhsa_user_sgpr_queue_ptr 0
		.amdhsa_user_sgpr_kernarg_segment_ptr 1
		.amdhsa_user_sgpr_dispatch_id 0
		.amdhsa_user_sgpr_private_segment_size 0
		.amdhsa_wavefront_size32 1
		.amdhsa_uses_dynamic_stack 0
		.amdhsa_enable_private_segment 0
		.amdhsa_system_sgpr_workgroup_id_x 1
		.amdhsa_system_sgpr_workgroup_id_y 0
		.amdhsa_system_sgpr_workgroup_id_z 0
		.amdhsa_system_sgpr_workgroup_info 0
		.amdhsa_system_vgpr_workitem_id 0
		.amdhsa_next_free_vgpr 1
		.amdhsa_next_free_sgpr 1
		.amdhsa_reserve_vcc 0
		.amdhsa_float_round_mode_32 0
		.amdhsa_float_round_mode_16_64 0
		.amdhsa_float_denorm_mode_32 3
		.amdhsa_float_denorm_mode_16_64 3
		.amdhsa_dx10_clamp 1
		.amdhsa_ieee_mode 1
		.amdhsa_fp16_overflow 0
		.amdhsa_workgroup_processor_mode 1
		.amdhsa_memory_ordered 1
		.amdhsa_forward_progress 0
		.amdhsa_shared_vgpr_count 0
		.amdhsa_exception_fp_ieee_invalid_op 0
		.amdhsa_exception_fp_denorm_src 0
		.amdhsa_exception_fp_ieee_div_zero 0
		.amdhsa_exception_fp_ieee_overflow 0
		.amdhsa_exception_fp_ieee_underflow 0
		.amdhsa_exception_fp_ieee_inexact 0
		.amdhsa_exception_int_div_zero 0
	.end_amdhsa_kernel
	.section	.text._ZN7rocprim17ROCPRIM_400000_NS6detail17trampoline_kernelINS0_14default_configENS1_27lower_bound_config_selectorIjlEEZNS1_14transform_implILb0ES3_S5_N6thrust23THRUST_200600_302600_NS17counting_iteratorIjNS8_11use_defaultESA_SA_EEPlZNS1_13binary_searchIS3_S5_PjSB_SC_NS1_21lower_bound_search_opENS8_6detail16wrapped_functionI11custom_lessbEEEE10hipError_tPvRmT1_T2_T3_mmT4_T5_P12ihipStream_tbEUlRKjE_EESK_SO_SP_mSQ_ST_bEUlT_E_NS1_11comp_targetILNS1_3genE0ELNS1_11target_archE4294967295ELNS1_3gpuE0ELNS1_3repE0EEENS1_30default_config_static_selectorELNS0_4arch9wavefront6targetE0EEEvSN_,"axG",@progbits,_ZN7rocprim17ROCPRIM_400000_NS6detail17trampoline_kernelINS0_14default_configENS1_27lower_bound_config_selectorIjlEEZNS1_14transform_implILb0ES3_S5_N6thrust23THRUST_200600_302600_NS17counting_iteratorIjNS8_11use_defaultESA_SA_EEPlZNS1_13binary_searchIS3_S5_PjSB_SC_NS1_21lower_bound_search_opENS8_6detail16wrapped_functionI11custom_lessbEEEE10hipError_tPvRmT1_T2_T3_mmT4_T5_P12ihipStream_tbEUlRKjE_EESK_SO_SP_mSQ_ST_bEUlT_E_NS1_11comp_targetILNS1_3genE0ELNS1_11target_archE4294967295ELNS1_3gpuE0ELNS1_3repE0EEENS1_30default_config_static_selectorELNS0_4arch9wavefront6targetE0EEEvSN_,comdat
.Lfunc_end36:
	.size	_ZN7rocprim17ROCPRIM_400000_NS6detail17trampoline_kernelINS0_14default_configENS1_27lower_bound_config_selectorIjlEEZNS1_14transform_implILb0ES3_S5_N6thrust23THRUST_200600_302600_NS17counting_iteratorIjNS8_11use_defaultESA_SA_EEPlZNS1_13binary_searchIS3_S5_PjSB_SC_NS1_21lower_bound_search_opENS8_6detail16wrapped_functionI11custom_lessbEEEE10hipError_tPvRmT1_T2_T3_mmT4_T5_P12ihipStream_tbEUlRKjE_EESK_SO_SP_mSQ_ST_bEUlT_E_NS1_11comp_targetILNS1_3genE0ELNS1_11target_archE4294967295ELNS1_3gpuE0ELNS1_3repE0EEENS1_30default_config_static_selectorELNS0_4arch9wavefront6targetE0EEEvSN_, .Lfunc_end36-_ZN7rocprim17ROCPRIM_400000_NS6detail17trampoline_kernelINS0_14default_configENS1_27lower_bound_config_selectorIjlEEZNS1_14transform_implILb0ES3_S5_N6thrust23THRUST_200600_302600_NS17counting_iteratorIjNS8_11use_defaultESA_SA_EEPlZNS1_13binary_searchIS3_S5_PjSB_SC_NS1_21lower_bound_search_opENS8_6detail16wrapped_functionI11custom_lessbEEEE10hipError_tPvRmT1_T2_T3_mmT4_T5_P12ihipStream_tbEUlRKjE_EESK_SO_SP_mSQ_ST_bEUlT_E_NS1_11comp_targetILNS1_3genE0ELNS1_11target_archE4294967295ELNS1_3gpuE0ELNS1_3repE0EEENS1_30default_config_static_selectorELNS0_4arch9wavefront6targetE0EEEvSN_
                                        ; -- End function
	.section	.AMDGPU.csdata,"",@progbits
; Kernel info:
; codeLenInByte = 0
; NumSgprs: 0
; NumVgprs: 0
; ScratchSize: 0
; MemoryBound: 0
; FloatMode: 240
; IeeeMode: 1
; LDSByteSize: 0 bytes/workgroup (compile time only)
; SGPRBlocks: 0
; VGPRBlocks: 0
; NumSGPRsForWavesPerEU: 1
; NumVGPRsForWavesPerEU: 1
; Occupancy: 16
; WaveLimiterHint : 0
; COMPUTE_PGM_RSRC2:SCRATCH_EN: 0
; COMPUTE_PGM_RSRC2:USER_SGPR: 15
; COMPUTE_PGM_RSRC2:TRAP_HANDLER: 0
; COMPUTE_PGM_RSRC2:TGID_X_EN: 1
; COMPUTE_PGM_RSRC2:TGID_Y_EN: 0
; COMPUTE_PGM_RSRC2:TGID_Z_EN: 0
; COMPUTE_PGM_RSRC2:TIDIG_COMP_CNT: 0
	.section	.text._ZN7rocprim17ROCPRIM_400000_NS6detail17trampoline_kernelINS0_14default_configENS1_27lower_bound_config_selectorIjlEEZNS1_14transform_implILb0ES3_S5_N6thrust23THRUST_200600_302600_NS17counting_iteratorIjNS8_11use_defaultESA_SA_EEPlZNS1_13binary_searchIS3_S5_PjSB_SC_NS1_21lower_bound_search_opENS8_6detail16wrapped_functionI11custom_lessbEEEE10hipError_tPvRmT1_T2_T3_mmT4_T5_P12ihipStream_tbEUlRKjE_EESK_SO_SP_mSQ_ST_bEUlT_E_NS1_11comp_targetILNS1_3genE5ELNS1_11target_archE942ELNS1_3gpuE9ELNS1_3repE0EEENS1_30default_config_static_selectorELNS0_4arch9wavefront6targetE0EEEvSN_,"axG",@progbits,_ZN7rocprim17ROCPRIM_400000_NS6detail17trampoline_kernelINS0_14default_configENS1_27lower_bound_config_selectorIjlEEZNS1_14transform_implILb0ES3_S5_N6thrust23THRUST_200600_302600_NS17counting_iteratorIjNS8_11use_defaultESA_SA_EEPlZNS1_13binary_searchIS3_S5_PjSB_SC_NS1_21lower_bound_search_opENS8_6detail16wrapped_functionI11custom_lessbEEEE10hipError_tPvRmT1_T2_T3_mmT4_T5_P12ihipStream_tbEUlRKjE_EESK_SO_SP_mSQ_ST_bEUlT_E_NS1_11comp_targetILNS1_3genE5ELNS1_11target_archE942ELNS1_3gpuE9ELNS1_3repE0EEENS1_30default_config_static_selectorELNS0_4arch9wavefront6targetE0EEEvSN_,comdat
	.protected	_ZN7rocprim17ROCPRIM_400000_NS6detail17trampoline_kernelINS0_14default_configENS1_27lower_bound_config_selectorIjlEEZNS1_14transform_implILb0ES3_S5_N6thrust23THRUST_200600_302600_NS17counting_iteratorIjNS8_11use_defaultESA_SA_EEPlZNS1_13binary_searchIS3_S5_PjSB_SC_NS1_21lower_bound_search_opENS8_6detail16wrapped_functionI11custom_lessbEEEE10hipError_tPvRmT1_T2_T3_mmT4_T5_P12ihipStream_tbEUlRKjE_EESK_SO_SP_mSQ_ST_bEUlT_E_NS1_11comp_targetILNS1_3genE5ELNS1_11target_archE942ELNS1_3gpuE9ELNS1_3repE0EEENS1_30default_config_static_selectorELNS0_4arch9wavefront6targetE0EEEvSN_ ; -- Begin function _ZN7rocprim17ROCPRIM_400000_NS6detail17trampoline_kernelINS0_14default_configENS1_27lower_bound_config_selectorIjlEEZNS1_14transform_implILb0ES3_S5_N6thrust23THRUST_200600_302600_NS17counting_iteratorIjNS8_11use_defaultESA_SA_EEPlZNS1_13binary_searchIS3_S5_PjSB_SC_NS1_21lower_bound_search_opENS8_6detail16wrapped_functionI11custom_lessbEEEE10hipError_tPvRmT1_T2_T3_mmT4_T5_P12ihipStream_tbEUlRKjE_EESK_SO_SP_mSQ_ST_bEUlT_E_NS1_11comp_targetILNS1_3genE5ELNS1_11target_archE942ELNS1_3gpuE9ELNS1_3repE0EEENS1_30default_config_static_selectorELNS0_4arch9wavefront6targetE0EEEvSN_
	.globl	_ZN7rocprim17ROCPRIM_400000_NS6detail17trampoline_kernelINS0_14default_configENS1_27lower_bound_config_selectorIjlEEZNS1_14transform_implILb0ES3_S5_N6thrust23THRUST_200600_302600_NS17counting_iteratorIjNS8_11use_defaultESA_SA_EEPlZNS1_13binary_searchIS3_S5_PjSB_SC_NS1_21lower_bound_search_opENS8_6detail16wrapped_functionI11custom_lessbEEEE10hipError_tPvRmT1_T2_T3_mmT4_T5_P12ihipStream_tbEUlRKjE_EESK_SO_SP_mSQ_ST_bEUlT_E_NS1_11comp_targetILNS1_3genE5ELNS1_11target_archE942ELNS1_3gpuE9ELNS1_3repE0EEENS1_30default_config_static_selectorELNS0_4arch9wavefront6targetE0EEEvSN_
	.p2align	8
	.type	_ZN7rocprim17ROCPRIM_400000_NS6detail17trampoline_kernelINS0_14default_configENS1_27lower_bound_config_selectorIjlEEZNS1_14transform_implILb0ES3_S5_N6thrust23THRUST_200600_302600_NS17counting_iteratorIjNS8_11use_defaultESA_SA_EEPlZNS1_13binary_searchIS3_S5_PjSB_SC_NS1_21lower_bound_search_opENS8_6detail16wrapped_functionI11custom_lessbEEEE10hipError_tPvRmT1_T2_T3_mmT4_T5_P12ihipStream_tbEUlRKjE_EESK_SO_SP_mSQ_ST_bEUlT_E_NS1_11comp_targetILNS1_3genE5ELNS1_11target_archE942ELNS1_3gpuE9ELNS1_3repE0EEENS1_30default_config_static_selectorELNS0_4arch9wavefront6targetE0EEEvSN_,@function
_ZN7rocprim17ROCPRIM_400000_NS6detail17trampoline_kernelINS0_14default_configENS1_27lower_bound_config_selectorIjlEEZNS1_14transform_implILb0ES3_S5_N6thrust23THRUST_200600_302600_NS17counting_iteratorIjNS8_11use_defaultESA_SA_EEPlZNS1_13binary_searchIS3_S5_PjSB_SC_NS1_21lower_bound_search_opENS8_6detail16wrapped_functionI11custom_lessbEEEE10hipError_tPvRmT1_T2_T3_mmT4_T5_P12ihipStream_tbEUlRKjE_EESK_SO_SP_mSQ_ST_bEUlT_E_NS1_11comp_targetILNS1_3genE5ELNS1_11target_archE942ELNS1_3gpuE9ELNS1_3repE0EEENS1_30default_config_static_selectorELNS0_4arch9wavefront6targetE0EEEvSN_: ; @_ZN7rocprim17ROCPRIM_400000_NS6detail17trampoline_kernelINS0_14default_configENS1_27lower_bound_config_selectorIjlEEZNS1_14transform_implILb0ES3_S5_N6thrust23THRUST_200600_302600_NS17counting_iteratorIjNS8_11use_defaultESA_SA_EEPlZNS1_13binary_searchIS3_S5_PjSB_SC_NS1_21lower_bound_search_opENS8_6detail16wrapped_functionI11custom_lessbEEEE10hipError_tPvRmT1_T2_T3_mmT4_T5_P12ihipStream_tbEUlRKjE_EESK_SO_SP_mSQ_ST_bEUlT_E_NS1_11comp_targetILNS1_3genE5ELNS1_11target_archE942ELNS1_3gpuE9ELNS1_3repE0EEENS1_30default_config_static_selectorELNS0_4arch9wavefront6targetE0EEEvSN_
; %bb.0:
	.section	.rodata,"a",@progbits
	.p2align	6, 0x0
	.amdhsa_kernel _ZN7rocprim17ROCPRIM_400000_NS6detail17trampoline_kernelINS0_14default_configENS1_27lower_bound_config_selectorIjlEEZNS1_14transform_implILb0ES3_S5_N6thrust23THRUST_200600_302600_NS17counting_iteratorIjNS8_11use_defaultESA_SA_EEPlZNS1_13binary_searchIS3_S5_PjSB_SC_NS1_21lower_bound_search_opENS8_6detail16wrapped_functionI11custom_lessbEEEE10hipError_tPvRmT1_T2_T3_mmT4_T5_P12ihipStream_tbEUlRKjE_EESK_SO_SP_mSQ_ST_bEUlT_E_NS1_11comp_targetILNS1_3genE5ELNS1_11target_archE942ELNS1_3gpuE9ELNS1_3repE0EEENS1_30default_config_static_selectorELNS0_4arch9wavefront6targetE0EEEvSN_
		.amdhsa_group_segment_fixed_size 0
		.amdhsa_private_segment_fixed_size 0
		.amdhsa_kernarg_size 56
		.amdhsa_user_sgpr_count 15
		.amdhsa_user_sgpr_dispatch_ptr 0
		.amdhsa_user_sgpr_queue_ptr 0
		.amdhsa_user_sgpr_kernarg_segment_ptr 1
		.amdhsa_user_sgpr_dispatch_id 0
		.amdhsa_user_sgpr_private_segment_size 0
		.amdhsa_wavefront_size32 1
		.amdhsa_uses_dynamic_stack 0
		.amdhsa_enable_private_segment 0
		.amdhsa_system_sgpr_workgroup_id_x 1
		.amdhsa_system_sgpr_workgroup_id_y 0
		.amdhsa_system_sgpr_workgroup_id_z 0
		.amdhsa_system_sgpr_workgroup_info 0
		.amdhsa_system_vgpr_workitem_id 0
		.amdhsa_next_free_vgpr 1
		.amdhsa_next_free_sgpr 1
		.amdhsa_reserve_vcc 0
		.amdhsa_float_round_mode_32 0
		.amdhsa_float_round_mode_16_64 0
		.amdhsa_float_denorm_mode_32 3
		.amdhsa_float_denorm_mode_16_64 3
		.amdhsa_dx10_clamp 1
		.amdhsa_ieee_mode 1
		.amdhsa_fp16_overflow 0
		.amdhsa_workgroup_processor_mode 1
		.amdhsa_memory_ordered 1
		.amdhsa_forward_progress 0
		.amdhsa_shared_vgpr_count 0
		.amdhsa_exception_fp_ieee_invalid_op 0
		.amdhsa_exception_fp_denorm_src 0
		.amdhsa_exception_fp_ieee_div_zero 0
		.amdhsa_exception_fp_ieee_overflow 0
		.amdhsa_exception_fp_ieee_underflow 0
		.amdhsa_exception_fp_ieee_inexact 0
		.amdhsa_exception_int_div_zero 0
	.end_amdhsa_kernel
	.section	.text._ZN7rocprim17ROCPRIM_400000_NS6detail17trampoline_kernelINS0_14default_configENS1_27lower_bound_config_selectorIjlEEZNS1_14transform_implILb0ES3_S5_N6thrust23THRUST_200600_302600_NS17counting_iteratorIjNS8_11use_defaultESA_SA_EEPlZNS1_13binary_searchIS3_S5_PjSB_SC_NS1_21lower_bound_search_opENS8_6detail16wrapped_functionI11custom_lessbEEEE10hipError_tPvRmT1_T2_T3_mmT4_T5_P12ihipStream_tbEUlRKjE_EESK_SO_SP_mSQ_ST_bEUlT_E_NS1_11comp_targetILNS1_3genE5ELNS1_11target_archE942ELNS1_3gpuE9ELNS1_3repE0EEENS1_30default_config_static_selectorELNS0_4arch9wavefront6targetE0EEEvSN_,"axG",@progbits,_ZN7rocprim17ROCPRIM_400000_NS6detail17trampoline_kernelINS0_14default_configENS1_27lower_bound_config_selectorIjlEEZNS1_14transform_implILb0ES3_S5_N6thrust23THRUST_200600_302600_NS17counting_iteratorIjNS8_11use_defaultESA_SA_EEPlZNS1_13binary_searchIS3_S5_PjSB_SC_NS1_21lower_bound_search_opENS8_6detail16wrapped_functionI11custom_lessbEEEE10hipError_tPvRmT1_T2_T3_mmT4_T5_P12ihipStream_tbEUlRKjE_EESK_SO_SP_mSQ_ST_bEUlT_E_NS1_11comp_targetILNS1_3genE5ELNS1_11target_archE942ELNS1_3gpuE9ELNS1_3repE0EEENS1_30default_config_static_selectorELNS0_4arch9wavefront6targetE0EEEvSN_,comdat
.Lfunc_end37:
	.size	_ZN7rocprim17ROCPRIM_400000_NS6detail17trampoline_kernelINS0_14default_configENS1_27lower_bound_config_selectorIjlEEZNS1_14transform_implILb0ES3_S5_N6thrust23THRUST_200600_302600_NS17counting_iteratorIjNS8_11use_defaultESA_SA_EEPlZNS1_13binary_searchIS3_S5_PjSB_SC_NS1_21lower_bound_search_opENS8_6detail16wrapped_functionI11custom_lessbEEEE10hipError_tPvRmT1_T2_T3_mmT4_T5_P12ihipStream_tbEUlRKjE_EESK_SO_SP_mSQ_ST_bEUlT_E_NS1_11comp_targetILNS1_3genE5ELNS1_11target_archE942ELNS1_3gpuE9ELNS1_3repE0EEENS1_30default_config_static_selectorELNS0_4arch9wavefront6targetE0EEEvSN_, .Lfunc_end37-_ZN7rocprim17ROCPRIM_400000_NS6detail17trampoline_kernelINS0_14default_configENS1_27lower_bound_config_selectorIjlEEZNS1_14transform_implILb0ES3_S5_N6thrust23THRUST_200600_302600_NS17counting_iteratorIjNS8_11use_defaultESA_SA_EEPlZNS1_13binary_searchIS3_S5_PjSB_SC_NS1_21lower_bound_search_opENS8_6detail16wrapped_functionI11custom_lessbEEEE10hipError_tPvRmT1_T2_T3_mmT4_T5_P12ihipStream_tbEUlRKjE_EESK_SO_SP_mSQ_ST_bEUlT_E_NS1_11comp_targetILNS1_3genE5ELNS1_11target_archE942ELNS1_3gpuE9ELNS1_3repE0EEENS1_30default_config_static_selectorELNS0_4arch9wavefront6targetE0EEEvSN_
                                        ; -- End function
	.section	.AMDGPU.csdata,"",@progbits
; Kernel info:
; codeLenInByte = 0
; NumSgprs: 0
; NumVgprs: 0
; ScratchSize: 0
; MemoryBound: 0
; FloatMode: 240
; IeeeMode: 1
; LDSByteSize: 0 bytes/workgroup (compile time only)
; SGPRBlocks: 0
; VGPRBlocks: 0
; NumSGPRsForWavesPerEU: 1
; NumVGPRsForWavesPerEU: 1
; Occupancy: 16
; WaveLimiterHint : 0
; COMPUTE_PGM_RSRC2:SCRATCH_EN: 0
; COMPUTE_PGM_RSRC2:USER_SGPR: 15
; COMPUTE_PGM_RSRC2:TRAP_HANDLER: 0
; COMPUTE_PGM_RSRC2:TGID_X_EN: 1
; COMPUTE_PGM_RSRC2:TGID_Y_EN: 0
; COMPUTE_PGM_RSRC2:TGID_Z_EN: 0
; COMPUTE_PGM_RSRC2:TIDIG_COMP_CNT: 0
	.section	.text._ZN7rocprim17ROCPRIM_400000_NS6detail17trampoline_kernelINS0_14default_configENS1_27lower_bound_config_selectorIjlEEZNS1_14transform_implILb0ES3_S5_N6thrust23THRUST_200600_302600_NS17counting_iteratorIjNS8_11use_defaultESA_SA_EEPlZNS1_13binary_searchIS3_S5_PjSB_SC_NS1_21lower_bound_search_opENS8_6detail16wrapped_functionI11custom_lessbEEEE10hipError_tPvRmT1_T2_T3_mmT4_T5_P12ihipStream_tbEUlRKjE_EESK_SO_SP_mSQ_ST_bEUlT_E_NS1_11comp_targetILNS1_3genE4ELNS1_11target_archE910ELNS1_3gpuE8ELNS1_3repE0EEENS1_30default_config_static_selectorELNS0_4arch9wavefront6targetE0EEEvSN_,"axG",@progbits,_ZN7rocprim17ROCPRIM_400000_NS6detail17trampoline_kernelINS0_14default_configENS1_27lower_bound_config_selectorIjlEEZNS1_14transform_implILb0ES3_S5_N6thrust23THRUST_200600_302600_NS17counting_iteratorIjNS8_11use_defaultESA_SA_EEPlZNS1_13binary_searchIS3_S5_PjSB_SC_NS1_21lower_bound_search_opENS8_6detail16wrapped_functionI11custom_lessbEEEE10hipError_tPvRmT1_T2_T3_mmT4_T5_P12ihipStream_tbEUlRKjE_EESK_SO_SP_mSQ_ST_bEUlT_E_NS1_11comp_targetILNS1_3genE4ELNS1_11target_archE910ELNS1_3gpuE8ELNS1_3repE0EEENS1_30default_config_static_selectorELNS0_4arch9wavefront6targetE0EEEvSN_,comdat
	.protected	_ZN7rocprim17ROCPRIM_400000_NS6detail17trampoline_kernelINS0_14default_configENS1_27lower_bound_config_selectorIjlEEZNS1_14transform_implILb0ES3_S5_N6thrust23THRUST_200600_302600_NS17counting_iteratorIjNS8_11use_defaultESA_SA_EEPlZNS1_13binary_searchIS3_S5_PjSB_SC_NS1_21lower_bound_search_opENS8_6detail16wrapped_functionI11custom_lessbEEEE10hipError_tPvRmT1_T2_T3_mmT4_T5_P12ihipStream_tbEUlRKjE_EESK_SO_SP_mSQ_ST_bEUlT_E_NS1_11comp_targetILNS1_3genE4ELNS1_11target_archE910ELNS1_3gpuE8ELNS1_3repE0EEENS1_30default_config_static_selectorELNS0_4arch9wavefront6targetE0EEEvSN_ ; -- Begin function _ZN7rocprim17ROCPRIM_400000_NS6detail17trampoline_kernelINS0_14default_configENS1_27lower_bound_config_selectorIjlEEZNS1_14transform_implILb0ES3_S5_N6thrust23THRUST_200600_302600_NS17counting_iteratorIjNS8_11use_defaultESA_SA_EEPlZNS1_13binary_searchIS3_S5_PjSB_SC_NS1_21lower_bound_search_opENS8_6detail16wrapped_functionI11custom_lessbEEEE10hipError_tPvRmT1_T2_T3_mmT4_T5_P12ihipStream_tbEUlRKjE_EESK_SO_SP_mSQ_ST_bEUlT_E_NS1_11comp_targetILNS1_3genE4ELNS1_11target_archE910ELNS1_3gpuE8ELNS1_3repE0EEENS1_30default_config_static_selectorELNS0_4arch9wavefront6targetE0EEEvSN_
	.globl	_ZN7rocprim17ROCPRIM_400000_NS6detail17trampoline_kernelINS0_14default_configENS1_27lower_bound_config_selectorIjlEEZNS1_14transform_implILb0ES3_S5_N6thrust23THRUST_200600_302600_NS17counting_iteratorIjNS8_11use_defaultESA_SA_EEPlZNS1_13binary_searchIS3_S5_PjSB_SC_NS1_21lower_bound_search_opENS8_6detail16wrapped_functionI11custom_lessbEEEE10hipError_tPvRmT1_T2_T3_mmT4_T5_P12ihipStream_tbEUlRKjE_EESK_SO_SP_mSQ_ST_bEUlT_E_NS1_11comp_targetILNS1_3genE4ELNS1_11target_archE910ELNS1_3gpuE8ELNS1_3repE0EEENS1_30default_config_static_selectorELNS0_4arch9wavefront6targetE0EEEvSN_
	.p2align	8
	.type	_ZN7rocprim17ROCPRIM_400000_NS6detail17trampoline_kernelINS0_14default_configENS1_27lower_bound_config_selectorIjlEEZNS1_14transform_implILb0ES3_S5_N6thrust23THRUST_200600_302600_NS17counting_iteratorIjNS8_11use_defaultESA_SA_EEPlZNS1_13binary_searchIS3_S5_PjSB_SC_NS1_21lower_bound_search_opENS8_6detail16wrapped_functionI11custom_lessbEEEE10hipError_tPvRmT1_T2_T3_mmT4_T5_P12ihipStream_tbEUlRKjE_EESK_SO_SP_mSQ_ST_bEUlT_E_NS1_11comp_targetILNS1_3genE4ELNS1_11target_archE910ELNS1_3gpuE8ELNS1_3repE0EEENS1_30default_config_static_selectorELNS0_4arch9wavefront6targetE0EEEvSN_,@function
_ZN7rocprim17ROCPRIM_400000_NS6detail17trampoline_kernelINS0_14default_configENS1_27lower_bound_config_selectorIjlEEZNS1_14transform_implILb0ES3_S5_N6thrust23THRUST_200600_302600_NS17counting_iteratorIjNS8_11use_defaultESA_SA_EEPlZNS1_13binary_searchIS3_S5_PjSB_SC_NS1_21lower_bound_search_opENS8_6detail16wrapped_functionI11custom_lessbEEEE10hipError_tPvRmT1_T2_T3_mmT4_T5_P12ihipStream_tbEUlRKjE_EESK_SO_SP_mSQ_ST_bEUlT_E_NS1_11comp_targetILNS1_3genE4ELNS1_11target_archE910ELNS1_3gpuE8ELNS1_3repE0EEENS1_30default_config_static_selectorELNS0_4arch9wavefront6targetE0EEEvSN_: ; @_ZN7rocprim17ROCPRIM_400000_NS6detail17trampoline_kernelINS0_14default_configENS1_27lower_bound_config_selectorIjlEEZNS1_14transform_implILb0ES3_S5_N6thrust23THRUST_200600_302600_NS17counting_iteratorIjNS8_11use_defaultESA_SA_EEPlZNS1_13binary_searchIS3_S5_PjSB_SC_NS1_21lower_bound_search_opENS8_6detail16wrapped_functionI11custom_lessbEEEE10hipError_tPvRmT1_T2_T3_mmT4_T5_P12ihipStream_tbEUlRKjE_EESK_SO_SP_mSQ_ST_bEUlT_E_NS1_11comp_targetILNS1_3genE4ELNS1_11target_archE910ELNS1_3gpuE8ELNS1_3repE0EEENS1_30default_config_static_selectorELNS0_4arch9wavefront6targetE0EEEvSN_
; %bb.0:
	.section	.rodata,"a",@progbits
	.p2align	6, 0x0
	.amdhsa_kernel _ZN7rocprim17ROCPRIM_400000_NS6detail17trampoline_kernelINS0_14default_configENS1_27lower_bound_config_selectorIjlEEZNS1_14transform_implILb0ES3_S5_N6thrust23THRUST_200600_302600_NS17counting_iteratorIjNS8_11use_defaultESA_SA_EEPlZNS1_13binary_searchIS3_S5_PjSB_SC_NS1_21lower_bound_search_opENS8_6detail16wrapped_functionI11custom_lessbEEEE10hipError_tPvRmT1_T2_T3_mmT4_T5_P12ihipStream_tbEUlRKjE_EESK_SO_SP_mSQ_ST_bEUlT_E_NS1_11comp_targetILNS1_3genE4ELNS1_11target_archE910ELNS1_3gpuE8ELNS1_3repE0EEENS1_30default_config_static_selectorELNS0_4arch9wavefront6targetE0EEEvSN_
		.amdhsa_group_segment_fixed_size 0
		.amdhsa_private_segment_fixed_size 0
		.amdhsa_kernarg_size 56
		.amdhsa_user_sgpr_count 15
		.amdhsa_user_sgpr_dispatch_ptr 0
		.amdhsa_user_sgpr_queue_ptr 0
		.amdhsa_user_sgpr_kernarg_segment_ptr 1
		.amdhsa_user_sgpr_dispatch_id 0
		.amdhsa_user_sgpr_private_segment_size 0
		.amdhsa_wavefront_size32 1
		.amdhsa_uses_dynamic_stack 0
		.amdhsa_enable_private_segment 0
		.amdhsa_system_sgpr_workgroup_id_x 1
		.amdhsa_system_sgpr_workgroup_id_y 0
		.amdhsa_system_sgpr_workgroup_id_z 0
		.amdhsa_system_sgpr_workgroup_info 0
		.amdhsa_system_vgpr_workitem_id 0
		.amdhsa_next_free_vgpr 1
		.amdhsa_next_free_sgpr 1
		.amdhsa_reserve_vcc 0
		.amdhsa_float_round_mode_32 0
		.amdhsa_float_round_mode_16_64 0
		.amdhsa_float_denorm_mode_32 3
		.amdhsa_float_denorm_mode_16_64 3
		.amdhsa_dx10_clamp 1
		.amdhsa_ieee_mode 1
		.amdhsa_fp16_overflow 0
		.amdhsa_workgroup_processor_mode 1
		.amdhsa_memory_ordered 1
		.amdhsa_forward_progress 0
		.amdhsa_shared_vgpr_count 0
		.amdhsa_exception_fp_ieee_invalid_op 0
		.amdhsa_exception_fp_denorm_src 0
		.amdhsa_exception_fp_ieee_div_zero 0
		.amdhsa_exception_fp_ieee_overflow 0
		.amdhsa_exception_fp_ieee_underflow 0
		.amdhsa_exception_fp_ieee_inexact 0
		.amdhsa_exception_int_div_zero 0
	.end_amdhsa_kernel
	.section	.text._ZN7rocprim17ROCPRIM_400000_NS6detail17trampoline_kernelINS0_14default_configENS1_27lower_bound_config_selectorIjlEEZNS1_14transform_implILb0ES3_S5_N6thrust23THRUST_200600_302600_NS17counting_iteratorIjNS8_11use_defaultESA_SA_EEPlZNS1_13binary_searchIS3_S5_PjSB_SC_NS1_21lower_bound_search_opENS8_6detail16wrapped_functionI11custom_lessbEEEE10hipError_tPvRmT1_T2_T3_mmT4_T5_P12ihipStream_tbEUlRKjE_EESK_SO_SP_mSQ_ST_bEUlT_E_NS1_11comp_targetILNS1_3genE4ELNS1_11target_archE910ELNS1_3gpuE8ELNS1_3repE0EEENS1_30default_config_static_selectorELNS0_4arch9wavefront6targetE0EEEvSN_,"axG",@progbits,_ZN7rocprim17ROCPRIM_400000_NS6detail17trampoline_kernelINS0_14default_configENS1_27lower_bound_config_selectorIjlEEZNS1_14transform_implILb0ES3_S5_N6thrust23THRUST_200600_302600_NS17counting_iteratorIjNS8_11use_defaultESA_SA_EEPlZNS1_13binary_searchIS3_S5_PjSB_SC_NS1_21lower_bound_search_opENS8_6detail16wrapped_functionI11custom_lessbEEEE10hipError_tPvRmT1_T2_T3_mmT4_T5_P12ihipStream_tbEUlRKjE_EESK_SO_SP_mSQ_ST_bEUlT_E_NS1_11comp_targetILNS1_3genE4ELNS1_11target_archE910ELNS1_3gpuE8ELNS1_3repE0EEENS1_30default_config_static_selectorELNS0_4arch9wavefront6targetE0EEEvSN_,comdat
.Lfunc_end38:
	.size	_ZN7rocprim17ROCPRIM_400000_NS6detail17trampoline_kernelINS0_14default_configENS1_27lower_bound_config_selectorIjlEEZNS1_14transform_implILb0ES3_S5_N6thrust23THRUST_200600_302600_NS17counting_iteratorIjNS8_11use_defaultESA_SA_EEPlZNS1_13binary_searchIS3_S5_PjSB_SC_NS1_21lower_bound_search_opENS8_6detail16wrapped_functionI11custom_lessbEEEE10hipError_tPvRmT1_T2_T3_mmT4_T5_P12ihipStream_tbEUlRKjE_EESK_SO_SP_mSQ_ST_bEUlT_E_NS1_11comp_targetILNS1_3genE4ELNS1_11target_archE910ELNS1_3gpuE8ELNS1_3repE0EEENS1_30default_config_static_selectorELNS0_4arch9wavefront6targetE0EEEvSN_, .Lfunc_end38-_ZN7rocprim17ROCPRIM_400000_NS6detail17trampoline_kernelINS0_14default_configENS1_27lower_bound_config_selectorIjlEEZNS1_14transform_implILb0ES3_S5_N6thrust23THRUST_200600_302600_NS17counting_iteratorIjNS8_11use_defaultESA_SA_EEPlZNS1_13binary_searchIS3_S5_PjSB_SC_NS1_21lower_bound_search_opENS8_6detail16wrapped_functionI11custom_lessbEEEE10hipError_tPvRmT1_T2_T3_mmT4_T5_P12ihipStream_tbEUlRKjE_EESK_SO_SP_mSQ_ST_bEUlT_E_NS1_11comp_targetILNS1_3genE4ELNS1_11target_archE910ELNS1_3gpuE8ELNS1_3repE0EEENS1_30default_config_static_selectorELNS0_4arch9wavefront6targetE0EEEvSN_
                                        ; -- End function
	.section	.AMDGPU.csdata,"",@progbits
; Kernel info:
; codeLenInByte = 0
; NumSgprs: 0
; NumVgprs: 0
; ScratchSize: 0
; MemoryBound: 0
; FloatMode: 240
; IeeeMode: 1
; LDSByteSize: 0 bytes/workgroup (compile time only)
; SGPRBlocks: 0
; VGPRBlocks: 0
; NumSGPRsForWavesPerEU: 1
; NumVGPRsForWavesPerEU: 1
; Occupancy: 16
; WaveLimiterHint : 0
; COMPUTE_PGM_RSRC2:SCRATCH_EN: 0
; COMPUTE_PGM_RSRC2:USER_SGPR: 15
; COMPUTE_PGM_RSRC2:TRAP_HANDLER: 0
; COMPUTE_PGM_RSRC2:TGID_X_EN: 1
; COMPUTE_PGM_RSRC2:TGID_Y_EN: 0
; COMPUTE_PGM_RSRC2:TGID_Z_EN: 0
; COMPUTE_PGM_RSRC2:TIDIG_COMP_CNT: 0
	.section	.text._ZN7rocprim17ROCPRIM_400000_NS6detail17trampoline_kernelINS0_14default_configENS1_27lower_bound_config_selectorIjlEEZNS1_14transform_implILb0ES3_S5_N6thrust23THRUST_200600_302600_NS17counting_iteratorIjNS8_11use_defaultESA_SA_EEPlZNS1_13binary_searchIS3_S5_PjSB_SC_NS1_21lower_bound_search_opENS8_6detail16wrapped_functionI11custom_lessbEEEE10hipError_tPvRmT1_T2_T3_mmT4_T5_P12ihipStream_tbEUlRKjE_EESK_SO_SP_mSQ_ST_bEUlT_E_NS1_11comp_targetILNS1_3genE3ELNS1_11target_archE908ELNS1_3gpuE7ELNS1_3repE0EEENS1_30default_config_static_selectorELNS0_4arch9wavefront6targetE0EEEvSN_,"axG",@progbits,_ZN7rocprim17ROCPRIM_400000_NS6detail17trampoline_kernelINS0_14default_configENS1_27lower_bound_config_selectorIjlEEZNS1_14transform_implILb0ES3_S5_N6thrust23THRUST_200600_302600_NS17counting_iteratorIjNS8_11use_defaultESA_SA_EEPlZNS1_13binary_searchIS3_S5_PjSB_SC_NS1_21lower_bound_search_opENS8_6detail16wrapped_functionI11custom_lessbEEEE10hipError_tPvRmT1_T2_T3_mmT4_T5_P12ihipStream_tbEUlRKjE_EESK_SO_SP_mSQ_ST_bEUlT_E_NS1_11comp_targetILNS1_3genE3ELNS1_11target_archE908ELNS1_3gpuE7ELNS1_3repE0EEENS1_30default_config_static_selectorELNS0_4arch9wavefront6targetE0EEEvSN_,comdat
	.protected	_ZN7rocprim17ROCPRIM_400000_NS6detail17trampoline_kernelINS0_14default_configENS1_27lower_bound_config_selectorIjlEEZNS1_14transform_implILb0ES3_S5_N6thrust23THRUST_200600_302600_NS17counting_iteratorIjNS8_11use_defaultESA_SA_EEPlZNS1_13binary_searchIS3_S5_PjSB_SC_NS1_21lower_bound_search_opENS8_6detail16wrapped_functionI11custom_lessbEEEE10hipError_tPvRmT1_T2_T3_mmT4_T5_P12ihipStream_tbEUlRKjE_EESK_SO_SP_mSQ_ST_bEUlT_E_NS1_11comp_targetILNS1_3genE3ELNS1_11target_archE908ELNS1_3gpuE7ELNS1_3repE0EEENS1_30default_config_static_selectorELNS0_4arch9wavefront6targetE0EEEvSN_ ; -- Begin function _ZN7rocprim17ROCPRIM_400000_NS6detail17trampoline_kernelINS0_14default_configENS1_27lower_bound_config_selectorIjlEEZNS1_14transform_implILb0ES3_S5_N6thrust23THRUST_200600_302600_NS17counting_iteratorIjNS8_11use_defaultESA_SA_EEPlZNS1_13binary_searchIS3_S5_PjSB_SC_NS1_21lower_bound_search_opENS8_6detail16wrapped_functionI11custom_lessbEEEE10hipError_tPvRmT1_T2_T3_mmT4_T5_P12ihipStream_tbEUlRKjE_EESK_SO_SP_mSQ_ST_bEUlT_E_NS1_11comp_targetILNS1_3genE3ELNS1_11target_archE908ELNS1_3gpuE7ELNS1_3repE0EEENS1_30default_config_static_selectorELNS0_4arch9wavefront6targetE0EEEvSN_
	.globl	_ZN7rocprim17ROCPRIM_400000_NS6detail17trampoline_kernelINS0_14default_configENS1_27lower_bound_config_selectorIjlEEZNS1_14transform_implILb0ES3_S5_N6thrust23THRUST_200600_302600_NS17counting_iteratorIjNS8_11use_defaultESA_SA_EEPlZNS1_13binary_searchIS3_S5_PjSB_SC_NS1_21lower_bound_search_opENS8_6detail16wrapped_functionI11custom_lessbEEEE10hipError_tPvRmT1_T2_T3_mmT4_T5_P12ihipStream_tbEUlRKjE_EESK_SO_SP_mSQ_ST_bEUlT_E_NS1_11comp_targetILNS1_3genE3ELNS1_11target_archE908ELNS1_3gpuE7ELNS1_3repE0EEENS1_30default_config_static_selectorELNS0_4arch9wavefront6targetE0EEEvSN_
	.p2align	8
	.type	_ZN7rocprim17ROCPRIM_400000_NS6detail17trampoline_kernelINS0_14default_configENS1_27lower_bound_config_selectorIjlEEZNS1_14transform_implILb0ES3_S5_N6thrust23THRUST_200600_302600_NS17counting_iteratorIjNS8_11use_defaultESA_SA_EEPlZNS1_13binary_searchIS3_S5_PjSB_SC_NS1_21lower_bound_search_opENS8_6detail16wrapped_functionI11custom_lessbEEEE10hipError_tPvRmT1_T2_T3_mmT4_T5_P12ihipStream_tbEUlRKjE_EESK_SO_SP_mSQ_ST_bEUlT_E_NS1_11comp_targetILNS1_3genE3ELNS1_11target_archE908ELNS1_3gpuE7ELNS1_3repE0EEENS1_30default_config_static_selectorELNS0_4arch9wavefront6targetE0EEEvSN_,@function
_ZN7rocprim17ROCPRIM_400000_NS6detail17trampoline_kernelINS0_14default_configENS1_27lower_bound_config_selectorIjlEEZNS1_14transform_implILb0ES3_S5_N6thrust23THRUST_200600_302600_NS17counting_iteratorIjNS8_11use_defaultESA_SA_EEPlZNS1_13binary_searchIS3_S5_PjSB_SC_NS1_21lower_bound_search_opENS8_6detail16wrapped_functionI11custom_lessbEEEE10hipError_tPvRmT1_T2_T3_mmT4_T5_P12ihipStream_tbEUlRKjE_EESK_SO_SP_mSQ_ST_bEUlT_E_NS1_11comp_targetILNS1_3genE3ELNS1_11target_archE908ELNS1_3gpuE7ELNS1_3repE0EEENS1_30default_config_static_selectorELNS0_4arch9wavefront6targetE0EEEvSN_: ; @_ZN7rocprim17ROCPRIM_400000_NS6detail17trampoline_kernelINS0_14default_configENS1_27lower_bound_config_selectorIjlEEZNS1_14transform_implILb0ES3_S5_N6thrust23THRUST_200600_302600_NS17counting_iteratorIjNS8_11use_defaultESA_SA_EEPlZNS1_13binary_searchIS3_S5_PjSB_SC_NS1_21lower_bound_search_opENS8_6detail16wrapped_functionI11custom_lessbEEEE10hipError_tPvRmT1_T2_T3_mmT4_T5_P12ihipStream_tbEUlRKjE_EESK_SO_SP_mSQ_ST_bEUlT_E_NS1_11comp_targetILNS1_3genE3ELNS1_11target_archE908ELNS1_3gpuE7ELNS1_3repE0EEENS1_30default_config_static_selectorELNS0_4arch9wavefront6targetE0EEEvSN_
; %bb.0:
	.section	.rodata,"a",@progbits
	.p2align	6, 0x0
	.amdhsa_kernel _ZN7rocprim17ROCPRIM_400000_NS6detail17trampoline_kernelINS0_14default_configENS1_27lower_bound_config_selectorIjlEEZNS1_14transform_implILb0ES3_S5_N6thrust23THRUST_200600_302600_NS17counting_iteratorIjNS8_11use_defaultESA_SA_EEPlZNS1_13binary_searchIS3_S5_PjSB_SC_NS1_21lower_bound_search_opENS8_6detail16wrapped_functionI11custom_lessbEEEE10hipError_tPvRmT1_T2_T3_mmT4_T5_P12ihipStream_tbEUlRKjE_EESK_SO_SP_mSQ_ST_bEUlT_E_NS1_11comp_targetILNS1_3genE3ELNS1_11target_archE908ELNS1_3gpuE7ELNS1_3repE0EEENS1_30default_config_static_selectorELNS0_4arch9wavefront6targetE0EEEvSN_
		.amdhsa_group_segment_fixed_size 0
		.amdhsa_private_segment_fixed_size 0
		.amdhsa_kernarg_size 56
		.amdhsa_user_sgpr_count 15
		.amdhsa_user_sgpr_dispatch_ptr 0
		.amdhsa_user_sgpr_queue_ptr 0
		.amdhsa_user_sgpr_kernarg_segment_ptr 1
		.amdhsa_user_sgpr_dispatch_id 0
		.amdhsa_user_sgpr_private_segment_size 0
		.amdhsa_wavefront_size32 1
		.amdhsa_uses_dynamic_stack 0
		.amdhsa_enable_private_segment 0
		.amdhsa_system_sgpr_workgroup_id_x 1
		.amdhsa_system_sgpr_workgroup_id_y 0
		.amdhsa_system_sgpr_workgroup_id_z 0
		.amdhsa_system_sgpr_workgroup_info 0
		.amdhsa_system_vgpr_workitem_id 0
		.amdhsa_next_free_vgpr 1
		.amdhsa_next_free_sgpr 1
		.amdhsa_reserve_vcc 0
		.amdhsa_float_round_mode_32 0
		.amdhsa_float_round_mode_16_64 0
		.amdhsa_float_denorm_mode_32 3
		.amdhsa_float_denorm_mode_16_64 3
		.amdhsa_dx10_clamp 1
		.amdhsa_ieee_mode 1
		.amdhsa_fp16_overflow 0
		.amdhsa_workgroup_processor_mode 1
		.amdhsa_memory_ordered 1
		.amdhsa_forward_progress 0
		.amdhsa_shared_vgpr_count 0
		.amdhsa_exception_fp_ieee_invalid_op 0
		.amdhsa_exception_fp_denorm_src 0
		.amdhsa_exception_fp_ieee_div_zero 0
		.amdhsa_exception_fp_ieee_overflow 0
		.amdhsa_exception_fp_ieee_underflow 0
		.amdhsa_exception_fp_ieee_inexact 0
		.amdhsa_exception_int_div_zero 0
	.end_amdhsa_kernel
	.section	.text._ZN7rocprim17ROCPRIM_400000_NS6detail17trampoline_kernelINS0_14default_configENS1_27lower_bound_config_selectorIjlEEZNS1_14transform_implILb0ES3_S5_N6thrust23THRUST_200600_302600_NS17counting_iteratorIjNS8_11use_defaultESA_SA_EEPlZNS1_13binary_searchIS3_S5_PjSB_SC_NS1_21lower_bound_search_opENS8_6detail16wrapped_functionI11custom_lessbEEEE10hipError_tPvRmT1_T2_T3_mmT4_T5_P12ihipStream_tbEUlRKjE_EESK_SO_SP_mSQ_ST_bEUlT_E_NS1_11comp_targetILNS1_3genE3ELNS1_11target_archE908ELNS1_3gpuE7ELNS1_3repE0EEENS1_30default_config_static_selectorELNS0_4arch9wavefront6targetE0EEEvSN_,"axG",@progbits,_ZN7rocprim17ROCPRIM_400000_NS6detail17trampoline_kernelINS0_14default_configENS1_27lower_bound_config_selectorIjlEEZNS1_14transform_implILb0ES3_S5_N6thrust23THRUST_200600_302600_NS17counting_iteratorIjNS8_11use_defaultESA_SA_EEPlZNS1_13binary_searchIS3_S5_PjSB_SC_NS1_21lower_bound_search_opENS8_6detail16wrapped_functionI11custom_lessbEEEE10hipError_tPvRmT1_T2_T3_mmT4_T5_P12ihipStream_tbEUlRKjE_EESK_SO_SP_mSQ_ST_bEUlT_E_NS1_11comp_targetILNS1_3genE3ELNS1_11target_archE908ELNS1_3gpuE7ELNS1_3repE0EEENS1_30default_config_static_selectorELNS0_4arch9wavefront6targetE0EEEvSN_,comdat
.Lfunc_end39:
	.size	_ZN7rocprim17ROCPRIM_400000_NS6detail17trampoline_kernelINS0_14default_configENS1_27lower_bound_config_selectorIjlEEZNS1_14transform_implILb0ES3_S5_N6thrust23THRUST_200600_302600_NS17counting_iteratorIjNS8_11use_defaultESA_SA_EEPlZNS1_13binary_searchIS3_S5_PjSB_SC_NS1_21lower_bound_search_opENS8_6detail16wrapped_functionI11custom_lessbEEEE10hipError_tPvRmT1_T2_T3_mmT4_T5_P12ihipStream_tbEUlRKjE_EESK_SO_SP_mSQ_ST_bEUlT_E_NS1_11comp_targetILNS1_3genE3ELNS1_11target_archE908ELNS1_3gpuE7ELNS1_3repE0EEENS1_30default_config_static_selectorELNS0_4arch9wavefront6targetE0EEEvSN_, .Lfunc_end39-_ZN7rocprim17ROCPRIM_400000_NS6detail17trampoline_kernelINS0_14default_configENS1_27lower_bound_config_selectorIjlEEZNS1_14transform_implILb0ES3_S5_N6thrust23THRUST_200600_302600_NS17counting_iteratorIjNS8_11use_defaultESA_SA_EEPlZNS1_13binary_searchIS3_S5_PjSB_SC_NS1_21lower_bound_search_opENS8_6detail16wrapped_functionI11custom_lessbEEEE10hipError_tPvRmT1_T2_T3_mmT4_T5_P12ihipStream_tbEUlRKjE_EESK_SO_SP_mSQ_ST_bEUlT_E_NS1_11comp_targetILNS1_3genE3ELNS1_11target_archE908ELNS1_3gpuE7ELNS1_3repE0EEENS1_30default_config_static_selectorELNS0_4arch9wavefront6targetE0EEEvSN_
                                        ; -- End function
	.section	.AMDGPU.csdata,"",@progbits
; Kernel info:
; codeLenInByte = 0
; NumSgprs: 0
; NumVgprs: 0
; ScratchSize: 0
; MemoryBound: 0
; FloatMode: 240
; IeeeMode: 1
; LDSByteSize: 0 bytes/workgroup (compile time only)
; SGPRBlocks: 0
; VGPRBlocks: 0
; NumSGPRsForWavesPerEU: 1
; NumVGPRsForWavesPerEU: 1
; Occupancy: 16
; WaveLimiterHint : 0
; COMPUTE_PGM_RSRC2:SCRATCH_EN: 0
; COMPUTE_PGM_RSRC2:USER_SGPR: 15
; COMPUTE_PGM_RSRC2:TRAP_HANDLER: 0
; COMPUTE_PGM_RSRC2:TGID_X_EN: 1
; COMPUTE_PGM_RSRC2:TGID_Y_EN: 0
; COMPUTE_PGM_RSRC2:TGID_Z_EN: 0
; COMPUTE_PGM_RSRC2:TIDIG_COMP_CNT: 0
	.section	.text._ZN7rocprim17ROCPRIM_400000_NS6detail17trampoline_kernelINS0_14default_configENS1_27lower_bound_config_selectorIjlEEZNS1_14transform_implILb0ES3_S5_N6thrust23THRUST_200600_302600_NS17counting_iteratorIjNS8_11use_defaultESA_SA_EEPlZNS1_13binary_searchIS3_S5_PjSB_SC_NS1_21lower_bound_search_opENS8_6detail16wrapped_functionI11custom_lessbEEEE10hipError_tPvRmT1_T2_T3_mmT4_T5_P12ihipStream_tbEUlRKjE_EESK_SO_SP_mSQ_ST_bEUlT_E_NS1_11comp_targetILNS1_3genE2ELNS1_11target_archE906ELNS1_3gpuE6ELNS1_3repE0EEENS1_30default_config_static_selectorELNS0_4arch9wavefront6targetE0EEEvSN_,"axG",@progbits,_ZN7rocprim17ROCPRIM_400000_NS6detail17trampoline_kernelINS0_14default_configENS1_27lower_bound_config_selectorIjlEEZNS1_14transform_implILb0ES3_S5_N6thrust23THRUST_200600_302600_NS17counting_iteratorIjNS8_11use_defaultESA_SA_EEPlZNS1_13binary_searchIS3_S5_PjSB_SC_NS1_21lower_bound_search_opENS8_6detail16wrapped_functionI11custom_lessbEEEE10hipError_tPvRmT1_T2_T3_mmT4_T5_P12ihipStream_tbEUlRKjE_EESK_SO_SP_mSQ_ST_bEUlT_E_NS1_11comp_targetILNS1_3genE2ELNS1_11target_archE906ELNS1_3gpuE6ELNS1_3repE0EEENS1_30default_config_static_selectorELNS0_4arch9wavefront6targetE0EEEvSN_,comdat
	.protected	_ZN7rocprim17ROCPRIM_400000_NS6detail17trampoline_kernelINS0_14default_configENS1_27lower_bound_config_selectorIjlEEZNS1_14transform_implILb0ES3_S5_N6thrust23THRUST_200600_302600_NS17counting_iteratorIjNS8_11use_defaultESA_SA_EEPlZNS1_13binary_searchIS3_S5_PjSB_SC_NS1_21lower_bound_search_opENS8_6detail16wrapped_functionI11custom_lessbEEEE10hipError_tPvRmT1_T2_T3_mmT4_T5_P12ihipStream_tbEUlRKjE_EESK_SO_SP_mSQ_ST_bEUlT_E_NS1_11comp_targetILNS1_3genE2ELNS1_11target_archE906ELNS1_3gpuE6ELNS1_3repE0EEENS1_30default_config_static_selectorELNS0_4arch9wavefront6targetE0EEEvSN_ ; -- Begin function _ZN7rocprim17ROCPRIM_400000_NS6detail17trampoline_kernelINS0_14default_configENS1_27lower_bound_config_selectorIjlEEZNS1_14transform_implILb0ES3_S5_N6thrust23THRUST_200600_302600_NS17counting_iteratorIjNS8_11use_defaultESA_SA_EEPlZNS1_13binary_searchIS3_S5_PjSB_SC_NS1_21lower_bound_search_opENS8_6detail16wrapped_functionI11custom_lessbEEEE10hipError_tPvRmT1_T2_T3_mmT4_T5_P12ihipStream_tbEUlRKjE_EESK_SO_SP_mSQ_ST_bEUlT_E_NS1_11comp_targetILNS1_3genE2ELNS1_11target_archE906ELNS1_3gpuE6ELNS1_3repE0EEENS1_30default_config_static_selectorELNS0_4arch9wavefront6targetE0EEEvSN_
	.globl	_ZN7rocprim17ROCPRIM_400000_NS6detail17trampoline_kernelINS0_14default_configENS1_27lower_bound_config_selectorIjlEEZNS1_14transform_implILb0ES3_S5_N6thrust23THRUST_200600_302600_NS17counting_iteratorIjNS8_11use_defaultESA_SA_EEPlZNS1_13binary_searchIS3_S5_PjSB_SC_NS1_21lower_bound_search_opENS8_6detail16wrapped_functionI11custom_lessbEEEE10hipError_tPvRmT1_T2_T3_mmT4_T5_P12ihipStream_tbEUlRKjE_EESK_SO_SP_mSQ_ST_bEUlT_E_NS1_11comp_targetILNS1_3genE2ELNS1_11target_archE906ELNS1_3gpuE6ELNS1_3repE0EEENS1_30default_config_static_selectorELNS0_4arch9wavefront6targetE0EEEvSN_
	.p2align	8
	.type	_ZN7rocprim17ROCPRIM_400000_NS6detail17trampoline_kernelINS0_14default_configENS1_27lower_bound_config_selectorIjlEEZNS1_14transform_implILb0ES3_S5_N6thrust23THRUST_200600_302600_NS17counting_iteratorIjNS8_11use_defaultESA_SA_EEPlZNS1_13binary_searchIS3_S5_PjSB_SC_NS1_21lower_bound_search_opENS8_6detail16wrapped_functionI11custom_lessbEEEE10hipError_tPvRmT1_T2_T3_mmT4_T5_P12ihipStream_tbEUlRKjE_EESK_SO_SP_mSQ_ST_bEUlT_E_NS1_11comp_targetILNS1_3genE2ELNS1_11target_archE906ELNS1_3gpuE6ELNS1_3repE0EEENS1_30default_config_static_selectorELNS0_4arch9wavefront6targetE0EEEvSN_,@function
_ZN7rocprim17ROCPRIM_400000_NS6detail17trampoline_kernelINS0_14default_configENS1_27lower_bound_config_selectorIjlEEZNS1_14transform_implILb0ES3_S5_N6thrust23THRUST_200600_302600_NS17counting_iteratorIjNS8_11use_defaultESA_SA_EEPlZNS1_13binary_searchIS3_S5_PjSB_SC_NS1_21lower_bound_search_opENS8_6detail16wrapped_functionI11custom_lessbEEEE10hipError_tPvRmT1_T2_T3_mmT4_T5_P12ihipStream_tbEUlRKjE_EESK_SO_SP_mSQ_ST_bEUlT_E_NS1_11comp_targetILNS1_3genE2ELNS1_11target_archE906ELNS1_3gpuE6ELNS1_3repE0EEENS1_30default_config_static_selectorELNS0_4arch9wavefront6targetE0EEEvSN_: ; @_ZN7rocprim17ROCPRIM_400000_NS6detail17trampoline_kernelINS0_14default_configENS1_27lower_bound_config_selectorIjlEEZNS1_14transform_implILb0ES3_S5_N6thrust23THRUST_200600_302600_NS17counting_iteratorIjNS8_11use_defaultESA_SA_EEPlZNS1_13binary_searchIS3_S5_PjSB_SC_NS1_21lower_bound_search_opENS8_6detail16wrapped_functionI11custom_lessbEEEE10hipError_tPvRmT1_T2_T3_mmT4_T5_P12ihipStream_tbEUlRKjE_EESK_SO_SP_mSQ_ST_bEUlT_E_NS1_11comp_targetILNS1_3genE2ELNS1_11target_archE906ELNS1_3gpuE6ELNS1_3repE0EEENS1_30default_config_static_selectorELNS0_4arch9wavefront6targetE0EEEvSN_
; %bb.0:
	.section	.rodata,"a",@progbits
	.p2align	6, 0x0
	.amdhsa_kernel _ZN7rocprim17ROCPRIM_400000_NS6detail17trampoline_kernelINS0_14default_configENS1_27lower_bound_config_selectorIjlEEZNS1_14transform_implILb0ES3_S5_N6thrust23THRUST_200600_302600_NS17counting_iteratorIjNS8_11use_defaultESA_SA_EEPlZNS1_13binary_searchIS3_S5_PjSB_SC_NS1_21lower_bound_search_opENS8_6detail16wrapped_functionI11custom_lessbEEEE10hipError_tPvRmT1_T2_T3_mmT4_T5_P12ihipStream_tbEUlRKjE_EESK_SO_SP_mSQ_ST_bEUlT_E_NS1_11comp_targetILNS1_3genE2ELNS1_11target_archE906ELNS1_3gpuE6ELNS1_3repE0EEENS1_30default_config_static_selectorELNS0_4arch9wavefront6targetE0EEEvSN_
		.amdhsa_group_segment_fixed_size 0
		.amdhsa_private_segment_fixed_size 0
		.amdhsa_kernarg_size 56
		.amdhsa_user_sgpr_count 15
		.amdhsa_user_sgpr_dispatch_ptr 0
		.amdhsa_user_sgpr_queue_ptr 0
		.amdhsa_user_sgpr_kernarg_segment_ptr 1
		.amdhsa_user_sgpr_dispatch_id 0
		.amdhsa_user_sgpr_private_segment_size 0
		.amdhsa_wavefront_size32 1
		.amdhsa_uses_dynamic_stack 0
		.amdhsa_enable_private_segment 0
		.amdhsa_system_sgpr_workgroup_id_x 1
		.amdhsa_system_sgpr_workgroup_id_y 0
		.amdhsa_system_sgpr_workgroup_id_z 0
		.amdhsa_system_sgpr_workgroup_info 0
		.amdhsa_system_vgpr_workitem_id 0
		.amdhsa_next_free_vgpr 1
		.amdhsa_next_free_sgpr 1
		.amdhsa_reserve_vcc 0
		.amdhsa_float_round_mode_32 0
		.amdhsa_float_round_mode_16_64 0
		.amdhsa_float_denorm_mode_32 3
		.amdhsa_float_denorm_mode_16_64 3
		.amdhsa_dx10_clamp 1
		.amdhsa_ieee_mode 1
		.amdhsa_fp16_overflow 0
		.amdhsa_workgroup_processor_mode 1
		.amdhsa_memory_ordered 1
		.amdhsa_forward_progress 0
		.amdhsa_shared_vgpr_count 0
		.amdhsa_exception_fp_ieee_invalid_op 0
		.amdhsa_exception_fp_denorm_src 0
		.amdhsa_exception_fp_ieee_div_zero 0
		.amdhsa_exception_fp_ieee_overflow 0
		.amdhsa_exception_fp_ieee_underflow 0
		.amdhsa_exception_fp_ieee_inexact 0
		.amdhsa_exception_int_div_zero 0
	.end_amdhsa_kernel
	.section	.text._ZN7rocprim17ROCPRIM_400000_NS6detail17trampoline_kernelINS0_14default_configENS1_27lower_bound_config_selectorIjlEEZNS1_14transform_implILb0ES3_S5_N6thrust23THRUST_200600_302600_NS17counting_iteratorIjNS8_11use_defaultESA_SA_EEPlZNS1_13binary_searchIS3_S5_PjSB_SC_NS1_21lower_bound_search_opENS8_6detail16wrapped_functionI11custom_lessbEEEE10hipError_tPvRmT1_T2_T3_mmT4_T5_P12ihipStream_tbEUlRKjE_EESK_SO_SP_mSQ_ST_bEUlT_E_NS1_11comp_targetILNS1_3genE2ELNS1_11target_archE906ELNS1_3gpuE6ELNS1_3repE0EEENS1_30default_config_static_selectorELNS0_4arch9wavefront6targetE0EEEvSN_,"axG",@progbits,_ZN7rocprim17ROCPRIM_400000_NS6detail17trampoline_kernelINS0_14default_configENS1_27lower_bound_config_selectorIjlEEZNS1_14transform_implILb0ES3_S5_N6thrust23THRUST_200600_302600_NS17counting_iteratorIjNS8_11use_defaultESA_SA_EEPlZNS1_13binary_searchIS3_S5_PjSB_SC_NS1_21lower_bound_search_opENS8_6detail16wrapped_functionI11custom_lessbEEEE10hipError_tPvRmT1_T2_T3_mmT4_T5_P12ihipStream_tbEUlRKjE_EESK_SO_SP_mSQ_ST_bEUlT_E_NS1_11comp_targetILNS1_3genE2ELNS1_11target_archE906ELNS1_3gpuE6ELNS1_3repE0EEENS1_30default_config_static_selectorELNS0_4arch9wavefront6targetE0EEEvSN_,comdat
.Lfunc_end40:
	.size	_ZN7rocprim17ROCPRIM_400000_NS6detail17trampoline_kernelINS0_14default_configENS1_27lower_bound_config_selectorIjlEEZNS1_14transform_implILb0ES3_S5_N6thrust23THRUST_200600_302600_NS17counting_iteratorIjNS8_11use_defaultESA_SA_EEPlZNS1_13binary_searchIS3_S5_PjSB_SC_NS1_21lower_bound_search_opENS8_6detail16wrapped_functionI11custom_lessbEEEE10hipError_tPvRmT1_T2_T3_mmT4_T5_P12ihipStream_tbEUlRKjE_EESK_SO_SP_mSQ_ST_bEUlT_E_NS1_11comp_targetILNS1_3genE2ELNS1_11target_archE906ELNS1_3gpuE6ELNS1_3repE0EEENS1_30default_config_static_selectorELNS0_4arch9wavefront6targetE0EEEvSN_, .Lfunc_end40-_ZN7rocprim17ROCPRIM_400000_NS6detail17trampoline_kernelINS0_14default_configENS1_27lower_bound_config_selectorIjlEEZNS1_14transform_implILb0ES3_S5_N6thrust23THRUST_200600_302600_NS17counting_iteratorIjNS8_11use_defaultESA_SA_EEPlZNS1_13binary_searchIS3_S5_PjSB_SC_NS1_21lower_bound_search_opENS8_6detail16wrapped_functionI11custom_lessbEEEE10hipError_tPvRmT1_T2_T3_mmT4_T5_P12ihipStream_tbEUlRKjE_EESK_SO_SP_mSQ_ST_bEUlT_E_NS1_11comp_targetILNS1_3genE2ELNS1_11target_archE906ELNS1_3gpuE6ELNS1_3repE0EEENS1_30default_config_static_selectorELNS0_4arch9wavefront6targetE0EEEvSN_
                                        ; -- End function
	.section	.AMDGPU.csdata,"",@progbits
; Kernel info:
; codeLenInByte = 0
; NumSgprs: 0
; NumVgprs: 0
; ScratchSize: 0
; MemoryBound: 0
; FloatMode: 240
; IeeeMode: 1
; LDSByteSize: 0 bytes/workgroup (compile time only)
; SGPRBlocks: 0
; VGPRBlocks: 0
; NumSGPRsForWavesPerEU: 1
; NumVGPRsForWavesPerEU: 1
; Occupancy: 16
; WaveLimiterHint : 0
; COMPUTE_PGM_RSRC2:SCRATCH_EN: 0
; COMPUTE_PGM_RSRC2:USER_SGPR: 15
; COMPUTE_PGM_RSRC2:TRAP_HANDLER: 0
; COMPUTE_PGM_RSRC2:TGID_X_EN: 1
; COMPUTE_PGM_RSRC2:TGID_Y_EN: 0
; COMPUTE_PGM_RSRC2:TGID_Z_EN: 0
; COMPUTE_PGM_RSRC2:TIDIG_COMP_CNT: 0
	.section	.text._ZN7rocprim17ROCPRIM_400000_NS6detail17trampoline_kernelINS0_14default_configENS1_27lower_bound_config_selectorIjlEEZNS1_14transform_implILb0ES3_S5_N6thrust23THRUST_200600_302600_NS17counting_iteratorIjNS8_11use_defaultESA_SA_EEPlZNS1_13binary_searchIS3_S5_PjSB_SC_NS1_21lower_bound_search_opENS8_6detail16wrapped_functionI11custom_lessbEEEE10hipError_tPvRmT1_T2_T3_mmT4_T5_P12ihipStream_tbEUlRKjE_EESK_SO_SP_mSQ_ST_bEUlT_E_NS1_11comp_targetILNS1_3genE10ELNS1_11target_archE1201ELNS1_3gpuE5ELNS1_3repE0EEENS1_30default_config_static_selectorELNS0_4arch9wavefront6targetE0EEEvSN_,"axG",@progbits,_ZN7rocprim17ROCPRIM_400000_NS6detail17trampoline_kernelINS0_14default_configENS1_27lower_bound_config_selectorIjlEEZNS1_14transform_implILb0ES3_S5_N6thrust23THRUST_200600_302600_NS17counting_iteratorIjNS8_11use_defaultESA_SA_EEPlZNS1_13binary_searchIS3_S5_PjSB_SC_NS1_21lower_bound_search_opENS8_6detail16wrapped_functionI11custom_lessbEEEE10hipError_tPvRmT1_T2_T3_mmT4_T5_P12ihipStream_tbEUlRKjE_EESK_SO_SP_mSQ_ST_bEUlT_E_NS1_11comp_targetILNS1_3genE10ELNS1_11target_archE1201ELNS1_3gpuE5ELNS1_3repE0EEENS1_30default_config_static_selectorELNS0_4arch9wavefront6targetE0EEEvSN_,comdat
	.protected	_ZN7rocprim17ROCPRIM_400000_NS6detail17trampoline_kernelINS0_14default_configENS1_27lower_bound_config_selectorIjlEEZNS1_14transform_implILb0ES3_S5_N6thrust23THRUST_200600_302600_NS17counting_iteratorIjNS8_11use_defaultESA_SA_EEPlZNS1_13binary_searchIS3_S5_PjSB_SC_NS1_21lower_bound_search_opENS8_6detail16wrapped_functionI11custom_lessbEEEE10hipError_tPvRmT1_T2_T3_mmT4_T5_P12ihipStream_tbEUlRKjE_EESK_SO_SP_mSQ_ST_bEUlT_E_NS1_11comp_targetILNS1_3genE10ELNS1_11target_archE1201ELNS1_3gpuE5ELNS1_3repE0EEENS1_30default_config_static_selectorELNS0_4arch9wavefront6targetE0EEEvSN_ ; -- Begin function _ZN7rocprim17ROCPRIM_400000_NS6detail17trampoline_kernelINS0_14default_configENS1_27lower_bound_config_selectorIjlEEZNS1_14transform_implILb0ES3_S5_N6thrust23THRUST_200600_302600_NS17counting_iteratorIjNS8_11use_defaultESA_SA_EEPlZNS1_13binary_searchIS3_S5_PjSB_SC_NS1_21lower_bound_search_opENS8_6detail16wrapped_functionI11custom_lessbEEEE10hipError_tPvRmT1_T2_T3_mmT4_T5_P12ihipStream_tbEUlRKjE_EESK_SO_SP_mSQ_ST_bEUlT_E_NS1_11comp_targetILNS1_3genE10ELNS1_11target_archE1201ELNS1_3gpuE5ELNS1_3repE0EEENS1_30default_config_static_selectorELNS0_4arch9wavefront6targetE0EEEvSN_
	.globl	_ZN7rocprim17ROCPRIM_400000_NS6detail17trampoline_kernelINS0_14default_configENS1_27lower_bound_config_selectorIjlEEZNS1_14transform_implILb0ES3_S5_N6thrust23THRUST_200600_302600_NS17counting_iteratorIjNS8_11use_defaultESA_SA_EEPlZNS1_13binary_searchIS3_S5_PjSB_SC_NS1_21lower_bound_search_opENS8_6detail16wrapped_functionI11custom_lessbEEEE10hipError_tPvRmT1_T2_T3_mmT4_T5_P12ihipStream_tbEUlRKjE_EESK_SO_SP_mSQ_ST_bEUlT_E_NS1_11comp_targetILNS1_3genE10ELNS1_11target_archE1201ELNS1_3gpuE5ELNS1_3repE0EEENS1_30default_config_static_selectorELNS0_4arch9wavefront6targetE0EEEvSN_
	.p2align	8
	.type	_ZN7rocprim17ROCPRIM_400000_NS6detail17trampoline_kernelINS0_14default_configENS1_27lower_bound_config_selectorIjlEEZNS1_14transform_implILb0ES3_S5_N6thrust23THRUST_200600_302600_NS17counting_iteratorIjNS8_11use_defaultESA_SA_EEPlZNS1_13binary_searchIS3_S5_PjSB_SC_NS1_21lower_bound_search_opENS8_6detail16wrapped_functionI11custom_lessbEEEE10hipError_tPvRmT1_T2_T3_mmT4_T5_P12ihipStream_tbEUlRKjE_EESK_SO_SP_mSQ_ST_bEUlT_E_NS1_11comp_targetILNS1_3genE10ELNS1_11target_archE1201ELNS1_3gpuE5ELNS1_3repE0EEENS1_30default_config_static_selectorELNS0_4arch9wavefront6targetE0EEEvSN_,@function
_ZN7rocprim17ROCPRIM_400000_NS6detail17trampoline_kernelINS0_14default_configENS1_27lower_bound_config_selectorIjlEEZNS1_14transform_implILb0ES3_S5_N6thrust23THRUST_200600_302600_NS17counting_iteratorIjNS8_11use_defaultESA_SA_EEPlZNS1_13binary_searchIS3_S5_PjSB_SC_NS1_21lower_bound_search_opENS8_6detail16wrapped_functionI11custom_lessbEEEE10hipError_tPvRmT1_T2_T3_mmT4_T5_P12ihipStream_tbEUlRKjE_EESK_SO_SP_mSQ_ST_bEUlT_E_NS1_11comp_targetILNS1_3genE10ELNS1_11target_archE1201ELNS1_3gpuE5ELNS1_3repE0EEENS1_30default_config_static_selectorELNS0_4arch9wavefront6targetE0EEEvSN_: ; @_ZN7rocprim17ROCPRIM_400000_NS6detail17trampoline_kernelINS0_14default_configENS1_27lower_bound_config_selectorIjlEEZNS1_14transform_implILb0ES3_S5_N6thrust23THRUST_200600_302600_NS17counting_iteratorIjNS8_11use_defaultESA_SA_EEPlZNS1_13binary_searchIS3_S5_PjSB_SC_NS1_21lower_bound_search_opENS8_6detail16wrapped_functionI11custom_lessbEEEE10hipError_tPvRmT1_T2_T3_mmT4_T5_P12ihipStream_tbEUlRKjE_EESK_SO_SP_mSQ_ST_bEUlT_E_NS1_11comp_targetILNS1_3genE10ELNS1_11target_archE1201ELNS1_3gpuE5ELNS1_3repE0EEENS1_30default_config_static_selectorELNS0_4arch9wavefront6targetE0EEEvSN_
; %bb.0:
	.section	.rodata,"a",@progbits
	.p2align	6, 0x0
	.amdhsa_kernel _ZN7rocprim17ROCPRIM_400000_NS6detail17trampoline_kernelINS0_14default_configENS1_27lower_bound_config_selectorIjlEEZNS1_14transform_implILb0ES3_S5_N6thrust23THRUST_200600_302600_NS17counting_iteratorIjNS8_11use_defaultESA_SA_EEPlZNS1_13binary_searchIS3_S5_PjSB_SC_NS1_21lower_bound_search_opENS8_6detail16wrapped_functionI11custom_lessbEEEE10hipError_tPvRmT1_T2_T3_mmT4_T5_P12ihipStream_tbEUlRKjE_EESK_SO_SP_mSQ_ST_bEUlT_E_NS1_11comp_targetILNS1_3genE10ELNS1_11target_archE1201ELNS1_3gpuE5ELNS1_3repE0EEENS1_30default_config_static_selectorELNS0_4arch9wavefront6targetE0EEEvSN_
		.amdhsa_group_segment_fixed_size 0
		.amdhsa_private_segment_fixed_size 0
		.amdhsa_kernarg_size 56
		.amdhsa_user_sgpr_count 15
		.amdhsa_user_sgpr_dispatch_ptr 0
		.amdhsa_user_sgpr_queue_ptr 0
		.amdhsa_user_sgpr_kernarg_segment_ptr 1
		.amdhsa_user_sgpr_dispatch_id 0
		.amdhsa_user_sgpr_private_segment_size 0
		.amdhsa_wavefront_size32 1
		.amdhsa_uses_dynamic_stack 0
		.amdhsa_enable_private_segment 0
		.amdhsa_system_sgpr_workgroup_id_x 1
		.amdhsa_system_sgpr_workgroup_id_y 0
		.amdhsa_system_sgpr_workgroup_id_z 0
		.amdhsa_system_sgpr_workgroup_info 0
		.amdhsa_system_vgpr_workitem_id 0
		.amdhsa_next_free_vgpr 1
		.amdhsa_next_free_sgpr 1
		.amdhsa_reserve_vcc 0
		.amdhsa_float_round_mode_32 0
		.amdhsa_float_round_mode_16_64 0
		.amdhsa_float_denorm_mode_32 3
		.amdhsa_float_denorm_mode_16_64 3
		.amdhsa_dx10_clamp 1
		.amdhsa_ieee_mode 1
		.amdhsa_fp16_overflow 0
		.amdhsa_workgroup_processor_mode 1
		.amdhsa_memory_ordered 1
		.amdhsa_forward_progress 0
		.amdhsa_shared_vgpr_count 0
		.amdhsa_exception_fp_ieee_invalid_op 0
		.amdhsa_exception_fp_denorm_src 0
		.amdhsa_exception_fp_ieee_div_zero 0
		.amdhsa_exception_fp_ieee_overflow 0
		.amdhsa_exception_fp_ieee_underflow 0
		.amdhsa_exception_fp_ieee_inexact 0
		.amdhsa_exception_int_div_zero 0
	.end_amdhsa_kernel
	.section	.text._ZN7rocprim17ROCPRIM_400000_NS6detail17trampoline_kernelINS0_14default_configENS1_27lower_bound_config_selectorIjlEEZNS1_14transform_implILb0ES3_S5_N6thrust23THRUST_200600_302600_NS17counting_iteratorIjNS8_11use_defaultESA_SA_EEPlZNS1_13binary_searchIS3_S5_PjSB_SC_NS1_21lower_bound_search_opENS8_6detail16wrapped_functionI11custom_lessbEEEE10hipError_tPvRmT1_T2_T3_mmT4_T5_P12ihipStream_tbEUlRKjE_EESK_SO_SP_mSQ_ST_bEUlT_E_NS1_11comp_targetILNS1_3genE10ELNS1_11target_archE1201ELNS1_3gpuE5ELNS1_3repE0EEENS1_30default_config_static_selectorELNS0_4arch9wavefront6targetE0EEEvSN_,"axG",@progbits,_ZN7rocprim17ROCPRIM_400000_NS6detail17trampoline_kernelINS0_14default_configENS1_27lower_bound_config_selectorIjlEEZNS1_14transform_implILb0ES3_S5_N6thrust23THRUST_200600_302600_NS17counting_iteratorIjNS8_11use_defaultESA_SA_EEPlZNS1_13binary_searchIS3_S5_PjSB_SC_NS1_21lower_bound_search_opENS8_6detail16wrapped_functionI11custom_lessbEEEE10hipError_tPvRmT1_T2_T3_mmT4_T5_P12ihipStream_tbEUlRKjE_EESK_SO_SP_mSQ_ST_bEUlT_E_NS1_11comp_targetILNS1_3genE10ELNS1_11target_archE1201ELNS1_3gpuE5ELNS1_3repE0EEENS1_30default_config_static_selectorELNS0_4arch9wavefront6targetE0EEEvSN_,comdat
.Lfunc_end41:
	.size	_ZN7rocprim17ROCPRIM_400000_NS6detail17trampoline_kernelINS0_14default_configENS1_27lower_bound_config_selectorIjlEEZNS1_14transform_implILb0ES3_S5_N6thrust23THRUST_200600_302600_NS17counting_iteratorIjNS8_11use_defaultESA_SA_EEPlZNS1_13binary_searchIS3_S5_PjSB_SC_NS1_21lower_bound_search_opENS8_6detail16wrapped_functionI11custom_lessbEEEE10hipError_tPvRmT1_T2_T3_mmT4_T5_P12ihipStream_tbEUlRKjE_EESK_SO_SP_mSQ_ST_bEUlT_E_NS1_11comp_targetILNS1_3genE10ELNS1_11target_archE1201ELNS1_3gpuE5ELNS1_3repE0EEENS1_30default_config_static_selectorELNS0_4arch9wavefront6targetE0EEEvSN_, .Lfunc_end41-_ZN7rocprim17ROCPRIM_400000_NS6detail17trampoline_kernelINS0_14default_configENS1_27lower_bound_config_selectorIjlEEZNS1_14transform_implILb0ES3_S5_N6thrust23THRUST_200600_302600_NS17counting_iteratorIjNS8_11use_defaultESA_SA_EEPlZNS1_13binary_searchIS3_S5_PjSB_SC_NS1_21lower_bound_search_opENS8_6detail16wrapped_functionI11custom_lessbEEEE10hipError_tPvRmT1_T2_T3_mmT4_T5_P12ihipStream_tbEUlRKjE_EESK_SO_SP_mSQ_ST_bEUlT_E_NS1_11comp_targetILNS1_3genE10ELNS1_11target_archE1201ELNS1_3gpuE5ELNS1_3repE0EEENS1_30default_config_static_selectorELNS0_4arch9wavefront6targetE0EEEvSN_
                                        ; -- End function
	.section	.AMDGPU.csdata,"",@progbits
; Kernel info:
; codeLenInByte = 0
; NumSgprs: 0
; NumVgprs: 0
; ScratchSize: 0
; MemoryBound: 0
; FloatMode: 240
; IeeeMode: 1
; LDSByteSize: 0 bytes/workgroup (compile time only)
; SGPRBlocks: 0
; VGPRBlocks: 0
; NumSGPRsForWavesPerEU: 1
; NumVGPRsForWavesPerEU: 1
; Occupancy: 16
; WaveLimiterHint : 0
; COMPUTE_PGM_RSRC2:SCRATCH_EN: 0
; COMPUTE_PGM_RSRC2:USER_SGPR: 15
; COMPUTE_PGM_RSRC2:TRAP_HANDLER: 0
; COMPUTE_PGM_RSRC2:TGID_X_EN: 1
; COMPUTE_PGM_RSRC2:TGID_Y_EN: 0
; COMPUTE_PGM_RSRC2:TGID_Z_EN: 0
; COMPUTE_PGM_RSRC2:TIDIG_COMP_CNT: 0
	.section	.text._ZN7rocprim17ROCPRIM_400000_NS6detail17trampoline_kernelINS0_14default_configENS1_27lower_bound_config_selectorIjlEEZNS1_14transform_implILb0ES3_S5_N6thrust23THRUST_200600_302600_NS17counting_iteratorIjNS8_11use_defaultESA_SA_EEPlZNS1_13binary_searchIS3_S5_PjSB_SC_NS1_21lower_bound_search_opENS8_6detail16wrapped_functionI11custom_lessbEEEE10hipError_tPvRmT1_T2_T3_mmT4_T5_P12ihipStream_tbEUlRKjE_EESK_SO_SP_mSQ_ST_bEUlT_E_NS1_11comp_targetILNS1_3genE10ELNS1_11target_archE1200ELNS1_3gpuE4ELNS1_3repE0EEENS1_30default_config_static_selectorELNS0_4arch9wavefront6targetE0EEEvSN_,"axG",@progbits,_ZN7rocprim17ROCPRIM_400000_NS6detail17trampoline_kernelINS0_14default_configENS1_27lower_bound_config_selectorIjlEEZNS1_14transform_implILb0ES3_S5_N6thrust23THRUST_200600_302600_NS17counting_iteratorIjNS8_11use_defaultESA_SA_EEPlZNS1_13binary_searchIS3_S5_PjSB_SC_NS1_21lower_bound_search_opENS8_6detail16wrapped_functionI11custom_lessbEEEE10hipError_tPvRmT1_T2_T3_mmT4_T5_P12ihipStream_tbEUlRKjE_EESK_SO_SP_mSQ_ST_bEUlT_E_NS1_11comp_targetILNS1_3genE10ELNS1_11target_archE1200ELNS1_3gpuE4ELNS1_3repE0EEENS1_30default_config_static_selectorELNS0_4arch9wavefront6targetE0EEEvSN_,comdat
	.protected	_ZN7rocprim17ROCPRIM_400000_NS6detail17trampoline_kernelINS0_14default_configENS1_27lower_bound_config_selectorIjlEEZNS1_14transform_implILb0ES3_S5_N6thrust23THRUST_200600_302600_NS17counting_iteratorIjNS8_11use_defaultESA_SA_EEPlZNS1_13binary_searchIS3_S5_PjSB_SC_NS1_21lower_bound_search_opENS8_6detail16wrapped_functionI11custom_lessbEEEE10hipError_tPvRmT1_T2_T3_mmT4_T5_P12ihipStream_tbEUlRKjE_EESK_SO_SP_mSQ_ST_bEUlT_E_NS1_11comp_targetILNS1_3genE10ELNS1_11target_archE1200ELNS1_3gpuE4ELNS1_3repE0EEENS1_30default_config_static_selectorELNS0_4arch9wavefront6targetE0EEEvSN_ ; -- Begin function _ZN7rocprim17ROCPRIM_400000_NS6detail17trampoline_kernelINS0_14default_configENS1_27lower_bound_config_selectorIjlEEZNS1_14transform_implILb0ES3_S5_N6thrust23THRUST_200600_302600_NS17counting_iteratorIjNS8_11use_defaultESA_SA_EEPlZNS1_13binary_searchIS3_S5_PjSB_SC_NS1_21lower_bound_search_opENS8_6detail16wrapped_functionI11custom_lessbEEEE10hipError_tPvRmT1_T2_T3_mmT4_T5_P12ihipStream_tbEUlRKjE_EESK_SO_SP_mSQ_ST_bEUlT_E_NS1_11comp_targetILNS1_3genE10ELNS1_11target_archE1200ELNS1_3gpuE4ELNS1_3repE0EEENS1_30default_config_static_selectorELNS0_4arch9wavefront6targetE0EEEvSN_
	.globl	_ZN7rocprim17ROCPRIM_400000_NS6detail17trampoline_kernelINS0_14default_configENS1_27lower_bound_config_selectorIjlEEZNS1_14transform_implILb0ES3_S5_N6thrust23THRUST_200600_302600_NS17counting_iteratorIjNS8_11use_defaultESA_SA_EEPlZNS1_13binary_searchIS3_S5_PjSB_SC_NS1_21lower_bound_search_opENS8_6detail16wrapped_functionI11custom_lessbEEEE10hipError_tPvRmT1_T2_T3_mmT4_T5_P12ihipStream_tbEUlRKjE_EESK_SO_SP_mSQ_ST_bEUlT_E_NS1_11comp_targetILNS1_3genE10ELNS1_11target_archE1200ELNS1_3gpuE4ELNS1_3repE0EEENS1_30default_config_static_selectorELNS0_4arch9wavefront6targetE0EEEvSN_
	.p2align	8
	.type	_ZN7rocprim17ROCPRIM_400000_NS6detail17trampoline_kernelINS0_14default_configENS1_27lower_bound_config_selectorIjlEEZNS1_14transform_implILb0ES3_S5_N6thrust23THRUST_200600_302600_NS17counting_iteratorIjNS8_11use_defaultESA_SA_EEPlZNS1_13binary_searchIS3_S5_PjSB_SC_NS1_21lower_bound_search_opENS8_6detail16wrapped_functionI11custom_lessbEEEE10hipError_tPvRmT1_T2_T3_mmT4_T5_P12ihipStream_tbEUlRKjE_EESK_SO_SP_mSQ_ST_bEUlT_E_NS1_11comp_targetILNS1_3genE10ELNS1_11target_archE1200ELNS1_3gpuE4ELNS1_3repE0EEENS1_30default_config_static_selectorELNS0_4arch9wavefront6targetE0EEEvSN_,@function
_ZN7rocprim17ROCPRIM_400000_NS6detail17trampoline_kernelINS0_14default_configENS1_27lower_bound_config_selectorIjlEEZNS1_14transform_implILb0ES3_S5_N6thrust23THRUST_200600_302600_NS17counting_iteratorIjNS8_11use_defaultESA_SA_EEPlZNS1_13binary_searchIS3_S5_PjSB_SC_NS1_21lower_bound_search_opENS8_6detail16wrapped_functionI11custom_lessbEEEE10hipError_tPvRmT1_T2_T3_mmT4_T5_P12ihipStream_tbEUlRKjE_EESK_SO_SP_mSQ_ST_bEUlT_E_NS1_11comp_targetILNS1_3genE10ELNS1_11target_archE1200ELNS1_3gpuE4ELNS1_3repE0EEENS1_30default_config_static_selectorELNS0_4arch9wavefront6targetE0EEEvSN_: ; @_ZN7rocprim17ROCPRIM_400000_NS6detail17trampoline_kernelINS0_14default_configENS1_27lower_bound_config_selectorIjlEEZNS1_14transform_implILb0ES3_S5_N6thrust23THRUST_200600_302600_NS17counting_iteratorIjNS8_11use_defaultESA_SA_EEPlZNS1_13binary_searchIS3_S5_PjSB_SC_NS1_21lower_bound_search_opENS8_6detail16wrapped_functionI11custom_lessbEEEE10hipError_tPvRmT1_T2_T3_mmT4_T5_P12ihipStream_tbEUlRKjE_EESK_SO_SP_mSQ_ST_bEUlT_E_NS1_11comp_targetILNS1_3genE10ELNS1_11target_archE1200ELNS1_3gpuE4ELNS1_3repE0EEENS1_30default_config_static_selectorELNS0_4arch9wavefront6targetE0EEEvSN_
; %bb.0:
	.section	.rodata,"a",@progbits
	.p2align	6, 0x0
	.amdhsa_kernel _ZN7rocprim17ROCPRIM_400000_NS6detail17trampoline_kernelINS0_14default_configENS1_27lower_bound_config_selectorIjlEEZNS1_14transform_implILb0ES3_S5_N6thrust23THRUST_200600_302600_NS17counting_iteratorIjNS8_11use_defaultESA_SA_EEPlZNS1_13binary_searchIS3_S5_PjSB_SC_NS1_21lower_bound_search_opENS8_6detail16wrapped_functionI11custom_lessbEEEE10hipError_tPvRmT1_T2_T3_mmT4_T5_P12ihipStream_tbEUlRKjE_EESK_SO_SP_mSQ_ST_bEUlT_E_NS1_11comp_targetILNS1_3genE10ELNS1_11target_archE1200ELNS1_3gpuE4ELNS1_3repE0EEENS1_30default_config_static_selectorELNS0_4arch9wavefront6targetE0EEEvSN_
		.amdhsa_group_segment_fixed_size 0
		.amdhsa_private_segment_fixed_size 0
		.amdhsa_kernarg_size 56
		.amdhsa_user_sgpr_count 15
		.amdhsa_user_sgpr_dispatch_ptr 0
		.amdhsa_user_sgpr_queue_ptr 0
		.amdhsa_user_sgpr_kernarg_segment_ptr 1
		.amdhsa_user_sgpr_dispatch_id 0
		.amdhsa_user_sgpr_private_segment_size 0
		.amdhsa_wavefront_size32 1
		.amdhsa_uses_dynamic_stack 0
		.amdhsa_enable_private_segment 0
		.amdhsa_system_sgpr_workgroup_id_x 1
		.amdhsa_system_sgpr_workgroup_id_y 0
		.amdhsa_system_sgpr_workgroup_id_z 0
		.amdhsa_system_sgpr_workgroup_info 0
		.amdhsa_system_vgpr_workitem_id 0
		.amdhsa_next_free_vgpr 1
		.amdhsa_next_free_sgpr 1
		.amdhsa_reserve_vcc 0
		.amdhsa_float_round_mode_32 0
		.amdhsa_float_round_mode_16_64 0
		.amdhsa_float_denorm_mode_32 3
		.amdhsa_float_denorm_mode_16_64 3
		.amdhsa_dx10_clamp 1
		.amdhsa_ieee_mode 1
		.amdhsa_fp16_overflow 0
		.amdhsa_workgroup_processor_mode 1
		.amdhsa_memory_ordered 1
		.amdhsa_forward_progress 0
		.amdhsa_shared_vgpr_count 0
		.amdhsa_exception_fp_ieee_invalid_op 0
		.amdhsa_exception_fp_denorm_src 0
		.amdhsa_exception_fp_ieee_div_zero 0
		.amdhsa_exception_fp_ieee_overflow 0
		.amdhsa_exception_fp_ieee_underflow 0
		.amdhsa_exception_fp_ieee_inexact 0
		.amdhsa_exception_int_div_zero 0
	.end_amdhsa_kernel
	.section	.text._ZN7rocprim17ROCPRIM_400000_NS6detail17trampoline_kernelINS0_14default_configENS1_27lower_bound_config_selectorIjlEEZNS1_14transform_implILb0ES3_S5_N6thrust23THRUST_200600_302600_NS17counting_iteratorIjNS8_11use_defaultESA_SA_EEPlZNS1_13binary_searchIS3_S5_PjSB_SC_NS1_21lower_bound_search_opENS8_6detail16wrapped_functionI11custom_lessbEEEE10hipError_tPvRmT1_T2_T3_mmT4_T5_P12ihipStream_tbEUlRKjE_EESK_SO_SP_mSQ_ST_bEUlT_E_NS1_11comp_targetILNS1_3genE10ELNS1_11target_archE1200ELNS1_3gpuE4ELNS1_3repE0EEENS1_30default_config_static_selectorELNS0_4arch9wavefront6targetE0EEEvSN_,"axG",@progbits,_ZN7rocprim17ROCPRIM_400000_NS6detail17trampoline_kernelINS0_14default_configENS1_27lower_bound_config_selectorIjlEEZNS1_14transform_implILb0ES3_S5_N6thrust23THRUST_200600_302600_NS17counting_iteratorIjNS8_11use_defaultESA_SA_EEPlZNS1_13binary_searchIS3_S5_PjSB_SC_NS1_21lower_bound_search_opENS8_6detail16wrapped_functionI11custom_lessbEEEE10hipError_tPvRmT1_T2_T3_mmT4_T5_P12ihipStream_tbEUlRKjE_EESK_SO_SP_mSQ_ST_bEUlT_E_NS1_11comp_targetILNS1_3genE10ELNS1_11target_archE1200ELNS1_3gpuE4ELNS1_3repE0EEENS1_30default_config_static_selectorELNS0_4arch9wavefront6targetE0EEEvSN_,comdat
.Lfunc_end42:
	.size	_ZN7rocprim17ROCPRIM_400000_NS6detail17trampoline_kernelINS0_14default_configENS1_27lower_bound_config_selectorIjlEEZNS1_14transform_implILb0ES3_S5_N6thrust23THRUST_200600_302600_NS17counting_iteratorIjNS8_11use_defaultESA_SA_EEPlZNS1_13binary_searchIS3_S5_PjSB_SC_NS1_21lower_bound_search_opENS8_6detail16wrapped_functionI11custom_lessbEEEE10hipError_tPvRmT1_T2_T3_mmT4_T5_P12ihipStream_tbEUlRKjE_EESK_SO_SP_mSQ_ST_bEUlT_E_NS1_11comp_targetILNS1_3genE10ELNS1_11target_archE1200ELNS1_3gpuE4ELNS1_3repE0EEENS1_30default_config_static_selectorELNS0_4arch9wavefront6targetE0EEEvSN_, .Lfunc_end42-_ZN7rocprim17ROCPRIM_400000_NS6detail17trampoline_kernelINS0_14default_configENS1_27lower_bound_config_selectorIjlEEZNS1_14transform_implILb0ES3_S5_N6thrust23THRUST_200600_302600_NS17counting_iteratorIjNS8_11use_defaultESA_SA_EEPlZNS1_13binary_searchIS3_S5_PjSB_SC_NS1_21lower_bound_search_opENS8_6detail16wrapped_functionI11custom_lessbEEEE10hipError_tPvRmT1_T2_T3_mmT4_T5_P12ihipStream_tbEUlRKjE_EESK_SO_SP_mSQ_ST_bEUlT_E_NS1_11comp_targetILNS1_3genE10ELNS1_11target_archE1200ELNS1_3gpuE4ELNS1_3repE0EEENS1_30default_config_static_selectorELNS0_4arch9wavefront6targetE0EEEvSN_
                                        ; -- End function
	.section	.AMDGPU.csdata,"",@progbits
; Kernel info:
; codeLenInByte = 0
; NumSgprs: 0
; NumVgprs: 0
; ScratchSize: 0
; MemoryBound: 0
; FloatMode: 240
; IeeeMode: 1
; LDSByteSize: 0 bytes/workgroup (compile time only)
; SGPRBlocks: 0
; VGPRBlocks: 0
; NumSGPRsForWavesPerEU: 1
; NumVGPRsForWavesPerEU: 1
; Occupancy: 16
; WaveLimiterHint : 0
; COMPUTE_PGM_RSRC2:SCRATCH_EN: 0
; COMPUTE_PGM_RSRC2:USER_SGPR: 15
; COMPUTE_PGM_RSRC2:TRAP_HANDLER: 0
; COMPUTE_PGM_RSRC2:TGID_X_EN: 1
; COMPUTE_PGM_RSRC2:TGID_Y_EN: 0
; COMPUTE_PGM_RSRC2:TGID_Z_EN: 0
; COMPUTE_PGM_RSRC2:TIDIG_COMP_CNT: 0
	.section	.text._ZN7rocprim17ROCPRIM_400000_NS6detail17trampoline_kernelINS0_14default_configENS1_27lower_bound_config_selectorIjlEEZNS1_14transform_implILb0ES3_S5_N6thrust23THRUST_200600_302600_NS17counting_iteratorIjNS8_11use_defaultESA_SA_EEPlZNS1_13binary_searchIS3_S5_PjSB_SC_NS1_21lower_bound_search_opENS8_6detail16wrapped_functionI11custom_lessbEEEE10hipError_tPvRmT1_T2_T3_mmT4_T5_P12ihipStream_tbEUlRKjE_EESK_SO_SP_mSQ_ST_bEUlT_E_NS1_11comp_targetILNS1_3genE9ELNS1_11target_archE1100ELNS1_3gpuE3ELNS1_3repE0EEENS1_30default_config_static_selectorELNS0_4arch9wavefront6targetE0EEEvSN_,"axG",@progbits,_ZN7rocprim17ROCPRIM_400000_NS6detail17trampoline_kernelINS0_14default_configENS1_27lower_bound_config_selectorIjlEEZNS1_14transform_implILb0ES3_S5_N6thrust23THRUST_200600_302600_NS17counting_iteratorIjNS8_11use_defaultESA_SA_EEPlZNS1_13binary_searchIS3_S5_PjSB_SC_NS1_21lower_bound_search_opENS8_6detail16wrapped_functionI11custom_lessbEEEE10hipError_tPvRmT1_T2_T3_mmT4_T5_P12ihipStream_tbEUlRKjE_EESK_SO_SP_mSQ_ST_bEUlT_E_NS1_11comp_targetILNS1_3genE9ELNS1_11target_archE1100ELNS1_3gpuE3ELNS1_3repE0EEENS1_30default_config_static_selectorELNS0_4arch9wavefront6targetE0EEEvSN_,comdat
	.protected	_ZN7rocprim17ROCPRIM_400000_NS6detail17trampoline_kernelINS0_14default_configENS1_27lower_bound_config_selectorIjlEEZNS1_14transform_implILb0ES3_S5_N6thrust23THRUST_200600_302600_NS17counting_iteratorIjNS8_11use_defaultESA_SA_EEPlZNS1_13binary_searchIS3_S5_PjSB_SC_NS1_21lower_bound_search_opENS8_6detail16wrapped_functionI11custom_lessbEEEE10hipError_tPvRmT1_T2_T3_mmT4_T5_P12ihipStream_tbEUlRKjE_EESK_SO_SP_mSQ_ST_bEUlT_E_NS1_11comp_targetILNS1_3genE9ELNS1_11target_archE1100ELNS1_3gpuE3ELNS1_3repE0EEENS1_30default_config_static_selectorELNS0_4arch9wavefront6targetE0EEEvSN_ ; -- Begin function _ZN7rocprim17ROCPRIM_400000_NS6detail17trampoline_kernelINS0_14default_configENS1_27lower_bound_config_selectorIjlEEZNS1_14transform_implILb0ES3_S5_N6thrust23THRUST_200600_302600_NS17counting_iteratorIjNS8_11use_defaultESA_SA_EEPlZNS1_13binary_searchIS3_S5_PjSB_SC_NS1_21lower_bound_search_opENS8_6detail16wrapped_functionI11custom_lessbEEEE10hipError_tPvRmT1_T2_T3_mmT4_T5_P12ihipStream_tbEUlRKjE_EESK_SO_SP_mSQ_ST_bEUlT_E_NS1_11comp_targetILNS1_3genE9ELNS1_11target_archE1100ELNS1_3gpuE3ELNS1_3repE0EEENS1_30default_config_static_selectorELNS0_4arch9wavefront6targetE0EEEvSN_
	.globl	_ZN7rocprim17ROCPRIM_400000_NS6detail17trampoline_kernelINS0_14default_configENS1_27lower_bound_config_selectorIjlEEZNS1_14transform_implILb0ES3_S5_N6thrust23THRUST_200600_302600_NS17counting_iteratorIjNS8_11use_defaultESA_SA_EEPlZNS1_13binary_searchIS3_S5_PjSB_SC_NS1_21lower_bound_search_opENS8_6detail16wrapped_functionI11custom_lessbEEEE10hipError_tPvRmT1_T2_T3_mmT4_T5_P12ihipStream_tbEUlRKjE_EESK_SO_SP_mSQ_ST_bEUlT_E_NS1_11comp_targetILNS1_3genE9ELNS1_11target_archE1100ELNS1_3gpuE3ELNS1_3repE0EEENS1_30default_config_static_selectorELNS0_4arch9wavefront6targetE0EEEvSN_
	.p2align	8
	.type	_ZN7rocprim17ROCPRIM_400000_NS6detail17trampoline_kernelINS0_14default_configENS1_27lower_bound_config_selectorIjlEEZNS1_14transform_implILb0ES3_S5_N6thrust23THRUST_200600_302600_NS17counting_iteratorIjNS8_11use_defaultESA_SA_EEPlZNS1_13binary_searchIS3_S5_PjSB_SC_NS1_21lower_bound_search_opENS8_6detail16wrapped_functionI11custom_lessbEEEE10hipError_tPvRmT1_T2_T3_mmT4_T5_P12ihipStream_tbEUlRKjE_EESK_SO_SP_mSQ_ST_bEUlT_E_NS1_11comp_targetILNS1_3genE9ELNS1_11target_archE1100ELNS1_3gpuE3ELNS1_3repE0EEENS1_30default_config_static_selectorELNS0_4arch9wavefront6targetE0EEEvSN_,@function
_ZN7rocprim17ROCPRIM_400000_NS6detail17trampoline_kernelINS0_14default_configENS1_27lower_bound_config_selectorIjlEEZNS1_14transform_implILb0ES3_S5_N6thrust23THRUST_200600_302600_NS17counting_iteratorIjNS8_11use_defaultESA_SA_EEPlZNS1_13binary_searchIS3_S5_PjSB_SC_NS1_21lower_bound_search_opENS8_6detail16wrapped_functionI11custom_lessbEEEE10hipError_tPvRmT1_T2_T3_mmT4_T5_P12ihipStream_tbEUlRKjE_EESK_SO_SP_mSQ_ST_bEUlT_E_NS1_11comp_targetILNS1_3genE9ELNS1_11target_archE1100ELNS1_3gpuE3ELNS1_3repE0EEENS1_30default_config_static_selectorELNS0_4arch9wavefront6targetE0EEEvSN_: ; @_ZN7rocprim17ROCPRIM_400000_NS6detail17trampoline_kernelINS0_14default_configENS1_27lower_bound_config_selectorIjlEEZNS1_14transform_implILb0ES3_S5_N6thrust23THRUST_200600_302600_NS17counting_iteratorIjNS8_11use_defaultESA_SA_EEPlZNS1_13binary_searchIS3_S5_PjSB_SC_NS1_21lower_bound_search_opENS8_6detail16wrapped_functionI11custom_lessbEEEE10hipError_tPvRmT1_T2_T3_mmT4_T5_P12ihipStream_tbEUlRKjE_EESK_SO_SP_mSQ_ST_bEUlT_E_NS1_11comp_targetILNS1_3genE9ELNS1_11target_archE1100ELNS1_3gpuE3ELNS1_3repE0EEENS1_30default_config_static_selectorELNS0_4arch9wavefront6targetE0EEEvSN_
; %bb.0:
	s_clause 0x4
	s_load_b32 s12, s[0:1], 0x0
	s_load_b64 s[2:3], s[0:1], 0x8
	s_load_b32 s9, s[0:1], 0x38
	s_load_b128 s[4:7], s[0:1], 0x18
	s_load_b64 s[10:11], s[0:1], 0x28
	s_lshl_b32 s8, s15, 8
	s_mov_b32 s14, -1
	s_waitcnt lgkmcnt(0)
	s_add_i32 s12, s12, s2
	s_add_i32 s13, s9, -1
	s_mov_b32 s9, 0
	s_cmp_lg_u32 s15, s13
	s_cbranch_scc0 .LBB43_6
; %bb.1:
	v_mov_b32_e32 v1, 0
	v_mov_b32_e32 v2, 0
	s_cmp_eq_u64 s[10:11], 0
	s_cbranch_scc1 .LBB43_5
; %bb.2:
	v_mov_b32_e32 v1, 0
	v_dual_mov_b32 v2, 0 :: v_dual_mov_b32 v3, s10
	v_add3_u32 v5, s12, s8, v0
	v_mov_b32_e32 v4, s11
	s_mov_b32 s13, 0
	.p2align	6
.LBB43_3:                               ; =>This Inner Loop Header: Depth=1
	s_delay_alu instid0(VALU_DEP_3) | instskip(NEXT) | instid1(VALU_DEP_2)
	v_sub_co_u32 v6, vcc_lo, v3, v1
	v_sub_co_ci_u32_e32 v7, vcc_lo, v4, v2, vcc_lo
	s_delay_alu instid0(VALU_DEP_1) | instskip(SKIP_1) | instid1(VALU_DEP_2)
	v_lshrrev_b64 v[8:9], 1, v[6:7]
	v_lshrrev_b64 v[6:7], 6, v[6:7]
	v_add_co_u32 v8, vcc_lo, v8, v1
	s_delay_alu instid0(VALU_DEP_3) | instskip(NEXT) | instid1(VALU_DEP_2)
	v_add_co_ci_u32_e32 v9, vcc_lo, v9, v2, vcc_lo
	v_add_co_u32 v6, vcc_lo, v8, v6
	s_delay_alu instid0(VALU_DEP_2) | instskip(NEXT) | instid1(VALU_DEP_1)
	v_add_co_ci_u32_e32 v7, vcc_lo, v9, v7, vcc_lo
	v_lshlrev_b64 v[8:9], 2, v[6:7]
	s_delay_alu instid0(VALU_DEP_1) | instskip(NEXT) | instid1(VALU_DEP_2)
	v_add_co_u32 v8, vcc_lo, s6, v8
	v_add_co_ci_u32_e32 v9, vcc_lo, s7, v9, vcc_lo
	global_load_b32 v8, v[8:9], off
	v_add_co_u32 v9, vcc_lo, v6, 1
	v_add_co_ci_u32_e32 v10, vcc_lo, 0, v7, vcc_lo
	s_waitcnt vmcnt(0)
	v_cmp_lt_u32_e32 vcc_lo, v8, v5
	v_dual_cndmask_b32 v4, v7, v4 :: v_dual_cndmask_b32 v3, v6, v3
	s_delay_alu instid0(VALU_DEP_3) | instskip(NEXT) | instid1(VALU_DEP_1)
	v_dual_cndmask_b32 v2, v2, v10 :: v_dual_cndmask_b32 v1, v1, v9
	v_cmp_ge_u64_e32 vcc_lo, v[1:2], v[3:4]
	s_or_b32 s13, vcc_lo, s13
	s_delay_alu instid0(SALU_CYCLE_1)
	s_and_not1_b32 exec_lo, exec_lo, s13
	s_cbranch_execnz .LBB43_3
; %bb.4:
	s_or_b32 exec_lo, exec_lo, s13
.LBB43_5:
	s_mov_b32 s13, -1
	s_cbranch_execz .LBB43_7
	s_branch .LBB43_13
.LBB43_6:
	s_mov_b32 s13, s9
                                        ; implicit-def: $vgpr1_vgpr2
	s_and_not1_b32 vcc_lo, exec_lo, s14
	s_cbranch_vccnz .LBB43_13
.LBB43_7:
	s_load_b32 s0, s[0:1], 0x10
                                        ; implicit-def: $vgpr1_vgpr2
	s_waitcnt lgkmcnt(0)
	s_sub_i32 s0, s0, s8
	s_delay_alu instid0(SALU_CYCLE_1) | instskip(NEXT) | instid1(VALU_DEP_1)
	v_cmp_gt_u32_e64 s13, s0, v0
	s_and_saveexec_b32 s0, s13
	s_cbranch_execz .LBB43_12
; %bb.8:
	v_mov_b32_e32 v1, 0
	v_mov_b32_e32 v2, 0
	s_cmp_eq_u64 s[10:11], 0
	s_cbranch_scc1 .LBB43_12
; %bb.9:
	v_mov_b32_e32 v1, 0
	v_dual_mov_b32 v2, 0 :: v_dual_mov_b32 v3, s10
	v_add3_u32 v5, s12, s8, v0
	v_mov_b32_e32 v4, s11
	s_mov_b32 s1, 0
	.p2align	6
.LBB43_10:                              ; =>This Inner Loop Header: Depth=1
	s_delay_alu instid0(VALU_DEP_3) | instskip(NEXT) | instid1(VALU_DEP_2)
	v_sub_co_u32 v6, vcc_lo, v3, v1
	v_sub_co_ci_u32_e32 v7, vcc_lo, v4, v2, vcc_lo
	s_delay_alu instid0(VALU_DEP_1) | instskip(SKIP_1) | instid1(VALU_DEP_2)
	v_lshrrev_b64 v[8:9], 1, v[6:7]
	v_lshrrev_b64 v[6:7], 6, v[6:7]
	v_add_co_u32 v8, vcc_lo, v8, v1
	s_delay_alu instid0(VALU_DEP_3) | instskip(NEXT) | instid1(VALU_DEP_2)
	v_add_co_ci_u32_e32 v9, vcc_lo, v9, v2, vcc_lo
	v_add_co_u32 v6, vcc_lo, v8, v6
	s_delay_alu instid0(VALU_DEP_2) | instskip(NEXT) | instid1(VALU_DEP_1)
	v_add_co_ci_u32_e32 v7, vcc_lo, v9, v7, vcc_lo
	v_lshlrev_b64 v[8:9], 2, v[6:7]
	s_delay_alu instid0(VALU_DEP_1) | instskip(NEXT) | instid1(VALU_DEP_2)
	v_add_co_u32 v8, vcc_lo, s6, v8
	v_add_co_ci_u32_e32 v9, vcc_lo, s7, v9, vcc_lo
	global_load_b32 v8, v[8:9], off
	v_add_co_u32 v9, vcc_lo, v6, 1
	v_add_co_ci_u32_e32 v10, vcc_lo, 0, v7, vcc_lo
	s_waitcnt vmcnt(0)
	v_cmp_lt_u32_e32 vcc_lo, v8, v5
	v_dual_cndmask_b32 v4, v7, v4 :: v_dual_cndmask_b32 v3, v6, v3
	s_delay_alu instid0(VALU_DEP_3) | instskip(NEXT) | instid1(VALU_DEP_1)
	v_dual_cndmask_b32 v2, v2, v10 :: v_dual_cndmask_b32 v1, v1, v9
	v_cmp_ge_u64_e32 vcc_lo, v[1:2], v[3:4]
	s_or_b32 s1, vcc_lo, s1
	s_delay_alu instid0(SALU_CYCLE_1)
	s_and_not1_b32 exec_lo, exec_lo, s1
	s_cbranch_execnz .LBB43_10
; %bb.11:
	s_or_b32 exec_lo, exec_lo, s1
.LBB43_12:
	s_delay_alu instid0(SALU_CYCLE_1)
	s_or_b32 exec_lo, exec_lo, s0
.LBB43_13:
	s_and_saveexec_b32 s0, s13
	s_cbranch_execnz .LBB43_15
; %bb.14:
	s_endpgm
.LBB43_15:
	s_lshl_b64 s[0:1], s[2:3], 3
	v_lshlrev_b32_e32 v0, 3, v0
	s_add_u32 s2, s4, s0
	s_addc_u32 s3, s5, s1
	s_lshl_b64 s[0:1], s[8:9], 3
	s_delay_alu instid0(SALU_CYCLE_1)
	s_add_u32 s0, s2, s0
	s_addc_u32 s1, s3, s1
	global_store_b64 v0, v[1:2], s[0:1]
	s_nop 0
	s_sendmsg sendmsg(MSG_DEALLOC_VGPRS)
	s_endpgm
	.section	.rodata,"a",@progbits
	.p2align	6, 0x0
	.amdhsa_kernel _ZN7rocprim17ROCPRIM_400000_NS6detail17trampoline_kernelINS0_14default_configENS1_27lower_bound_config_selectorIjlEEZNS1_14transform_implILb0ES3_S5_N6thrust23THRUST_200600_302600_NS17counting_iteratorIjNS8_11use_defaultESA_SA_EEPlZNS1_13binary_searchIS3_S5_PjSB_SC_NS1_21lower_bound_search_opENS8_6detail16wrapped_functionI11custom_lessbEEEE10hipError_tPvRmT1_T2_T3_mmT4_T5_P12ihipStream_tbEUlRKjE_EESK_SO_SP_mSQ_ST_bEUlT_E_NS1_11comp_targetILNS1_3genE9ELNS1_11target_archE1100ELNS1_3gpuE3ELNS1_3repE0EEENS1_30default_config_static_selectorELNS0_4arch9wavefront6targetE0EEEvSN_
		.amdhsa_group_segment_fixed_size 0
		.amdhsa_private_segment_fixed_size 0
		.amdhsa_kernarg_size 312
		.amdhsa_user_sgpr_count 15
		.amdhsa_user_sgpr_dispatch_ptr 0
		.amdhsa_user_sgpr_queue_ptr 0
		.amdhsa_user_sgpr_kernarg_segment_ptr 1
		.amdhsa_user_sgpr_dispatch_id 0
		.amdhsa_user_sgpr_private_segment_size 0
		.amdhsa_wavefront_size32 1
		.amdhsa_uses_dynamic_stack 0
		.amdhsa_enable_private_segment 0
		.amdhsa_system_sgpr_workgroup_id_x 1
		.amdhsa_system_sgpr_workgroup_id_y 0
		.amdhsa_system_sgpr_workgroup_id_z 0
		.amdhsa_system_sgpr_workgroup_info 0
		.amdhsa_system_vgpr_workitem_id 0
		.amdhsa_next_free_vgpr 11
		.amdhsa_next_free_sgpr 16
		.amdhsa_reserve_vcc 1
		.amdhsa_float_round_mode_32 0
		.amdhsa_float_round_mode_16_64 0
		.amdhsa_float_denorm_mode_32 3
		.amdhsa_float_denorm_mode_16_64 3
		.amdhsa_dx10_clamp 1
		.amdhsa_ieee_mode 1
		.amdhsa_fp16_overflow 0
		.amdhsa_workgroup_processor_mode 1
		.amdhsa_memory_ordered 1
		.amdhsa_forward_progress 0
		.amdhsa_shared_vgpr_count 0
		.amdhsa_exception_fp_ieee_invalid_op 0
		.amdhsa_exception_fp_denorm_src 0
		.amdhsa_exception_fp_ieee_div_zero 0
		.amdhsa_exception_fp_ieee_overflow 0
		.amdhsa_exception_fp_ieee_underflow 0
		.amdhsa_exception_fp_ieee_inexact 0
		.amdhsa_exception_int_div_zero 0
	.end_amdhsa_kernel
	.section	.text._ZN7rocprim17ROCPRIM_400000_NS6detail17trampoline_kernelINS0_14default_configENS1_27lower_bound_config_selectorIjlEEZNS1_14transform_implILb0ES3_S5_N6thrust23THRUST_200600_302600_NS17counting_iteratorIjNS8_11use_defaultESA_SA_EEPlZNS1_13binary_searchIS3_S5_PjSB_SC_NS1_21lower_bound_search_opENS8_6detail16wrapped_functionI11custom_lessbEEEE10hipError_tPvRmT1_T2_T3_mmT4_T5_P12ihipStream_tbEUlRKjE_EESK_SO_SP_mSQ_ST_bEUlT_E_NS1_11comp_targetILNS1_3genE9ELNS1_11target_archE1100ELNS1_3gpuE3ELNS1_3repE0EEENS1_30default_config_static_selectorELNS0_4arch9wavefront6targetE0EEEvSN_,"axG",@progbits,_ZN7rocprim17ROCPRIM_400000_NS6detail17trampoline_kernelINS0_14default_configENS1_27lower_bound_config_selectorIjlEEZNS1_14transform_implILb0ES3_S5_N6thrust23THRUST_200600_302600_NS17counting_iteratorIjNS8_11use_defaultESA_SA_EEPlZNS1_13binary_searchIS3_S5_PjSB_SC_NS1_21lower_bound_search_opENS8_6detail16wrapped_functionI11custom_lessbEEEE10hipError_tPvRmT1_T2_T3_mmT4_T5_P12ihipStream_tbEUlRKjE_EESK_SO_SP_mSQ_ST_bEUlT_E_NS1_11comp_targetILNS1_3genE9ELNS1_11target_archE1100ELNS1_3gpuE3ELNS1_3repE0EEENS1_30default_config_static_selectorELNS0_4arch9wavefront6targetE0EEEvSN_,comdat
.Lfunc_end43:
	.size	_ZN7rocprim17ROCPRIM_400000_NS6detail17trampoline_kernelINS0_14default_configENS1_27lower_bound_config_selectorIjlEEZNS1_14transform_implILb0ES3_S5_N6thrust23THRUST_200600_302600_NS17counting_iteratorIjNS8_11use_defaultESA_SA_EEPlZNS1_13binary_searchIS3_S5_PjSB_SC_NS1_21lower_bound_search_opENS8_6detail16wrapped_functionI11custom_lessbEEEE10hipError_tPvRmT1_T2_T3_mmT4_T5_P12ihipStream_tbEUlRKjE_EESK_SO_SP_mSQ_ST_bEUlT_E_NS1_11comp_targetILNS1_3genE9ELNS1_11target_archE1100ELNS1_3gpuE3ELNS1_3repE0EEENS1_30default_config_static_selectorELNS0_4arch9wavefront6targetE0EEEvSN_, .Lfunc_end43-_ZN7rocprim17ROCPRIM_400000_NS6detail17trampoline_kernelINS0_14default_configENS1_27lower_bound_config_selectorIjlEEZNS1_14transform_implILb0ES3_S5_N6thrust23THRUST_200600_302600_NS17counting_iteratorIjNS8_11use_defaultESA_SA_EEPlZNS1_13binary_searchIS3_S5_PjSB_SC_NS1_21lower_bound_search_opENS8_6detail16wrapped_functionI11custom_lessbEEEE10hipError_tPvRmT1_T2_T3_mmT4_T5_P12ihipStream_tbEUlRKjE_EESK_SO_SP_mSQ_ST_bEUlT_E_NS1_11comp_targetILNS1_3genE9ELNS1_11target_archE1100ELNS1_3gpuE3ELNS1_3repE0EEENS1_30default_config_static_selectorELNS0_4arch9wavefront6targetE0EEEvSN_
                                        ; -- End function
	.section	.AMDGPU.csdata,"",@progbits
; Kernel info:
; codeLenInByte = 624
; NumSgprs: 18
; NumVgprs: 11
; ScratchSize: 0
; MemoryBound: 0
; FloatMode: 240
; IeeeMode: 1
; LDSByteSize: 0 bytes/workgroup (compile time only)
; SGPRBlocks: 2
; VGPRBlocks: 1
; NumSGPRsForWavesPerEU: 18
; NumVGPRsForWavesPerEU: 11
; Occupancy: 16
; WaveLimiterHint : 0
; COMPUTE_PGM_RSRC2:SCRATCH_EN: 0
; COMPUTE_PGM_RSRC2:USER_SGPR: 15
; COMPUTE_PGM_RSRC2:TRAP_HANDLER: 0
; COMPUTE_PGM_RSRC2:TGID_X_EN: 1
; COMPUTE_PGM_RSRC2:TGID_Y_EN: 0
; COMPUTE_PGM_RSRC2:TGID_Z_EN: 0
; COMPUTE_PGM_RSRC2:TIDIG_COMP_CNT: 0
	.section	.text._ZN7rocprim17ROCPRIM_400000_NS6detail17trampoline_kernelINS0_14default_configENS1_27lower_bound_config_selectorIjlEEZNS1_14transform_implILb0ES3_S5_N6thrust23THRUST_200600_302600_NS17counting_iteratorIjNS8_11use_defaultESA_SA_EEPlZNS1_13binary_searchIS3_S5_PjSB_SC_NS1_21lower_bound_search_opENS8_6detail16wrapped_functionI11custom_lessbEEEE10hipError_tPvRmT1_T2_T3_mmT4_T5_P12ihipStream_tbEUlRKjE_EESK_SO_SP_mSQ_ST_bEUlT_E_NS1_11comp_targetILNS1_3genE8ELNS1_11target_archE1030ELNS1_3gpuE2ELNS1_3repE0EEENS1_30default_config_static_selectorELNS0_4arch9wavefront6targetE0EEEvSN_,"axG",@progbits,_ZN7rocprim17ROCPRIM_400000_NS6detail17trampoline_kernelINS0_14default_configENS1_27lower_bound_config_selectorIjlEEZNS1_14transform_implILb0ES3_S5_N6thrust23THRUST_200600_302600_NS17counting_iteratorIjNS8_11use_defaultESA_SA_EEPlZNS1_13binary_searchIS3_S5_PjSB_SC_NS1_21lower_bound_search_opENS8_6detail16wrapped_functionI11custom_lessbEEEE10hipError_tPvRmT1_T2_T3_mmT4_T5_P12ihipStream_tbEUlRKjE_EESK_SO_SP_mSQ_ST_bEUlT_E_NS1_11comp_targetILNS1_3genE8ELNS1_11target_archE1030ELNS1_3gpuE2ELNS1_3repE0EEENS1_30default_config_static_selectorELNS0_4arch9wavefront6targetE0EEEvSN_,comdat
	.protected	_ZN7rocprim17ROCPRIM_400000_NS6detail17trampoline_kernelINS0_14default_configENS1_27lower_bound_config_selectorIjlEEZNS1_14transform_implILb0ES3_S5_N6thrust23THRUST_200600_302600_NS17counting_iteratorIjNS8_11use_defaultESA_SA_EEPlZNS1_13binary_searchIS3_S5_PjSB_SC_NS1_21lower_bound_search_opENS8_6detail16wrapped_functionI11custom_lessbEEEE10hipError_tPvRmT1_T2_T3_mmT4_T5_P12ihipStream_tbEUlRKjE_EESK_SO_SP_mSQ_ST_bEUlT_E_NS1_11comp_targetILNS1_3genE8ELNS1_11target_archE1030ELNS1_3gpuE2ELNS1_3repE0EEENS1_30default_config_static_selectorELNS0_4arch9wavefront6targetE0EEEvSN_ ; -- Begin function _ZN7rocprim17ROCPRIM_400000_NS6detail17trampoline_kernelINS0_14default_configENS1_27lower_bound_config_selectorIjlEEZNS1_14transform_implILb0ES3_S5_N6thrust23THRUST_200600_302600_NS17counting_iteratorIjNS8_11use_defaultESA_SA_EEPlZNS1_13binary_searchIS3_S5_PjSB_SC_NS1_21lower_bound_search_opENS8_6detail16wrapped_functionI11custom_lessbEEEE10hipError_tPvRmT1_T2_T3_mmT4_T5_P12ihipStream_tbEUlRKjE_EESK_SO_SP_mSQ_ST_bEUlT_E_NS1_11comp_targetILNS1_3genE8ELNS1_11target_archE1030ELNS1_3gpuE2ELNS1_3repE0EEENS1_30default_config_static_selectorELNS0_4arch9wavefront6targetE0EEEvSN_
	.globl	_ZN7rocprim17ROCPRIM_400000_NS6detail17trampoline_kernelINS0_14default_configENS1_27lower_bound_config_selectorIjlEEZNS1_14transform_implILb0ES3_S5_N6thrust23THRUST_200600_302600_NS17counting_iteratorIjNS8_11use_defaultESA_SA_EEPlZNS1_13binary_searchIS3_S5_PjSB_SC_NS1_21lower_bound_search_opENS8_6detail16wrapped_functionI11custom_lessbEEEE10hipError_tPvRmT1_T2_T3_mmT4_T5_P12ihipStream_tbEUlRKjE_EESK_SO_SP_mSQ_ST_bEUlT_E_NS1_11comp_targetILNS1_3genE8ELNS1_11target_archE1030ELNS1_3gpuE2ELNS1_3repE0EEENS1_30default_config_static_selectorELNS0_4arch9wavefront6targetE0EEEvSN_
	.p2align	8
	.type	_ZN7rocprim17ROCPRIM_400000_NS6detail17trampoline_kernelINS0_14default_configENS1_27lower_bound_config_selectorIjlEEZNS1_14transform_implILb0ES3_S5_N6thrust23THRUST_200600_302600_NS17counting_iteratorIjNS8_11use_defaultESA_SA_EEPlZNS1_13binary_searchIS3_S5_PjSB_SC_NS1_21lower_bound_search_opENS8_6detail16wrapped_functionI11custom_lessbEEEE10hipError_tPvRmT1_T2_T3_mmT4_T5_P12ihipStream_tbEUlRKjE_EESK_SO_SP_mSQ_ST_bEUlT_E_NS1_11comp_targetILNS1_3genE8ELNS1_11target_archE1030ELNS1_3gpuE2ELNS1_3repE0EEENS1_30default_config_static_selectorELNS0_4arch9wavefront6targetE0EEEvSN_,@function
_ZN7rocprim17ROCPRIM_400000_NS6detail17trampoline_kernelINS0_14default_configENS1_27lower_bound_config_selectorIjlEEZNS1_14transform_implILb0ES3_S5_N6thrust23THRUST_200600_302600_NS17counting_iteratorIjNS8_11use_defaultESA_SA_EEPlZNS1_13binary_searchIS3_S5_PjSB_SC_NS1_21lower_bound_search_opENS8_6detail16wrapped_functionI11custom_lessbEEEE10hipError_tPvRmT1_T2_T3_mmT4_T5_P12ihipStream_tbEUlRKjE_EESK_SO_SP_mSQ_ST_bEUlT_E_NS1_11comp_targetILNS1_3genE8ELNS1_11target_archE1030ELNS1_3gpuE2ELNS1_3repE0EEENS1_30default_config_static_selectorELNS0_4arch9wavefront6targetE0EEEvSN_: ; @_ZN7rocprim17ROCPRIM_400000_NS6detail17trampoline_kernelINS0_14default_configENS1_27lower_bound_config_selectorIjlEEZNS1_14transform_implILb0ES3_S5_N6thrust23THRUST_200600_302600_NS17counting_iteratorIjNS8_11use_defaultESA_SA_EEPlZNS1_13binary_searchIS3_S5_PjSB_SC_NS1_21lower_bound_search_opENS8_6detail16wrapped_functionI11custom_lessbEEEE10hipError_tPvRmT1_T2_T3_mmT4_T5_P12ihipStream_tbEUlRKjE_EESK_SO_SP_mSQ_ST_bEUlT_E_NS1_11comp_targetILNS1_3genE8ELNS1_11target_archE1030ELNS1_3gpuE2ELNS1_3repE0EEENS1_30default_config_static_selectorELNS0_4arch9wavefront6targetE0EEEvSN_
; %bb.0:
	.section	.rodata,"a",@progbits
	.p2align	6, 0x0
	.amdhsa_kernel _ZN7rocprim17ROCPRIM_400000_NS6detail17trampoline_kernelINS0_14default_configENS1_27lower_bound_config_selectorIjlEEZNS1_14transform_implILb0ES3_S5_N6thrust23THRUST_200600_302600_NS17counting_iteratorIjNS8_11use_defaultESA_SA_EEPlZNS1_13binary_searchIS3_S5_PjSB_SC_NS1_21lower_bound_search_opENS8_6detail16wrapped_functionI11custom_lessbEEEE10hipError_tPvRmT1_T2_T3_mmT4_T5_P12ihipStream_tbEUlRKjE_EESK_SO_SP_mSQ_ST_bEUlT_E_NS1_11comp_targetILNS1_3genE8ELNS1_11target_archE1030ELNS1_3gpuE2ELNS1_3repE0EEENS1_30default_config_static_selectorELNS0_4arch9wavefront6targetE0EEEvSN_
		.amdhsa_group_segment_fixed_size 0
		.amdhsa_private_segment_fixed_size 0
		.amdhsa_kernarg_size 56
		.amdhsa_user_sgpr_count 15
		.amdhsa_user_sgpr_dispatch_ptr 0
		.amdhsa_user_sgpr_queue_ptr 0
		.amdhsa_user_sgpr_kernarg_segment_ptr 1
		.amdhsa_user_sgpr_dispatch_id 0
		.amdhsa_user_sgpr_private_segment_size 0
		.amdhsa_wavefront_size32 1
		.amdhsa_uses_dynamic_stack 0
		.amdhsa_enable_private_segment 0
		.amdhsa_system_sgpr_workgroup_id_x 1
		.amdhsa_system_sgpr_workgroup_id_y 0
		.amdhsa_system_sgpr_workgroup_id_z 0
		.amdhsa_system_sgpr_workgroup_info 0
		.amdhsa_system_vgpr_workitem_id 0
		.amdhsa_next_free_vgpr 1
		.amdhsa_next_free_sgpr 1
		.amdhsa_reserve_vcc 0
		.amdhsa_float_round_mode_32 0
		.amdhsa_float_round_mode_16_64 0
		.amdhsa_float_denorm_mode_32 3
		.amdhsa_float_denorm_mode_16_64 3
		.amdhsa_dx10_clamp 1
		.amdhsa_ieee_mode 1
		.amdhsa_fp16_overflow 0
		.amdhsa_workgroup_processor_mode 1
		.amdhsa_memory_ordered 1
		.amdhsa_forward_progress 0
		.amdhsa_shared_vgpr_count 0
		.amdhsa_exception_fp_ieee_invalid_op 0
		.amdhsa_exception_fp_denorm_src 0
		.amdhsa_exception_fp_ieee_div_zero 0
		.amdhsa_exception_fp_ieee_overflow 0
		.amdhsa_exception_fp_ieee_underflow 0
		.amdhsa_exception_fp_ieee_inexact 0
		.amdhsa_exception_int_div_zero 0
	.end_amdhsa_kernel
	.section	.text._ZN7rocprim17ROCPRIM_400000_NS6detail17trampoline_kernelINS0_14default_configENS1_27lower_bound_config_selectorIjlEEZNS1_14transform_implILb0ES3_S5_N6thrust23THRUST_200600_302600_NS17counting_iteratorIjNS8_11use_defaultESA_SA_EEPlZNS1_13binary_searchIS3_S5_PjSB_SC_NS1_21lower_bound_search_opENS8_6detail16wrapped_functionI11custom_lessbEEEE10hipError_tPvRmT1_T2_T3_mmT4_T5_P12ihipStream_tbEUlRKjE_EESK_SO_SP_mSQ_ST_bEUlT_E_NS1_11comp_targetILNS1_3genE8ELNS1_11target_archE1030ELNS1_3gpuE2ELNS1_3repE0EEENS1_30default_config_static_selectorELNS0_4arch9wavefront6targetE0EEEvSN_,"axG",@progbits,_ZN7rocprim17ROCPRIM_400000_NS6detail17trampoline_kernelINS0_14default_configENS1_27lower_bound_config_selectorIjlEEZNS1_14transform_implILb0ES3_S5_N6thrust23THRUST_200600_302600_NS17counting_iteratorIjNS8_11use_defaultESA_SA_EEPlZNS1_13binary_searchIS3_S5_PjSB_SC_NS1_21lower_bound_search_opENS8_6detail16wrapped_functionI11custom_lessbEEEE10hipError_tPvRmT1_T2_T3_mmT4_T5_P12ihipStream_tbEUlRKjE_EESK_SO_SP_mSQ_ST_bEUlT_E_NS1_11comp_targetILNS1_3genE8ELNS1_11target_archE1030ELNS1_3gpuE2ELNS1_3repE0EEENS1_30default_config_static_selectorELNS0_4arch9wavefront6targetE0EEEvSN_,comdat
.Lfunc_end44:
	.size	_ZN7rocprim17ROCPRIM_400000_NS6detail17trampoline_kernelINS0_14default_configENS1_27lower_bound_config_selectorIjlEEZNS1_14transform_implILb0ES3_S5_N6thrust23THRUST_200600_302600_NS17counting_iteratorIjNS8_11use_defaultESA_SA_EEPlZNS1_13binary_searchIS3_S5_PjSB_SC_NS1_21lower_bound_search_opENS8_6detail16wrapped_functionI11custom_lessbEEEE10hipError_tPvRmT1_T2_T3_mmT4_T5_P12ihipStream_tbEUlRKjE_EESK_SO_SP_mSQ_ST_bEUlT_E_NS1_11comp_targetILNS1_3genE8ELNS1_11target_archE1030ELNS1_3gpuE2ELNS1_3repE0EEENS1_30default_config_static_selectorELNS0_4arch9wavefront6targetE0EEEvSN_, .Lfunc_end44-_ZN7rocprim17ROCPRIM_400000_NS6detail17trampoline_kernelINS0_14default_configENS1_27lower_bound_config_selectorIjlEEZNS1_14transform_implILb0ES3_S5_N6thrust23THRUST_200600_302600_NS17counting_iteratorIjNS8_11use_defaultESA_SA_EEPlZNS1_13binary_searchIS3_S5_PjSB_SC_NS1_21lower_bound_search_opENS8_6detail16wrapped_functionI11custom_lessbEEEE10hipError_tPvRmT1_T2_T3_mmT4_T5_P12ihipStream_tbEUlRKjE_EESK_SO_SP_mSQ_ST_bEUlT_E_NS1_11comp_targetILNS1_3genE8ELNS1_11target_archE1030ELNS1_3gpuE2ELNS1_3repE0EEENS1_30default_config_static_selectorELNS0_4arch9wavefront6targetE0EEEvSN_
                                        ; -- End function
	.section	.AMDGPU.csdata,"",@progbits
; Kernel info:
; codeLenInByte = 0
; NumSgprs: 0
; NumVgprs: 0
; ScratchSize: 0
; MemoryBound: 0
; FloatMode: 240
; IeeeMode: 1
; LDSByteSize: 0 bytes/workgroup (compile time only)
; SGPRBlocks: 0
; VGPRBlocks: 0
; NumSGPRsForWavesPerEU: 1
; NumVGPRsForWavesPerEU: 1
; Occupancy: 16
; WaveLimiterHint : 0
; COMPUTE_PGM_RSRC2:SCRATCH_EN: 0
; COMPUTE_PGM_RSRC2:USER_SGPR: 15
; COMPUTE_PGM_RSRC2:TRAP_HANDLER: 0
; COMPUTE_PGM_RSRC2:TGID_X_EN: 1
; COMPUTE_PGM_RSRC2:TGID_Y_EN: 0
; COMPUTE_PGM_RSRC2:TGID_Z_EN: 0
; COMPUTE_PGM_RSRC2:TIDIG_COMP_CNT: 0
	.section	.text._ZN6thrust23THRUST_200600_302600_NS11hip_rocprim14__parallel_for6kernelILj256ENS1_20__uninitialized_fill7functorINS0_10device_ptrItEEtEEmLj1EEEvT0_T1_SA_,"axG",@progbits,_ZN6thrust23THRUST_200600_302600_NS11hip_rocprim14__parallel_for6kernelILj256ENS1_20__uninitialized_fill7functorINS0_10device_ptrItEEtEEmLj1EEEvT0_T1_SA_,comdat
	.protected	_ZN6thrust23THRUST_200600_302600_NS11hip_rocprim14__parallel_for6kernelILj256ENS1_20__uninitialized_fill7functorINS0_10device_ptrItEEtEEmLj1EEEvT0_T1_SA_ ; -- Begin function _ZN6thrust23THRUST_200600_302600_NS11hip_rocprim14__parallel_for6kernelILj256ENS1_20__uninitialized_fill7functorINS0_10device_ptrItEEtEEmLj1EEEvT0_T1_SA_
	.globl	_ZN6thrust23THRUST_200600_302600_NS11hip_rocprim14__parallel_for6kernelILj256ENS1_20__uninitialized_fill7functorINS0_10device_ptrItEEtEEmLj1EEEvT0_T1_SA_
	.p2align	8
	.type	_ZN6thrust23THRUST_200600_302600_NS11hip_rocprim14__parallel_for6kernelILj256ENS1_20__uninitialized_fill7functorINS0_10device_ptrItEEtEEmLj1EEEvT0_T1_SA_,@function
_ZN6thrust23THRUST_200600_302600_NS11hip_rocprim14__parallel_for6kernelILj256ENS1_20__uninitialized_fill7functorINS0_10device_ptrItEEtEEmLj1EEEvT0_T1_SA_: ; @_ZN6thrust23THRUST_200600_302600_NS11hip_rocprim14__parallel_for6kernelILj256ENS1_20__uninitialized_fill7functorINS0_10device_ptrItEEtEEmLj1EEEvT0_T1_SA_
; %bb.0:
	s_load_b128 s[4:7], s[0:1], 0x10
	s_lshl_b32 s2, s15, 8
	s_waitcnt lgkmcnt(0)
	s_add_u32 s2, s2, s6
	s_addc_u32 s3, 0, s7
	s_sub_u32 s4, s4, s2
	s_subb_u32 s5, s5, s3
	s_delay_alu instid0(SALU_CYCLE_1) | instskip(NEXT) | instid1(VALU_DEP_1)
	v_cmp_gt_u64_e64 s5, 0x100, s[4:5]
	s_and_b32 vcc_lo, exec_lo, s5
	s_mov_b32 s5, 0
	s_cbranch_vccz .LBB45_2
; %bb.1:
	v_cmp_gt_u32_e32 vcc_lo, s4, v0
	s_and_b32 s5, vcc_lo, exec_lo
	s_cbranch_execz .LBB45_3
	s_branch .LBB45_4
.LBB45_2:
.LBB45_3:
	s_or_b32 s5, s5, exec_lo
.LBB45_4:
	s_delay_alu instid0(SALU_CYCLE_1)
	s_and_saveexec_b32 s4, s5
	s_cbranch_execnz .LBB45_6
; %bb.5:
	s_endpgm
.LBB45_6:
	s_clause 0x1
	s_load_b64 s[4:5], s[0:1], 0x0
	s_load_b32 s6, s[0:1], 0x8
	v_mov_b32_e32 v1, 0
	s_lshl_b64 s[0:1], s[2:3], 1
	s_waitcnt lgkmcnt(0)
	s_add_u32 s0, s4, s0
	v_mov_b32_e32 v2, s6
	v_lshlrev_b64 v[0:1], 1, v[0:1]
	s_addc_u32 s1, s5, s1
	s_delay_alu instid0(VALU_DEP_1) | instskip(NEXT) | instid1(VALU_DEP_2)
	v_add_co_u32 v0, vcc_lo, s0, v0
	v_add_co_ci_u32_e32 v1, vcc_lo, s1, v1, vcc_lo
	flat_store_b16 v[0:1], v2
	s_endpgm
	.section	.rodata,"a",@progbits
	.p2align	6, 0x0
	.amdhsa_kernel _ZN6thrust23THRUST_200600_302600_NS11hip_rocprim14__parallel_for6kernelILj256ENS1_20__uninitialized_fill7functorINS0_10device_ptrItEEtEEmLj1EEEvT0_T1_SA_
		.amdhsa_group_segment_fixed_size 0
		.amdhsa_private_segment_fixed_size 0
		.amdhsa_kernarg_size 32
		.amdhsa_user_sgpr_count 15
		.amdhsa_user_sgpr_dispatch_ptr 0
		.amdhsa_user_sgpr_queue_ptr 0
		.amdhsa_user_sgpr_kernarg_segment_ptr 1
		.amdhsa_user_sgpr_dispatch_id 0
		.amdhsa_user_sgpr_private_segment_size 0
		.amdhsa_wavefront_size32 1
		.amdhsa_uses_dynamic_stack 0
		.amdhsa_enable_private_segment 0
		.amdhsa_system_sgpr_workgroup_id_x 1
		.amdhsa_system_sgpr_workgroup_id_y 0
		.amdhsa_system_sgpr_workgroup_id_z 0
		.amdhsa_system_sgpr_workgroup_info 0
		.amdhsa_system_vgpr_workitem_id 0
		.amdhsa_next_free_vgpr 3
		.amdhsa_next_free_sgpr 16
		.amdhsa_reserve_vcc 1
		.amdhsa_float_round_mode_32 0
		.amdhsa_float_round_mode_16_64 0
		.amdhsa_float_denorm_mode_32 3
		.amdhsa_float_denorm_mode_16_64 3
		.amdhsa_dx10_clamp 1
		.amdhsa_ieee_mode 1
		.amdhsa_fp16_overflow 0
		.amdhsa_workgroup_processor_mode 1
		.amdhsa_memory_ordered 1
		.amdhsa_forward_progress 0
		.amdhsa_shared_vgpr_count 0
		.amdhsa_exception_fp_ieee_invalid_op 0
		.amdhsa_exception_fp_denorm_src 0
		.amdhsa_exception_fp_ieee_div_zero 0
		.amdhsa_exception_fp_ieee_overflow 0
		.amdhsa_exception_fp_ieee_underflow 0
		.amdhsa_exception_fp_ieee_inexact 0
		.amdhsa_exception_int_div_zero 0
	.end_amdhsa_kernel
	.section	.text._ZN6thrust23THRUST_200600_302600_NS11hip_rocprim14__parallel_for6kernelILj256ENS1_20__uninitialized_fill7functorINS0_10device_ptrItEEtEEmLj1EEEvT0_T1_SA_,"axG",@progbits,_ZN6thrust23THRUST_200600_302600_NS11hip_rocprim14__parallel_for6kernelILj256ENS1_20__uninitialized_fill7functorINS0_10device_ptrItEEtEEmLj1EEEvT0_T1_SA_,comdat
.Lfunc_end45:
	.size	_ZN6thrust23THRUST_200600_302600_NS11hip_rocprim14__parallel_for6kernelILj256ENS1_20__uninitialized_fill7functorINS0_10device_ptrItEEtEEmLj1EEEvT0_T1_SA_, .Lfunc_end45-_ZN6thrust23THRUST_200600_302600_NS11hip_rocprim14__parallel_for6kernelILj256ENS1_20__uninitialized_fill7functorINS0_10device_ptrItEEtEEmLj1EEEvT0_T1_SA_
                                        ; -- End function
	.section	.AMDGPU.csdata,"",@progbits
; Kernel info:
; codeLenInByte = 176
; NumSgprs: 18
; NumVgprs: 3
; ScratchSize: 0
; MemoryBound: 0
; FloatMode: 240
; IeeeMode: 1
; LDSByteSize: 0 bytes/workgroup (compile time only)
; SGPRBlocks: 2
; VGPRBlocks: 0
; NumSGPRsForWavesPerEU: 18
; NumVGPRsForWavesPerEU: 3
; Occupancy: 16
; WaveLimiterHint : 0
; COMPUTE_PGM_RSRC2:SCRATCH_EN: 0
; COMPUTE_PGM_RSRC2:USER_SGPR: 15
; COMPUTE_PGM_RSRC2:TRAP_HANDLER: 0
; COMPUTE_PGM_RSRC2:TGID_X_EN: 1
; COMPUTE_PGM_RSRC2:TGID_Y_EN: 0
; COMPUTE_PGM_RSRC2:TGID_Z_EN: 0
; COMPUTE_PGM_RSRC2:TIDIG_COMP_CNT: 0
	.section	.text._Z18lower_bound_kernelItEvmPT_Pl,"axG",@progbits,_Z18lower_bound_kernelItEvmPT_Pl,comdat
	.protected	_Z18lower_bound_kernelItEvmPT_Pl ; -- Begin function _Z18lower_bound_kernelItEvmPT_Pl
	.globl	_Z18lower_bound_kernelItEvmPT_Pl
	.p2align	8
	.type	_Z18lower_bound_kernelItEvmPT_Pl,@function
_Z18lower_bound_kernelItEvmPT_Pl:       ; @_Z18lower_bound_kernelItEvmPT_Pl
; %bb.0:
	s_clause 0x1
	s_load_b128 s[4:7], s[0:1], 0x0
	s_load_b64 s[2:3], s[0:1], 0x10
	v_mov_b32_e32 v0, 0
	s_mov_b64 s[8:9], 0
	s_delay_alu instid0(VALU_DEP_1) | instskip(SKIP_4) | instid1(SALU_CYCLE_1)
	v_mov_b32_e32 v1, v0
	s_waitcnt lgkmcnt(0)
	v_cmp_lt_i64_e64 s0, s[4:5], 1
	global_store_b64 v0, v[0:1], s[2:3]
	s_and_b32 s0, exec_lo, s0
	s_mov_b32 vcc_lo, s0
	s_cbranch_vccnz .LBB46_3
; %bb.1:
	s_mov_b64 s[10:11], s[4:5]
	.p2align	6
.LBB46_2:                               ; =>This Inner Loop Header: Depth=1
	s_delay_alu instid0(SALU_CYCLE_1) | instskip(SKIP_1) | instid1(SALU_CYCLE_1)
	s_sub_u32 s1, s10, s8
	s_subb_u32 s13, s11, s9
	s_lshr_b32 s12, s13, 31
	s_delay_alu instid0(SALU_CYCLE_1) | instskip(SKIP_1) | instid1(SALU_CYCLE_1)
	s_add_u32 s12, s1, s12
	s_addc_u32 s13, s13, 0
	s_ashr_i64 s[12:13], s[12:13], 1
	s_delay_alu instid0(SALU_CYCLE_1) | instskip(SKIP_1) | instid1(SALU_CYCLE_1)
	s_add_u32 s12, s12, s8
	s_addc_u32 s13, s13, s9
	s_lshl_b64 s[14:15], s[12:13], 1
	s_delay_alu instid0(SALU_CYCLE_1)
	s_add_u32 s14, s6, s14
	s_addc_u32 s15, s7, s15
	s_add_u32 s1, s12, 1
	global_load_u16 v1, v0, s[14:15]
	s_addc_u32 s14, s13, 0
	s_waitcnt vmcnt(0)
	v_cmp_eq_u16_e32 vcc_lo, 0, v1
	s_and_b32 s15, vcc_lo, exec_lo
	s_cselect_b32 s9, s14, s9
	s_cselect_b32 s8, s1, s8
	;; [unrolled: 1-line block ×4, first 2 shown]
	s_delay_alu instid0(SALU_CYCLE_1) | instskip(NEXT) | instid1(VALU_DEP_1)
	v_cmp_lt_i64_e64 s1, s[8:9], s[10:11]
	s_and_b32 vcc_lo, exec_lo, s1
	s_cbranch_vccnz .LBB46_2
.LBB46_3:
	v_cmp_gt_i64_e64 s10, s[4:5], 0
	v_dual_mov_b32 v1, s8 :: v_dual_mov_b32 v2, s9
	s_mov_b64 s[8:9], 0
	s_delay_alu instid0(VALU_DEP_2) | instskip(SKIP_1) | instid1(VALU_DEP_1)
	v_cndmask_b32_e64 v0, 0, 1, s10
	s_and_not1_b32 vcc_lo, exec_lo, s10
	v_cmp_ne_u32_e64 s1, 1, v0
	v_mov_b32_e32 v0, 0
	global_store_b64 v0, v[1:2], s[2:3] offset:8
	s_cbranch_vccnz .LBB46_6
; %bb.4:
	s_mov_b64 s[10:11], s[4:5]
	.p2align	6
.LBB46_5:                               ; =>This Inner Loop Header: Depth=1
	s_delay_alu instid0(SALU_CYCLE_1) | instskip(SKIP_1) | instid1(SALU_CYCLE_1)
	s_sub_u32 s12, s10, s8
	s_subb_u32 s13, s11, s9
	s_lshr_b32 s14, s13, 31
	s_delay_alu instid0(SALU_CYCLE_1) | instskip(SKIP_1) | instid1(SALU_CYCLE_1)
	s_add_u32 s12, s12, s14
	s_addc_u32 s13, s13, 0
	s_ashr_i64 s[12:13], s[12:13], 1
	s_delay_alu instid0(SALU_CYCLE_1) | instskip(SKIP_1) | instid1(SALU_CYCLE_1)
	s_add_u32 s12, s12, s8
	s_addc_u32 s13, s13, s9
	s_lshl_b64 s[14:15], s[12:13], 1
	s_delay_alu instid0(SALU_CYCLE_1)
	s_add_u32 s14, s6, s14
	s_addc_u32 s15, s7, s15
	global_load_u16 v1, v0, s[14:15]
	s_add_u32 s14, s12, 1
	s_addc_u32 s15, s13, 0
	s_waitcnt vmcnt(0)
	v_cmp_gt_u16_e32 vcc_lo, 2, v1
	s_and_b32 s16, vcc_lo, exec_lo
	s_cselect_b32 s9, s15, s9
	s_cselect_b32 s8, s14, s8
	;; [unrolled: 1-line block ×4, first 2 shown]
	s_delay_alu instid0(SALU_CYCLE_1) | instskip(NEXT) | instid1(VALU_DEP_1)
	v_cmp_lt_i64_e64 s12, s[8:9], s[10:11]
	s_and_b32 vcc_lo, exec_lo, s12
	s_cbranch_vccnz .LBB46_5
.LBB46_6:
	v_dual_mov_b32 v0, 0 :: v_dual_mov_b32 v1, s8
	v_mov_b32_e32 v2, s9
	s_and_b32 vcc_lo, exec_lo, s1
	s_mov_b64 s[8:9], 0
	global_store_b64 v0, v[1:2], s[2:3] offset:16
	s_cbranch_vccnz .LBB46_9
; %bb.7:
	s_mov_b64 s[10:11], s[4:5]
	.p2align	6
.LBB46_8:                               ; =>This Inner Loop Header: Depth=1
	s_delay_alu instid0(SALU_CYCLE_1) | instskip(SKIP_1) | instid1(SALU_CYCLE_1)
	s_sub_u32 s12, s10, s8
	s_subb_u32 s13, s11, s9
	s_lshr_b32 s14, s13, 31
	s_delay_alu instid0(SALU_CYCLE_1) | instskip(SKIP_1) | instid1(SALU_CYCLE_1)
	s_add_u32 s12, s12, s14
	s_addc_u32 s13, s13, 0
	s_ashr_i64 s[12:13], s[12:13], 1
	s_delay_alu instid0(SALU_CYCLE_1) | instskip(SKIP_1) | instid1(SALU_CYCLE_1)
	s_add_u32 s12, s12, s8
	s_addc_u32 s13, s13, s9
	s_lshl_b64 s[14:15], s[12:13], 1
	s_delay_alu instid0(SALU_CYCLE_1)
	s_add_u32 s14, s6, s14
	s_addc_u32 s15, s7, s15
	global_load_u16 v1, v0, s[14:15]
	s_add_u32 s14, s12, 1
	s_addc_u32 s15, s13, 0
	s_waitcnt vmcnt(0)
	v_cmp_gt_u16_e32 vcc_lo, 3, v1
	s_and_b32 s16, vcc_lo, exec_lo
	s_cselect_b32 s9, s15, s9
	s_cselect_b32 s8, s14, s8
	;; [unrolled: 1-line block ×4, first 2 shown]
	s_delay_alu instid0(SALU_CYCLE_1) | instskip(NEXT) | instid1(VALU_DEP_1)
	v_cmp_lt_i64_e64 s12, s[8:9], s[10:11]
	s_and_b32 vcc_lo, exec_lo, s12
	s_cbranch_vccnz .LBB46_8
.LBB46_9:
	v_dual_mov_b32 v0, 0 :: v_dual_mov_b32 v1, s8
	v_mov_b32_e32 v2, s9
	s_and_b32 vcc_lo, exec_lo, s1
	s_mov_b64 s[8:9], 0
	global_store_b64 v0, v[1:2], s[2:3] offset:24
	s_cbranch_vccnz .LBB46_12
; %bb.10:
	s_mov_b64 s[10:11], s[4:5]
	.p2align	6
.LBB46_11:                              ; =>This Inner Loop Header: Depth=1
	s_delay_alu instid0(SALU_CYCLE_1) | instskip(SKIP_1) | instid1(SALU_CYCLE_1)
	s_sub_u32 s12, s10, s8
	s_subb_u32 s13, s11, s9
	s_lshr_b32 s14, s13, 31
	s_delay_alu instid0(SALU_CYCLE_1) | instskip(SKIP_1) | instid1(SALU_CYCLE_1)
	s_add_u32 s12, s12, s14
	s_addc_u32 s13, s13, 0
	s_ashr_i64 s[12:13], s[12:13], 1
	s_delay_alu instid0(SALU_CYCLE_1) | instskip(SKIP_1) | instid1(SALU_CYCLE_1)
	s_add_u32 s12, s12, s8
	s_addc_u32 s13, s13, s9
	s_lshl_b64 s[14:15], s[12:13], 1
	s_delay_alu instid0(SALU_CYCLE_1)
	s_add_u32 s14, s6, s14
	s_addc_u32 s15, s7, s15
	global_load_u16 v1, v0, s[14:15]
	s_add_u32 s14, s12, 1
	s_addc_u32 s15, s13, 0
	s_waitcnt vmcnt(0)
	v_cmp_gt_u16_e32 vcc_lo, 4, v1
	s_and_b32 s16, vcc_lo, exec_lo
	s_cselect_b32 s9, s15, s9
	s_cselect_b32 s8, s14, s8
	;; [unrolled: 1-line block ×4, first 2 shown]
	s_delay_alu instid0(SALU_CYCLE_1) | instskip(NEXT) | instid1(VALU_DEP_1)
	v_cmp_lt_i64_e64 s12, s[8:9], s[10:11]
	s_and_b32 vcc_lo, exec_lo, s12
	s_cbranch_vccnz .LBB46_11
.LBB46_12:
	v_dual_mov_b32 v0, 0 :: v_dual_mov_b32 v1, s8
	v_mov_b32_e32 v2, s9
	s_and_b32 vcc_lo, exec_lo, s1
	s_mov_b64 s[8:9], 0
	global_store_b64 v0, v[1:2], s[2:3] offset:32
	s_cbranch_vccnz .LBB46_15
; %bb.13:
	s_mov_b64 s[10:11], s[4:5]
	.p2align	6
.LBB46_14:                              ; =>This Inner Loop Header: Depth=1
	s_delay_alu instid0(SALU_CYCLE_1) | instskip(SKIP_1) | instid1(SALU_CYCLE_1)
	s_sub_u32 s12, s10, s8
	s_subb_u32 s13, s11, s9
	s_lshr_b32 s14, s13, 31
	s_delay_alu instid0(SALU_CYCLE_1) | instskip(SKIP_1) | instid1(SALU_CYCLE_1)
	s_add_u32 s12, s12, s14
	s_addc_u32 s13, s13, 0
	s_ashr_i64 s[12:13], s[12:13], 1
	s_delay_alu instid0(SALU_CYCLE_1) | instskip(SKIP_1) | instid1(SALU_CYCLE_1)
	s_add_u32 s12, s12, s8
	s_addc_u32 s13, s13, s9
	s_lshl_b64 s[14:15], s[12:13], 1
	s_delay_alu instid0(SALU_CYCLE_1)
	s_add_u32 s14, s6, s14
	s_addc_u32 s15, s7, s15
	global_load_u16 v1, v0, s[14:15]
	s_add_u32 s14, s12, 1
	s_addc_u32 s15, s13, 0
	s_waitcnt vmcnt(0)
	v_cmp_gt_u16_e32 vcc_lo, 5, v1
	s_and_b32 s16, vcc_lo, exec_lo
	s_cselect_b32 s9, s15, s9
	s_cselect_b32 s8, s14, s8
	;; [unrolled: 1-line block ×4, first 2 shown]
	s_delay_alu instid0(SALU_CYCLE_1) | instskip(NEXT) | instid1(VALU_DEP_1)
	v_cmp_lt_i64_e64 s12, s[8:9], s[10:11]
	s_and_b32 vcc_lo, exec_lo, s12
	s_cbranch_vccnz .LBB46_14
.LBB46_15:
	v_dual_mov_b32 v0, 0 :: v_dual_mov_b32 v1, s8
	v_mov_b32_e32 v2, s9
	s_and_b32 vcc_lo, exec_lo, s1
	s_mov_b64 s[8:9], 0
	global_store_b64 v0, v[1:2], s[2:3] offset:40
	s_cbranch_vccnz .LBB46_18
; %bb.16:
	s_mov_b64 s[10:11], s[4:5]
	.p2align	6
.LBB46_17:                              ; =>This Inner Loop Header: Depth=1
	s_delay_alu instid0(SALU_CYCLE_1) | instskip(SKIP_1) | instid1(SALU_CYCLE_1)
	s_sub_u32 s12, s10, s8
	s_subb_u32 s13, s11, s9
	s_lshr_b32 s14, s13, 31
	s_delay_alu instid0(SALU_CYCLE_1) | instskip(SKIP_1) | instid1(SALU_CYCLE_1)
	s_add_u32 s12, s12, s14
	s_addc_u32 s13, s13, 0
	s_ashr_i64 s[12:13], s[12:13], 1
	s_delay_alu instid0(SALU_CYCLE_1) | instskip(SKIP_1) | instid1(SALU_CYCLE_1)
	s_add_u32 s12, s12, s8
	s_addc_u32 s13, s13, s9
	s_lshl_b64 s[14:15], s[12:13], 1
	s_delay_alu instid0(SALU_CYCLE_1)
	s_add_u32 s14, s6, s14
	s_addc_u32 s15, s7, s15
	global_load_u16 v1, v0, s[14:15]
	s_add_u32 s14, s12, 1
	s_addc_u32 s15, s13, 0
	s_waitcnt vmcnt(0)
	v_cmp_gt_u16_e32 vcc_lo, 6, v1
	s_and_b32 s16, vcc_lo, exec_lo
	s_cselect_b32 s9, s15, s9
	s_cselect_b32 s8, s14, s8
	;; [unrolled: 1-line block ×4, first 2 shown]
	s_delay_alu instid0(SALU_CYCLE_1) | instskip(NEXT) | instid1(VALU_DEP_1)
	v_cmp_lt_i64_e64 s12, s[8:9], s[10:11]
	s_and_b32 vcc_lo, exec_lo, s12
	s_cbranch_vccnz .LBB46_17
.LBB46_18:
	v_dual_mov_b32 v0, 0 :: v_dual_mov_b32 v1, s8
	v_mov_b32_e32 v2, s9
	s_and_b32 vcc_lo, exec_lo, s1
	s_mov_b64 s[8:9], 0
	global_store_b64 v0, v[1:2], s[2:3] offset:48
	s_cbranch_vccnz .LBB46_21
; %bb.19:
	s_mov_b64 s[10:11], s[4:5]
	.p2align	6
.LBB46_20:                              ; =>This Inner Loop Header: Depth=1
	s_delay_alu instid0(SALU_CYCLE_1) | instskip(SKIP_1) | instid1(SALU_CYCLE_1)
	s_sub_u32 s1, s10, s8
	s_subb_u32 s13, s11, s9
	s_lshr_b32 s12, s13, 31
	s_delay_alu instid0(SALU_CYCLE_1) | instskip(SKIP_1) | instid1(SALU_CYCLE_1)
	s_add_u32 s12, s1, s12
	s_addc_u32 s13, s13, 0
	s_ashr_i64 s[12:13], s[12:13], 1
	s_delay_alu instid0(SALU_CYCLE_1) | instskip(SKIP_1) | instid1(SALU_CYCLE_1)
	s_add_u32 s12, s12, s8
	s_addc_u32 s13, s13, s9
	s_lshl_b64 s[14:15], s[12:13], 1
	s_delay_alu instid0(SALU_CYCLE_1)
	s_add_u32 s14, s6, s14
	s_addc_u32 s15, s7, s15
	s_add_u32 s1, s12, 1
	global_load_u16 v1, v0, s[14:15]
	s_addc_u32 s14, s13, 0
	s_waitcnt vmcnt(0)
	v_cmp_gt_u16_e32 vcc_lo, 7, v1
	s_and_b32 s15, vcc_lo, exec_lo
	s_cselect_b32 s9, s14, s9
	s_cselect_b32 s8, s1, s8
	;; [unrolled: 1-line block ×4, first 2 shown]
	s_delay_alu instid0(SALU_CYCLE_1) | instskip(NEXT) | instid1(VALU_DEP_1)
	v_cmp_lt_i64_e64 s1, s[8:9], s[10:11]
	s_and_b32 vcc_lo, exec_lo, s1
	s_cbranch_vccnz .LBB46_20
.LBB46_21:
	v_dual_mov_b32 v0, 0 :: v_dual_mov_b32 v1, s8
	v_mov_b32_e32 v2, s9
	s_mov_b32 vcc_lo, s0
	global_store_b64 v0, v[1:2], s[2:3] offset:56
	s_cbranch_vccz .LBB46_23
; %bb.22:
	v_mov_b32_e32 v1, v0
	s_mov_b64 s[0:1], 0
	global_store_b64 v0, v[0:1], s[2:3] offset:64
	s_cbranch_execz .LBB46_24
	s_branch .LBB46_28
.LBB46_23:
                                        ; implicit-def: $sgpr0_sgpr1
.LBB46_24:
	v_mov_b32_e32 v0, 0
	s_mov_b64 s[0:1], 0
	s_mov_b64 s[8:9], s[4:5]
	.p2align	6
.LBB46_25:                              ; =>This Inner Loop Header: Depth=1
	s_delay_alu instid0(SALU_CYCLE_1) | instskip(SKIP_1) | instid1(SALU_CYCLE_1)
	s_sub_u32 s10, s8, s0
	s_subb_u32 s11, s9, s1
	s_lshr_b32 s12, s11, 31
	s_delay_alu instid0(SALU_CYCLE_1) | instskip(SKIP_1) | instid1(SALU_CYCLE_1)
	s_add_u32 s10, s10, s12
	s_addc_u32 s11, s11, 0
	s_ashr_i64 s[10:11], s[10:11], 1
	s_delay_alu instid0(SALU_CYCLE_1) | instskip(SKIP_1) | instid1(SALU_CYCLE_1)
	s_add_u32 s10, s10, s0
	s_addc_u32 s11, s11, s1
	s_lshl_b64 s[12:13], s[10:11], 1
	s_delay_alu instid0(SALU_CYCLE_1)
	s_add_u32 s12, s6, s12
	s_addc_u32 s13, s7, s13
	global_load_u16 v1, v0, s[12:13]
	s_add_u32 s12, s10, 1
	s_addc_u32 s13, s11, 0
	s_waitcnt vmcnt(0)
	v_cmp_gt_u16_e32 vcc_lo, 8, v1
	s_and_b32 s14, vcc_lo, exec_lo
	s_cselect_b32 s1, s13, s1
	s_cselect_b32 s0, s12, s0
	s_cselect_b32 s9, s9, s11
	s_cselect_b32 s8, s8, s10
	s_delay_alu instid0(SALU_CYCLE_1) | instskip(NEXT) | instid1(VALU_DEP_1)
	v_cmp_lt_i64_e64 s10, s[0:1], s[8:9]
	s_and_b32 vcc_lo, exec_lo, s10
	s_cbranch_vccnz .LBB46_25
; %bb.26:
	v_mov_b32_e32 v2, s1
	v_dual_mov_b32 v0, 0 :: v_dual_mov_b32 v1, s0
	s_mov_b64 s[0:1], 0
	global_store_b64 v0, v[1:2], s[2:3] offset:64
	.p2align	6
.LBB46_27:                              ; =>This Inner Loop Header: Depth=1
	s_sub_u32 s8, s4, s0
	s_subb_u32 s9, s5, s1
	s_delay_alu instid0(SALU_CYCLE_1) | instskip(NEXT) | instid1(SALU_CYCLE_1)
	s_lshr_b32 s10, s9, 31
	s_add_u32 s8, s8, s10
	s_addc_u32 s9, s9, 0
	s_delay_alu instid0(SALU_CYCLE_1) | instskip(NEXT) | instid1(SALU_CYCLE_1)
	s_ashr_i64 s[8:9], s[8:9], 1
	s_add_u32 s8, s8, s0
	s_addc_u32 s9, s9, s1
	s_delay_alu instid0(SALU_CYCLE_1) | instskip(NEXT) | instid1(SALU_CYCLE_1)
	s_lshl_b64 s[10:11], s[8:9], 1
	s_add_u32 s10, s6, s10
	s_addc_u32 s11, s7, s11
	global_load_u16 v1, v0, s[10:11]
	s_add_u32 s10, s8, 1
	s_addc_u32 s11, s9, 0
	s_waitcnt vmcnt(0)
	v_cmp_gt_u16_e32 vcc_lo, 9, v1
	s_and_b32 s12, vcc_lo, exec_lo
	s_cselect_b32 s1, s11, s1
	s_cselect_b32 s0, s10, s0
	s_cselect_b32 s5, s5, s9
	s_cselect_b32 s4, s4, s8
	s_delay_alu instid0(SALU_CYCLE_1) | instskip(NEXT) | instid1(VALU_DEP_1)
	v_cmp_ge_i64_e64 s8, s[0:1], s[4:5]
	s_and_b32 vcc_lo, exec_lo, s8
	s_cbranch_vccz .LBB46_27
.LBB46_28:
	v_mov_b32_e32 v0, s0
	v_dual_mov_b32 v2, 0 :: v_dual_mov_b32 v1, s1
	global_store_b64 v2, v[0:1], s[2:3] offset:72
	s_nop 0
	s_sendmsg sendmsg(MSG_DEALLOC_VGPRS)
	s_endpgm
	.section	.rodata,"a",@progbits
	.p2align	6, 0x0
	.amdhsa_kernel _Z18lower_bound_kernelItEvmPT_Pl
		.amdhsa_group_segment_fixed_size 0
		.amdhsa_private_segment_fixed_size 0
		.amdhsa_kernarg_size 24
		.amdhsa_user_sgpr_count 15
		.amdhsa_user_sgpr_dispatch_ptr 0
		.amdhsa_user_sgpr_queue_ptr 0
		.amdhsa_user_sgpr_kernarg_segment_ptr 1
		.amdhsa_user_sgpr_dispatch_id 0
		.amdhsa_user_sgpr_private_segment_size 0
		.amdhsa_wavefront_size32 1
		.amdhsa_uses_dynamic_stack 0
		.amdhsa_enable_private_segment 0
		.amdhsa_system_sgpr_workgroup_id_x 1
		.amdhsa_system_sgpr_workgroup_id_y 0
		.amdhsa_system_sgpr_workgroup_id_z 0
		.amdhsa_system_sgpr_workgroup_info 0
		.amdhsa_system_vgpr_workitem_id 0
		.amdhsa_next_free_vgpr 3
		.amdhsa_next_free_sgpr 17
		.amdhsa_reserve_vcc 1
		.amdhsa_float_round_mode_32 0
		.amdhsa_float_round_mode_16_64 0
		.amdhsa_float_denorm_mode_32 3
		.amdhsa_float_denorm_mode_16_64 3
		.amdhsa_dx10_clamp 1
		.amdhsa_ieee_mode 1
		.amdhsa_fp16_overflow 0
		.amdhsa_workgroup_processor_mode 1
		.amdhsa_memory_ordered 1
		.amdhsa_forward_progress 0
		.amdhsa_shared_vgpr_count 0
		.amdhsa_exception_fp_ieee_invalid_op 0
		.amdhsa_exception_fp_denorm_src 0
		.amdhsa_exception_fp_ieee_div_zero 0
		.amdhsa_exception_fp_ieee_overflow 0
		.amdhsa_exception_fp_ieee_underflow 0
		.amdhsa_exception_fp_ieee_inexact 0
		.amdhsa_exception_int_div_zero 0
	.end_amdhsa_kernel
	.section	.text._Z18lower_bound_kernelItEvmPT_Pl,"axG",@progbits,_Z18lower_bound_kernelItEvmPT_Pl,comdat
.Lfunc_end46:
	.size	_Z18lower_bound_kernelItEvmPT_Pl, .Lfunc_end46-_Z18lower_bound_kernelItEvmPT_Pl
                                        ; -- End function
	.section	.AMDGPU.csdata,"",@progbits
; Kernel info:
; codeLenInByte = 1548
; NumSgprs: 19
; NumVgprs: 3
; ScratchSize: 0
; MemoryBound: 0
; FloatMode: 240
; IeeeMode: 1
; LDSByteSize: 0 bytes/workgroup (compile time only)
; SGPRBlocks: 2
; VGPRBlocks: 0
; NumSGPRsForWavesPerEU: 19
; NumVGPRsForWavesPerEU: 3
; Occupancy: 16
; WaveLimiterHint : 0
; COMPUTE_PGM_RSRC2:SCRATCH_EN: 0
; COMPUTE_PGM_RSRC2:USER_SGPR: 15
; COMPUTE_PGM_RSRC2:TRAP_HANDLER: 0
; COMPUTE_PGM_RSRC2:TGID_X_EN: 1
; COMPUTE_PGM_RSRC2:TGID_Y_EN: 0
; COMPUTE_PGM_RSRC2:TGID_Z_EN: 0
; COMPUTE_PGM_RSRC2:TIDIG_COMP_CNT: 0
	.section	.text._ZN7rocprim17ROCPRIM_400000_NS6detail17trampoline_kernelINS0_14default_configENS1_27lower_bound_config_selectorItlEEZNS1_14transform_implILb0ES3_S5_N6thrust23THRUST_200600_302600_NS17counting_iteratorItNS8_11use_defaultESA_SA_EEPlZNS1_13binary_searchIS3_S5_PtSB_SC_NS1_21lower_bound_search_opENS8_6detail16wrapped_functionI11custom_lessbEEEE10hipError_tPvRmT1_T2_T3_mmT4_T5_P12ihipStream_tbEUlRKtE_EESK_SO_SP_mSQ_ST_bEUlT_E_NS1_11comp_targetILNS1_3genE0ELNS1_11target_archE4294967295ELNS1_3gpuE0ELNS1_3repE0EEENS1_30default_config_static_selectorELNS0_4arch9wavefront6targetE0EEEvSN_,"axG",@progbits,_ZN7rocprim17ROCPRIM_400000_NS6detail17trampoline_kernelINS0_14default_configENS1_27lower_bound_config_selectorItlEEZNS1_14transform_implILb0ES3_S5_N6thrust23THRUST_200600_302600_NS17counting_iteratorItNS8_11use_defaultESA_SA_EEPlZNS1_13binary_searchIS3_S5_PtSB_SC_NS1_21lower_bound_search_opENS8_6detail16wrapped_functionI11custom_lessbEEEE10hipError_tPvRmT1_T2_T3_mmT4_T5_P12ihipStream_tbEUlRKtE_EESK_SO_SP_mSQ_ST_bEUlT_E_NS1_11comp_targetILNS1_3genE0ELNS1_11target_archE4294967295ELNS1_3gpuE0ELNS1_3repE0EEENS1_30default_config_static_selectorELNS0_4arch9wavefront6targetE0EEEvSN_,comdat
	.protected	_ZN7rocprim17ROCPRIM_400000_NS6detail17trampoline_kernelINS0_14default_configENS1_27lower_bound_config_selectorItlEEZNS1_14transform_implILb0ES3_S5_N6thrust23THRUST_200600_302600_NS17counting_iteratorItNS8_11use_defaultESA_SA_EEPlZNS1_13binary_searchIS3_S5_PtSB_SC_NS1_21lower_bound_search_opENS8_6detail16wrapped_functionI11custom_lessbEEEE10hipError_tPvRmT1_T2_T3_mmT4_T5_P12ihipStream_tbEUlRKtE_EESK_SO_SP_mSQ_ST_bEUlT_E_NS1_11comp_targetILNS1_3genE0ELNS1_11target_archE4294967295ELNS1_3gpuE0ELNS1_3repE0EEENS1_30default_config_static_selectorELNS0_4arch9wavefront6targetE0EEEvSN_ ; -- Begin function _ZN7rocprim17ROCPRIM_400000_NS6detail17trampoline_kernelINS0_14default_configENS1_27lower_bound_config_selectorItlEEZNS1_14transform_implILb0ES3_S5_N6thrust23THRUST_200600_302600_NS17counting_iteratorItNS8_11use_defaultESA_SA_EEPlZNS1_13binary_searchIS3_S5_PtSB_SC_NS1_21lower_bound_search_opENS8_6detail16wrapped_functionI11custom_lessbEEEE10hipError_tPvRmT1_T2_T3_mmT4_T5_P12ihipStream_tbEUlRKtE_EESK_SO_SP_mSQ_ST_bEUlT_E_NS1_11comp_targetILNS1_3genE0ELNS1_11target_archE4294967295ELNS1_3gpuE0ELNS1_3repE0EEENS1_30default_config_static_selectorELNS0_4arch9wavefront6targetE0EEEvSN_
	.globl	_ZN7rocprim17ROCPRIM_400000_NS6detail17trampoline_kernelINS0_14default_configENS1_27lower_bound_config_selectorItlEEZNS1_14transform_implILb0ES3_S5_N6thrust23THRUST_200600_302600_NS17counting_iteratorItNS8_11use_defaultESA_SA_EEPlZNS1_13binary_searchIS3_S5_PtSB_SC_NS1_21lower_bound_search_opENS8_6detail16wrapped_functionI11custom_lessbEEEE10hipError_tPvRmT1_T2_T3_mmT4_T5_P12ihipStream_tbEUlRKtE_EESK_SO_SP_mSQ_ST_bEUlT_E_NS1_11comp_targetILNS1_3genE0ELNS1_11target_archE4294967295ELNS1_3gpuE0ELNS1_3repE0EEENS1_30default_config_static_selectorELNS0_4arch9wavefront6targetE0EEEvSN_
	.p2align	8
	.type	_ZN7rocprim17ROCPRIM_400000_NS6detail17trampoline_kernelINS0_14default_configENS1_27lower_bound_config_selectorItlEEZNS1_14transform_implILb0ES3_S5_N6thrust23THRUST_200600_302600_NS17counting_iteratorItNS8_11use_defaultESA_SA_EEPlZNS1_13binary_searchIS3_S5_PtSB_SC_NS1_21lower_bound_search_opENS8_6detail16wrapped_functionI11custom_lessbEEEE10hipError_tPvRmT1_T2_T3_mmT4_T5_P12ihipStream_tbEUlRKtE_EESK_SO_SP_mSQ_ST_bEUlT_E_NS1_11comp_targetILNS1_3genE0ELNS1_11target_archE4294967295ELNS1_3gpuE0ELNS1_3repE0EEENS1_30default_config_static_selectorELNS0_4arch9wavefront6targetE0EEEvSN_,@function
_ZN7rocprim17ROCPRIM_400000_NS6detail17trampoline_kernelINS0_14default_configENS1_27lower_bound_config_selectorItlEEZNS1_14transform_implILb0ES3_S5_N6thrust23THRUST_200600_302600_NS17counting_iteratorItNS8_11use_defaultESA_SA_EEPlZNS1_13binary_searchIS3_S5_PtSB_SC_NS1_21lower_bound_search_opENS8_6detail16wrapped_functionI11custom_lessbEEEE10hipError_tPvRmT1_T2_T3_mmT4_T5_P12ihipStream_tbEUlRKtE_EESK_SO_SP_mSQ_ST_bEUlT_E_NS1_11comp_targetILNS1_3genE0ELNS1_11target_archE4294967295ELNS1_3gpuE0ELNS1_3repE0EEENS1_30default_config_static_selectorELNS0_4arch9wavefront6targetE0EEEvSN_: ; @_ZN7rocprim17ROCPRIM_400000_NS6detail17trampoline_kernelINS0_14default_configENS1_27lower_bound_config_selectorItlEEZNS1_14transform_implILb0ES3_S5_N6thrust23THRUST_200600_302600_NS17counting_iteratorItNS8_11use_defaultESA_SA_EEPlZNS1_13binary_searchIS3_S5_PtSB_SC_NS1_21lower_bound_search_opENS8_6detail16wrapped_functionI11custom_lessbEEEE10hipError_tPvRmT1_T2_T3_mmT4_T5_P12ihipStream_tbEUlRKtE_EESK_SO_SP_mSQ_ST_bEUlT_E_NS1_11comp_targetILNS1_3genE0ELNS1_11target_archE4294967295ELNS1_3gpuE0ELNS1_3repE0EEENS1_30default_config_static_selectorELNS0_4arch9wavefront6targetE0EEEvSN_
; %bb.0:
	.section	.rodata,"a",@progbits
	.p2align	6, 0x0
	.amdhsa_kernel _ZN7rocprim17ROCPRIM_400000_NS6detail17trampoline_kernelINS0_14default_configENS1_27lower_bound_config_selectorItlEEZNS1_14transform_implILb0ES3_S5_N6thrust23THRUST_200600_302600_NS17counting_iteratorItNS8_11use_defaultESA_SA_EEPlZNS1_13binary_searchIS3_S5_PtSB_SC_NS1_21lower_bound_search_opENS8_6detail16wrapped_functionI11custom_lessbEEEE10hipError_tPvRmT1_T2_T3_mmT4_T5_P12ihipStream_tbEUlRKtE_EESK_SO_SP_mSQ_ST_bEUlT_E_NS1_11comp_targetILNS1_3genE0ELNS1_11target_archE4294967295ELNS1_3gpuE0ELNS1_3repE0EEENS1_30default_config_static_selectorELNS0_4arch9wavefront6targetE0EEEvSN_
		.amdhsa_group_segment_fixed_size 0
		.amdhsa_private_segment_fixed_size 0
		.amdhsa_kernarg_size 56
		.amdhsa_user_sgpr_count 15
		.amdhsa_user_sgpr_dispatch_ptr 0
		.amdhsa_user_sgpr_queue_ptr 0
		.amdhsa_user_sgpr_kernarg_segment_ptr 1
		.amdhsa_user_sgpr_dispatch_id 0
		.amdhsa_user_sgpr_private_segment_size 0
		.amdhsa_wavefront_size32 1
		.amdhsa_uses_dynamic_stack 0
		.amdhsa_enable_private_segment 0
		.amdhsa_system_sgpr_workgroup_id_x 1
		.amdhsa_system_sgpr_workgroup_id_y 0
		.amdhsa_system_sgpr_workgroup_id_z 0
		.amdhsa_system_sgpr_workgroup_info 0
		.amdhsa_system_vgpr_workitem_id 0
		.amdhsa_next_free_vgpr 1
		.amdhsa_next_free_sgpr 1
		.amdhsa_reserve_vcc 0
		.amdhsa_float_round_mode_32 0
		.amdhsa_float_round_mode_16_64 0
		.amdhsa_float_denorm_mode_32 3
		.amdhsa_float_denorm_mode_16_64 3
		.amdhsa_dx10_clamp 1
		.amdhsa_ieee_mode 1
		.amdhsa_fp16_overflow 0
		.amdhsa_workgroup_processor_mode 1
		.amdhsa_memory_ordered 1
		.amdhsa_forward_progress 0
		.amdhsa_shared_vgpr_count 0
		.amdhsa_exception_fp_ieee_invalid_op 0
		.amdhsa_exception_fp_denorm_src 0
		.amdhsa_exception_fp_ieee_div_zero 0
		.amdhsa_exception_fp_ieee_overflow 0
		.amdhsa_exception_fp_ieee_underflow 0
		.amdhsa_exception_fp_ieee_inexact 0
		.amdhsa_exception_int_div_zero 0
	.end_amdhsa_kernel
	.section	.text._ZN7rocprim17ROCPRIM_400000_NS6detail17trampoline_kernelINS0_14default_configENS1_27lower_bound_config_selectorItlEEZNS1_14transform_implILb0ES3_S5_N6thrust23THRUST_200600_302600_NS17counting_iteratorItNS8_11use_defaultESA_SA_EEPlZNS1_13binary_searchIS3_S5_PtSB_SC_NS1_21lower_bound_search_opENS8_6detail16wrapped_functionI11custom_lessbEEEE10hipError_tPvRmT1_T2_T3_mmT4_T5_P12ihipStream_tbEUlRKtE_EESK_SO_SP_mSQ_ST_bEUlT_E_NS1_11comp_targetILNS1_3genE0ELNS1_11target_archE4294967295ELNS1_3gpuE0ELNS1_3repE0EEENS1_30default_config_static_selectorELNS0_4arch9wavefront6targetE0EEEvSN_,"axG",@progbits,_ZN7rocprim17ROCPRIM_400000_NS6detail17trampoline_kernelINS0_14default_configENS1_27lower_bound_config_selectorItlEEZNS1_14transform_implILb0ES3_S5_N6thrust23THRUST_200600_302600_NS17counting_iteratorItNS8_11use_defaultESA_SA_EEPlZNS1_13binary_searchIS3_S5_PtSB_SC_NS1_21lower_bound_search_opENS8_6detail16wrapped_functionI11custom_lessbEEEE10hipError_tPvRmT1_T2_T3_mmT4_T5_P12ihipStream_tbEUlRKtE_EESK_SO_SP_mSQ_ST_bEUlT_E_NS1_11comp_targetILNS1_3genE0ELNS1_11target_archE4294967295ELNS1_3gpuE0ELNS1_3repE0EEENS1_30default_config_static_selectorELNS0_4arch9wavefront6targetE0EEEvSN_,comdat
.Lfunc_end47:
	.size	_ZN7rocprim17ROCPRIM_400000_NS6detail17trampoline_kernelINS0_14default_configENS1_27lower_bound_config_selectorItlEEZNS1_14transform_implILb0ES3_S5_N6thrust23THRUST_200600_302600_NS17counting_iteratorItNS8_11use_defaultESA_SA_EEPlZNS1_13binary_searchIS3_S5_PtSB_SC_NS1_21lower_bound_search_opENS8_6detail16wrapped_functionI11custom_lessbEEEE10hipError_tPvRmT1_T2_T3_mmT4_T5_P12ihipStream_tbEUlRKtE_EESK_SO_SP_mSQ_ST_bEUlT_E_NS1_11comp_targetILNS1_3genE0ELNS1_11target_archE4294967295ELNS1_3gpuE0ELNS1_3repE0EEENS1_30default_config_static_selectorELNS0_4arch9wavefront6targetE0EEEvSN_, .Lfunc_end47-_ZN7rocprim17ROCPRIM_400000_NS6detail17trampoline_kernelINS0_14default_configENS1_27lower_bound_config_selectorItlEEZNS1_14transform_implILb0ES3_S5_N6thrust23THRUST_200600_302600_NS17counting_iteratorItNS8_11use_defaultESA_SA_EEPlZNS1_13binary_searchIS3_S5_PtSB_SC_NS1_21lower_bound_search_opENS8_6detail16wrapped_functionI11custom_lessbEEEE10hipError_tPvRmT1_T2_T3_mmT4_T5_P12ihipStream_tbEUlRKtE_EESK_SO_SP_mSQ_ST_bEUlT_E_NS1_11comp_targetILNS1_3genE0ELNS1_11target_archE4294967295ELNS1_3gpuE0ELNS1_3repE0EEENS1_30default_config_static_selectorELNS0_4arch9wavefront6targetE0EEEvSN_
                                        ; -- End function
	.section	.AMDGPU.csdata,"",@progbits
; Kernel info:
; codeLenInByte = 0
; NumSgprs: 0
; NumVgprs: 0
; ScratchSize: 0
; MemoryBound: 0
; FloatMode: 240
; IeeeMode: 1
; LDSByteSize: 0 bytes/workgroup (compile time only)
; SGPRBlocks: 0
; VGPRBlocks: 0
; NumSGPRsForWavesPerEU: 1
; NumVGPRsForWavesPerEU: 1
; Occupancy: 16
; WaveLimiterHint : 0
; COMPUTE_PGM_RSRC2:SCRATCH_EN: 0
; COMPUTE_PGM_RSRC2:USER_SGPR: 15
; COMPUTE_PGM_RSRC2:TRAP_HANDLER: 0
; COMPUTE_PGM_RSRC2:TGID_X_EN: 1
; COMPUTE_PGM_RSRC2:TGID_Y_EN: 0
; COMPUTE_PGM_RSRC2:TGID_Z_EN: 0
; COMPUTE_PGM_RSRC2:TIDIG_COMP_CNT: 0
	.section	.text._ZN7rocprim17ROCPRIM_400000_NS6detail17trampoline_kernelINS0_14default_configENS1_27lower_bound_config_selectorItlEEZNS1_14transform_implILb0ES3_S5_N6thrust23THRUST_200600_302600_NS17counting_iteratorItNS8_11use_defaultESA_SA_EEPlZNS1_13binary_searchIS3_S5_PtSB_SC_NS1_21lower_bound_search_opENS8_6detail16wrapped_functionI11custom_lessbEEEE10hipError_tPvRmT1_T2_T3_mmT4_T5_P12ihipStream_tbEUlRKtE_EESK_SO_SP_mSQ_ST_bEUlT_E_NS1_11comp_targetILNS1_3genE5ELNS1_11target_archE942ELNS1_3gpuE9ELNS1_3repE0EEENS1_30default_config_static_selectorELNS0_4arch9wavefront6targetE0EEEvSN_,"axG",@progbits,_ZN7rocprim17ROCPRIM_400000_NS6detail17trampoline_kernelINS0_14default_configENS1_27lower_bound_config_selectorItlEEZNS1_14transform_implILb0ES3_S5_N6thrust23THRUST_200600_302600_NS17counting_iteratorItNS8_11use_defaultESA_SA_EEPlZNS1_13binary_searchIS3_S5_PtSB_SC_NS1_21lower_bound_search_opENS8_6detail16wrapped_functionI11custom_lessbEEEE10hipError_tPvRmT1_T2_T3_mmT4_T5_P12ihipStream_tbEUlRKtE_EESK_SO_SP_mSQ_ST_bEUlT_E_NS1_11comp_targetILNS1_3genE5ELNS1_11target_archE942ELNS1_3gpuE9ELNS1_3repE0EEENS1_30default_config_static_selectorELNS0_4arch9wavefront6targetE0EEEvSN_,comdat
	.protected	_ZN7rocprim17ROCPRIM_400000_NS6detail17trampoline_kernelINS0_14default_configENS1_27lower_bound_config_selectorItlEEZNS1_14transform_implILb0ES3_S5_N6thrust23THRUST_200600_302600_NS17counting_iteratorItNS8_11use_defaultESA_SA_EEPlZNS1_13binary_searchIS3_S5_PtSB_SC_NS1_21lower_bound_search_opENS8_6detail16wrapped_functionI11custom_lessbEEEE10hipError_tPvRmT1_T2_T3_mmT4_T5_P12ihipStream_tbEUlRKtE_EESK_SO_SP_mSQ_ST_bEUlT_E_NS1_11comp_targetILNS1_3genE5ELNS1_11target_archE942ELNS1_3gpuE9ELNS1_3repE0EEENS1_30default_config_static_selectorELNS0_4arch9wavefront6targetE0EEEvSN_ ; -- Begin function _ZN7rocprim17ROCPRIM_400000_NS6detail17trampoline_kernelINS0_14default_configENS1_27lower_bound_config_selectorItlEEZNS1_14transform_implILb0ES3_S5_N6thrust23THRUST_200600_302600_NS17counting_iteratorItNS8_11use_defaultESA_SA_EEPlZNS1_13binary_searchIS3_S5_PtSB_SC_NS1_21lower_bound_search_opENS8_6detail16wrapped_functionI11custom_lessbEEEE10hipError_tPvRmT1_T2_T3_mmT4_T5_P12ihipStream_tbEUlRKtE_EESK_SO_SP_mSQ_ST_bEUlT_E_NS1_11comp_targetILNS1_3genE5ELNS1_11target_archE942ELNS1_3gpuE9ELNS1_3repE0EEENS1_30default_config_static_selectorELNS0_4arch9wavefront6targetE0EEEvSN_
	.globl	_ZN7rocprim17ROCPRIM_400000_NS6detail17trampoline_kernelINS0_14default_configENS1_27lower_bound_config_selectorItlEEZNS1_14transform_implILb0ES3_S5_N6thrust23THRUST_200600_302600_NS17counting_iteratorItNS8_11use_defaultESA_SA_EEPlZNS1_13binary_searchIS3_S5_PtSB_SC_NS1_21lower_bound_search_opENS8_6detail16wrapped_functionI11custom_lessbEEEE10hipError_tPvRmT1_T2_T3_mmT4_T5_P12ihipStream_tbEUlRKtE_EESK_SO_SP_mSQ_ST_bEUlT_E_NS1_11comp_targetILNS1_3genE5ELNS1_11target_archE942ELNS1_3gpuE9ELNS1_3repE0EEENS1_30default_config_static_selectorELNS0_4arch9wavefront6targetE0EEEvSN_
	.p2align	8
	.type	_ZN7rocprim17ROCPRIM_400000_NS6detail17trampoline_kernelINS0_14default_configENS1_27lower_bound_config_selectorItlEEZNS1_14transform_implILb0ES3_S5_N6thrust23THRUST_200600_302600_NS17counting_iteratorItNS8_11use_defaultESA_SA_EEPlZNS1_13binary_searchIS3_S5_PtSB_SC_NS1_21lower_bound_search_opENS8_6detail16wrapped_functionI11custom_lessbEEEE10hipError_tPvRmT1_T2_T3_mmT4_T5_P12ihipStream_tbEUlRKtE_EESK_SO_SP_mSQ_ST_bEUlT_E_NS1_11comp_targetILNS1_3genE5ELNS1_11target_archE942ELNS1_3gpuE9ELNS1_3repE0EEENS1_30default_config_static_selectorELNS0_4arch9wavefront6targetE0EEEvSN_,@function
_ZN7rocprim17ROCPRIM_400000_NS6detail17trampoline_kernelINS0_14default_configENS1_27lower_bound_config_selectorItlEEZNS1_14transform_implILb0ES3_S5_N6thrust23THRUST_200600_302600_NS17counting_iteratorItNS8_11use_defaultESA_SA_EEPlZNS1_13binary_searchIS3_S5_PtSB_SC_NS1_21lower_bound_search_opENS8_6detail16wrapped_functionI11custom_lessbEEEE10hipError_tPvRmT1_T2_T3_mmT4_T5_P12ihipStream_tbEUlRKtE_EESK_SO_SP_mSQ_ST_bEUlT_E_NS1_11comp_targetILNS1_3genE5ELNS1_11target_archE942ELNS1_3gpuE9ELNS1_3repE0EEENS1_30default_config_static_selectorELNS0_4arch9wavefront6targetE0EEEvSN_: ; @_ZN7rocprim17ROCPRIM_400000_NS6detail17trampoline_kernelINS0_14default_configENS1_27lower_bound_config_selectorItlEEZNS1_14transform_implILb0ES3_S5_N6thrust23THRUST_200600_302600_NS17counting_iteratorItNS8_11use_defaultESA_SA_EEPlZNS1_13binary_searchIS3_S5_PtSB_SC_NS1_21lower_bound_search_opENS8_6detail16wrapped_functionI11custom_lessbEEEE10hipError_tPvRmT1_T2_T3_mmT4_T5_P12ihipStream_tbEUlRKtE_EESK_SO_SP_mSQ_ST_bEUlT_E_NS1_11comp_targetILNS1_3genE5ELNS1_11target_archE942ELNS1_3gpuE9ELNS1_3repE0EEENS1_30default_config_static_selectorELNS0_4arch9wavefront6targetE0EEEvSN_
; %bb.0:
	.section	.rodata,"a",@progbits
	.p2align	6, 0x0
	.amdhsa_kernel _ZN7rocprim17ROCPRIM_400000_NS6detail17trampoline_kernelINS0_14default_configENS1_27lower_bound_config_selectorItlEEZNS1_14transform_implILb0ES3_S5_N6thrust23THRUST_200600_302600_NS17counting_iteratorItNS8_11use_defaultESA_SA_EEPlZNS1_13binary_searchIS3_S5_PtSB_SC_NS1_21lower_bound_search_opENS8_6detail16wrapped_functionI11custom_lessbEEEE10hipError_tPvRmT1_T2_T3_mmT4_T5_P12ihipStream_tbEUlRKtE_EESK_SO_SP_mSQ_ST_bEUlT_E_NS1_11comp_targetILNS1_3genE5ELNS1_11target_archE942ELNS1_3gpuE9ELNS1_3repE0EEENS1_30default_config_static_selectorELNS0_4arch9wavefront6targetE0EEEvSN_
		.amdhsa_group_segment_fixed_size 0
		.amdhsa_private_segment_fixed_size 0
		.amdhsa_kernarg_size 56
		.amdhsa_user_sgpr_count 15
		.amdhsa_user_sgpr_dispatch_ptr 0
		.amdhsa_user_sgpr_queue_ptr 0
		.amdhsa_user_sgpr_kernarg_segment_ptr 1
		.amdhsa_user_sgpr_dispatch_id 0
		.amdhsa_user_sgpr_private_segment_size 0
		.amdhsa_wavefront_size32 1
		.amdhsa_uses_dynamic_stack 0
		.amdhsa_enable_private_segment 0
		.amdhsa_system_sgpr_workgroup_id_x 1
		.amdhsa_system_sgpr_workgroup_id_y 0
		.amdhsa_system_sgpr_workgroup_id_z 0
		.amdhsa_system_sgpr_workgroup_info 0
		.amdhsa_system_vgpr_workitem_id 0
		.amdhsa_next_free_vgpr 1
		.amdhsa_next_free_sgpr 1
		.amdhsa_reserve_vcc 0
		.amdhsa_float_round_mode_32 0
		.amdhsa_float_round_mode_16_64 0
		.amdhsa_float_denorm_mode_32 3
		.amdhsa_float_denorm_mode_16_64 3
		.amdhsa_dx10_clamp 1
		.amdhsa_ieee_mode 1
		.amdhsa_fp16_overflow 0
		.amdhsa_workgroup_processor_mode 1
		.amdhsa_memory_ordered 1
		.amdhsa_forward_progress 0
		.amdhsa_shared_vgpr_count 0
		.amdhsa_exception_fp_ieee_invalid_op 0
		.amdhsa_exception_fp_denorm_src 0
		.amdhsa_exception_fp_ieee_div_zero 0
		.amdhsa_exception_fp_ieee_overflow 0
		.amdhsa_exception_fp_ieee_underflow 0
		.amdhsa_exception_fp_ieee_inexact 0
		.amdhsa_exception_int_div_zero 0
	.end_amdhsa_kernel
	.section	.text._ZN7rocprim17ROCPRIM_400000_NS6detail17trampoline_kernelINS0_14default_configENS1_27lower_bound_config_selectorItlEEZNS1_14transform_implILb0ES3_S5_N6thrust23THRUST_200600_302600_NS17counting_iteratorItNS8_11use_defaultESA_SA_EEPlZNS1_13binary_searchIS3_S5_PtSB_SC_NS1_21lower_bound_search_opENS8_6detail16wrapped_functionI11custom_lessbEEEE10hipError_tPvRmT1_T2_T3_mmT4_T5_P12ihipStream_tbEUlRKtE_EESK_SO_SP_mSQ_ST_bEUlT_E_NS1_11comp_targetILNS1_3genE5ELNS1_11target_archE942ELNS1_3gpuE9ELNS1_3repE0EEENS1_30default_config_static_selectorELNS0_4arch9wavefront6targetE0EEEvSN_,"axG",@progbits,_ZN7rocprim17ROCPRIM_400000_NS6detail17trampoline_kernelINS0_14default_configENS1_27lower_bound_config_selectorItlEEZNS1_14transform_implILb0ES3_S5_N6thrust23THRUST_200600_302600_NS17counting_iteratorItNS8_11use_defaultESA_SA_EEPlZNS1_13binary_searchIS3_S5_PtSB_SC_NS1_21lower_bound_search_opENS8_6detail16wrapped_functionI11custom_lessbEEEE10hipError_tPvRmT1_T2_T3_mmT4_T5_P12ihipStream_tbEUlRKtE_EESK_SO_SP_mSQ_ST_bEUlT_E_NS1_11comp_targetILNS1_3genE5ELNS1_11target_archE942ELNS1_3gpuE9ELNS1_3repE0EEENS1_30default_config_static_selectorELNS0_4arch9wavefront6targetE0EEEvSN_,comdat
.Lfunc_end48:
	.size	_ZN7rocprim17ROCPRIM_400000_NS6detail17trampoline_kernelINS0_14default_configENS1_27lower_bound_config_selectorItlEEZNS1_14transform_implILb0ES3_S5_N6thrust23THRUST_200600_302600_NS17counting_iteratorItNS8_11use_defaultESA_SA_EEPlZNS1_13binary_searchIS3_S5_PtSB_SC_NS1_21lower_bound_search_opENS8_6detail16wrapped_functionI11custom_lessbEEEE10hipError_tPvRmT1_T2_T3_mmT4_T5_P12ihipStream_tbEUlRKtE_EESK_SO_SP_mSQ_ST_bEUlT_E_NS1_11comp_targetILNS1_3genE5ELNS1_11target_archE942ELNS1_3gpuE9ELNS1_3repE0EEENS1_30default_config_static_selectorELNS0_4arch9wavefront6targetE0EEEvSN_, .Lfunc_end48-_ZN7rocprim17ROCPRIM_400000_NS6detail17trampoline_kernelINS0_14default_configENS1_27lower_bound_config_selectorItlEEZNS1_14transform_implILb0ES3_S5_N6thrust23THRUST_200600_302600_NS17counting_iteratorItNS8_11use_defaultESA_SA_EEPlZNS1_13binary_searchIS3_S5_PtSB_SC_NS1_21lower_bound_search_opENS8_6detail16wrapped_functionI11custom_lessbEEEE10hipError_tPvRmT1_T2_T3_mmT4_T5_P12ihipStream_tbEUlRKtE_EESK_SO_SP_mSQ_ST_bEUlT_E_NS1_11comp_targetILNS1_3genE5ELNS1_11target_archE942ELNS1_3gpuE9ELNS1_3repE0EEENS1_30default_config_static_selectorELNS0_4arch9wavefront6targetE0EEEvSN_
                                        ; -- End function
	.section	.AMDGPU.csdata,"",@progbits
; Kernel info:
; codeLenInByte = 0
; NumSgprs: 0
; NumVgprs: 0
; ScratchSize: 0
; MemoryBound: 0
; FloatMode: 240
; IeeeMode: 1
; LDSByteSize: 0 bytes/workgroup (compile time only)
; SGPRBlocks: 0
; VGPRBlocks: 0
; NumSGPRsForWavesPerEU: 1
; NumVGPRsForWavesPerEU: 1
; Occupancy: 16
; WaveLimiterHint : 0
; COMPUTE_PGM_RSRC2:SCRATCH_EN: 0
; COMPUTE_PGM_RSRC2:USER_SGPR: 15
; COMPUTE_PGM_RSRC2:TRAP_HANDLER: 0
; COMPUTE_PGM_RSRC2:TGID_X_EN: 1
; COMPUTE_PGM_RSRC2:TGID_Y_EN: 0
; COMPUTE_PGM_RSRC2:TGID_Z_EN: 0
; COMPUTE_PGM_RSRC2:TIDIG_COMP_CNT: 0
	.section	.text._ZN7rocprim17ROCPRIM_400000_NS6detail17trampoline_kernelINS0_14default_configENS1_27lower_bound_config_selectorItlEEZNS1_14transform_implILb0ES3_S5_N6thrust23THRUST_200600_302600_NS17counting_iteratorItNS8_11use_defaultESA_SA_EEPlZNS1_13binary_searchIS3_S5_PtSB_SC_NS1_21lower_bound_search_opENS8_6detail16wrapped_functionI11custom_lessbEEEE10hipError_tPvRmT1_T2_T3_mmT4_T5_P12ihipStream_tbEUlRKtE_EESK_SO_SP_mSQ_ST_bEUlT_E_NS1_11comp_targetILNS1_3genE4ELNS1_11target_archE910ELNS1_3gpuE8ELNS1_3repE0EEENS1_30default_config_static_selectorELNS0_4arch9wavefront6targetE0EEEvSN_,"axG",@progbits,_ZN7rocprim17ROCPRIM_400000_NS6detail17trampoline_kernelINS0_14default_configENS1_27lower_bound_config_selectorItlEEZNS1_14transform_implILb0ES3_S5_N6thrust23THRUST_200600_302600_NS17counting_iteratorItNS8_11use_defaultESA_SA_EEPlZNS1_13binary_searchIS3_S5_PtSB_SC_NS1_21lower_bound_search_opENS8_6detail16wrapped_functionI11custom_lessbEEEE10hipError_tPvRmT1_T2_T3_mmT4_T5_P12ihipStream_tbEUlRKtE_EESK_SO_SP_mSQ_ST_bEUlT_E_NS1_11comp_targetILNS1_3genE4ELNS1_11target_archE910ELNS1_3gpuE8ELNS1_3repE0EEENS1_30default_config_static_selectorELNS0_4arch9wavefront6targetE0EEEvSN_,comdat
	.protected	_ZN7rocprim17ROCPRIM_400000_NS6detail17trampoline_kernelINS0_14default_configENS1_27lower_bound_config_selectorItlEEZNS1_14transform_implILb0ES3_S5_N6thrust23THRUST_200600_302600_NS17counting_iteratorItNS8_11use_defaultESA_SA_EEPlZNS1_13binary_searchIS3_S5_PtSB_SC_NS1_21lower_bound_search_opENS8_6detail16wrapped_functionI11custom_lessbEEEE10hipError_tPvRmT1_T2_T3_mmT4_T5_P12ihipStream_tbEUlRKtE_EESK_SO_SP_mSQ_ST_bEUlT_E_NS1_11comp_targetILNS1_3genE4ELNS1_11target_archE910ELNS1_3gpuE8ELNS1_3repE0EEENS1_30default_config_static_selectorELNS0_4arch9wavefront6targetE0EEEvSN_ ; -- Begin function _ZN7rocprim17ROCPRIM_400000_NS6detail17trampoline_kernelINS0_14default_configENS1_27lower_bound_config_selectorItlEEZNS1_14transform_implILb0ES3_S5_N6thrust23THRUST_200600_302600_NS17counting_iteratorItNS8_11use_defaultESA_SA_EEPlZNS1_13binary_searchIS3_S5_PtSB_SC_NS1_21lower_bound_search_opENS8_6detail16wrapped_functionI11custom_lessbEEEE10hipError_tPvRmT1_T2_T3_mmT4_T5_P12ihipStream_tbEUlRKtE_EESK_SO_SP_mSQ_ST_bEUlT_E_NS1_11comp_targetILNS1_3genE4ELNS1_11target_archE910ELNS1_3gpuE8ELNS1_3repE0EEENS1_30default_config_static_selectorELNS0_4arch9wavefront6targetE0EEEvSN_
	.globl	_ZN7rocprim17ROCPRIM_400000_NS6detail17trampoline_kernelINS0_14default_configENS1_27lower_bound_config_selectorItlEEZNS1_14transform_implILb0ES3_S5_N6thrust23THRUST_200600_302600_NS17counting_iteratorItNS8_11use_defaultESA_SA_EEPlZNS1_13binary_searchIS3_S5_PtSB_SC_NS1_21lower_bound_search_opENS8_6detail16wrapped_functionI11custom_lessbEEEE10hipError_tPvRmT1_T2_T3_mmT4_T5_P12ihipStream_tbEUlRKtE_EESK_SO_SP_mSQ_ST_bEUlT_E_NS1_11comp_targetILNS1_3genE4ELNS1_11target_archE910ELNS1_3gpuE8ELNS1_3repE0EEENS1_30default_config_static_selectorELNS0_4arch9wavefront6targetE0EEEvSN_
	.p2align	8
	.type	_ZN7rocprim17ROCPRIM_400000_NS6detail17trampoline_kernelINS0_14default_configENS1_27lower_bound_config_selectorItlEEZNS1_14transform_implILb0ES3_S5_N6thrust23THRUST_200600_302600_NS17counting_iteratorItNS8_11use_defaultESA_SA_EEPlZNS1_13binary_searchIS3_S5_PtSB_SC_NS1_21lower_bound_search_opENS8_6detail16wrapped_functionI11custom_lessbEEEE10hipError_tPvRmT1_T2_T3_mmT4_T5_P12ihipStream_tbEUlRKtE_EESK_SO_SP_mSQ_ST_bEUlT_E_NS1_11comp_targetILNS1_3genE4ELNS1_11target_archE910ELNS1_3gpuE8ELNS1_3repE0EEENS1_30default_config_static_selectorELNS0_4arch9wavefront6targetE0EEEvSN_,@function
_ZN7rocprim17ROCPRIM_400000_NS6detail17trampoline_kernelINS0_14default_configENS1_27lower_bound_config_selectorItlEEZNS1_14transform_implILb0ES3_S5_N6thrust23THRUST_200600_302600_NS17counting_iteratorItNS8_11use_defaultESA_SA_EEPlZNS1_13binary_searchIS3_S5_PtSB_SC_NS1_21lower_bound_search_opENS8_6detail16wrapped_functionI11custom_lessbEEEE10hipError_tPvRmT1_T2_T3_mmT4_T5_P12ihipStream_tbEUlRKtE_EESK_SO_SP_mSQ_ST_bEUlT_E_NS1_11comp_targetILNS1_3genE4ELNS1_11target_archE910ELNS1_3gpuE8ELNS1_3repE0EEENS1_30default_config_static_selectorELNS0_4arch9wavefront6targetE0EEEvSN_: ; @_ZN7rocprim17ROCPRIM_400000_NS6detail17trampoline_kernelINS0_14default_configENS1_27lower_bound_config_selectorItlEEZNS1_14transform_implILb0ES3_S5_N6thrust23THRUST_200600_302600_NS17counting_iteratorItNS8_11use_defaultESA_SA_EEPlZNS1_13binary_searchIS3_S5_PtSB_SC_NS1_21lower_bound_search_opENS8_6detail16wrapped_functionI11custom_lessbEEEE10hipError_tPvRmT1_T2_T3_mmT4_T5_P12ihipStream_tbEUlRKtE_EESK_SO_SP_mSQ_ST_bEUlT_E_NS1_11comp_targetILNS1_3genE4ELNS1_11target_archE910ELNS1_3gpuE8ELNS1_3repE0EEENS1_30default_config_static_selectorELNS0_4arch9wavefront6targetE0EEEvSN_
; %bb.0:
	.section	.rodata,"a",@progbits
	.p2align	6, 0x0
	.amdhsa_kernel _ZN7rocprim17ROCPRIM_400000_NS6detail17trampoline_kernelINS0_14default_configENS1_27lower_bound_config_selectorItlEEZNS1_14transform_implILb0ES3_S5_N6thrust23THRUST_200600_302600_NS17counting_iteratorItNS8_11use_defaultESA_SA_EEPlZNS1_13binary_searchIS3_S5_PtSB_SC_NS1_21lower_bound_search_opENS8_6detail16wrapped_functionI11custom_lessbEEEE10hipError_tPvRmT1_T2_T3_mmT4_T5_P12ihipStream_tbEUlRKtE_EESK_SO_SP_mSQ_ST_bEUlT_E_NS1_11comp_targetILNS1_3genE4ELNS1_11target_archE910ELNS1_3gpuE8ELNS1_3repE0EEENS1_30default_config_static_selectorELNS0_4arch9wavefront6targetE0EEEvSN_
		.amdhsa_group_segment_fixed_size 0
		.amdhsa_private_segment_fixed_size 0
		.amdhsa_kernarg_size 56
		.amdhsa_user_sgpr_count 15
		.amdhsa_user_sgpr_dispatch_ptr 0
		.amdhsa_user_sgpr_queue_ptr 0
		.amdhsa_user_sgpr_kernarg_segment_ptr 1
		.amdhsa_user_sgpr_dispatch_id 0
		.amdhsa_user_sgpr_private_segment_size 0
		.amdhsa_wavefront_size32 1
		.amdhsa_uses_dynamic_stack 0
		.amdhsa_enable_private_segment 0
		.amdhsa_system_sgpr_workgroup_id_x 1
		.amdhsa_system_sgpr_workgroup_id_y 0
		.amdhsa_system_sgpr_workgroup_id_z 0
		.amdhsa_system_sgpr_workgroup_info 0
		.amdhsa_system_vgpr_workitem_id 0
		.amdhsa_next_free_vgpr 1
		.amdhsa_next_free_sgpr 1
		.amdhsa_reserve_vcc 0
		.amdhsa_float_round_mode_32 0
		.amdhsa_float_round_mode_16_64 0
		.amdhsa_float_denorm_mode_32 3
		.amdhsa_float_denorm_mode_16_64 3
		.amdhsa_dx10_clamp 1
		.amdhsa_ieee_mode 1
		.amdhsa_fp16_overflow 0
		.amdhsa_workgroup_processor_mode 1
		.amdhsa_memory_ordered 1
		.amdhsa_forward_progress 0
		.amdhsa_shared_vgpr_count 0
		.amdhsa_exception_fp_ieee_invalid_op 0
		.amdhsa_exception_fp_denorm_src 0
		.amdhsa_exception_fp_ieee_div_zero 0
		.amdhsa_exception_fp_ieee_overflow 0
		.amdhsa_exception_fp_ieee_underflow 0
		.amdhsa_exception_fp_ieee_inexact 0
		.amdhsa_exception_int_div_zero 0
	.end_amdhsa_kernel
	.section	.text._ZN7rocprim17ROCPRIM_400000_NS6detail17trampoline_kernelINS0_14default_configENS1_27lower_bound_config_selectorItlEEZNS1_14transform_implILb0ES3_S5_N6thrust23THRUST_200600_302600_NS17counting_iteratorItNS8_11use_defaultESA_SA_EEPlZNS1_13binary_searchIS3_S5_PtSB_SC_NS1_21lower_bound_search_opENS8_6detail16wrapped_functionI11custom_lessbEEEE10hipError_tPvRmT1_T2_T3_mmT4_T5_P12ihipStream_tbEUlRKtE_EESK_SO_SP_mSQ_ST_bEUlT_E_NS1_11comp_targetILNS1_3genE4ELNS1_11target_archE910ELNS1_3gpuE8ELNS1_3repE0EEENS1_30default_config_static_selectorELNS0_4arch9wavefront6targetE0EEEvSN_,"axG",@progbits,_ZN7rocprim17ROCPRIM_400000_NS6detail17trampoline_kernelINS0_14default_configENS1_27lower_bound_config_selectorItlEEZNS1_14transform_implILb0ES3_S5_N6thrust23THRUST_200600_302600_NS17counting_iteratorItNS8_11use_defaultESA_SA_EEPlZNS1_13binary_searchIS3_S5_PtSB_SC_NS1_21lower_bound_search_opENS8_6detail16wrapped_functionI11custom_lessbEEEE10hipError_tPvRmT1_T2_T3_mmT4_T5_P12ihipStream_tbEUlRKtE_EESK_SO_SP_mSQ_ST_bEUlT_E_NS1_11comp_targetILNS1_3genE4ELNS1_11target_archE910ELNS1_3gpuE8ELNS1_3repE0EEENS1_30default_config_static_selectorELNS0_4arch9wavefront6targetE0EEEvSN_,comdat
.Lfunc_end49:
	.size	_ZN7rocprim17ROCPRIM_400000_NS6detail17trampoline_kernelINS0_14default_configENS1_27lower_bound_config_selectorItlEEZNS1_14transform_implILb0ES3_S5_N6thrust23THRUST_200600_302600_NS17counting_iteratorItNS8_11use_defaultESA_SA_EEPlZNS1_13binary_searchIS3_S5_PtSB_SC_NS1_21lower_bound_search_opENS8_6detail16wrapped_functionI11custom_lessbEEEE10hipError_tPvRmT1_T2_T3_mmT4_T5_P12ihipStream_tbEUlRKtE_EESK_SO_SP_mSQ_ST_bEUlT_E_NS1_11comp_targetILNS1_3genE4ELNS1_11target_archE910ELNS1_3gpuE8ELNS1_3repE0EEENS1_30default_config_static_selectorELNS0_4arch9wavefront6targetE0EEEvSN_, .Lfunc_end49-_ZN7rocprim17ROCPRIM_400000_NS6detail17trampoline_kernelINS0_14default_configENS1_27lower_bound_config_selectorItlEEZNS1_14transform_implILb0ES3_S5_N6thrust23THRUST_200600_302600_NS17counting_iteratorItNS8_11use_defaultESA_SA_EEPlZNS1_13binary_searchIS3_S5_PtSB_SC_NS1_21lower_bound_search_opENS8_6detail16wrapped_functionI11custom_lessbEEEE10hipError_tPvRmT1_T2_T3_mmT4_T5_P12ihipStream_tbEUlRKtE_EESK_SO_SP_mSQ_ST_bEUlT_E_NS1_11comp_targetILNS1_3genE4ELNS1_11target_archE910ELNS1_3gpuE8ELNS1_3repE0EEENS1_30default_config_static_selectorELNS0_4arch9wavefront6targetE0EEEvSN_
                                        ; -- End function
	.section	.AMDGPU.csdata,"",@progbits
; Kernel info:
; codeLenInByte = 0
; NumSgprs: 0
; NumVgprs: 0
; ScratchSize: 0
; MemoryBound: 0
; FloatMode: 240
; IeeeMode: 1
; LDSByteSize: 0 bytes/workgroup (compile time only)
; SGPRBlocks: 0
; VGPRBlocks: 0
; NumSGPRsForWavesPerEU: 1
; NumVGPRsForWavesPerEU: 1
; Occupancy: 16
; WaveLimiterHint : 0
; COMPUTE_PGM_RSRC2:SCRATCH_EN: 0
; COMPUTE_PGM_RSRC2:USER_SGPR: 15
; COMPUTE_PGM_RSRC2:TRAP_HANDLER: 0
; COMPUTE_PGM_RSRC2:TGID_X_EN: 1
; COMPUTE_PGM_RSRC2:TGID_Y_EN: 0
; COMPUTE_PGM_RSRC2:TGID_Z_EN: 0
; COMPUTE_PGM_RSRC2:TIDIG_COMP_CNT: 0
	.section	.text._ZN7rocprim17ROCPRIM_400000_NS6detail17trampoline_kernelINS0_14default_configENS1_27lower_bound_config_selectorItlEEZNS1_14transform_implILb0ES3_S5_N6thrust23THRUST_200600_302600_NS17counting_iteratorItNS8_11use_defaultESA_SA_EEPlZNS1_13binary_searchIS3_S5_PtSB_SC_NS1_21lower_bound_search_opENS8_6detail16wrapped_functionI11custom_lessbEEEE10hipError_tPvRmT1_T2_T3_mmT4_T5_P12ihipStream_tbEUlRKtE_EESK_SO_SP_mSQ_ST_bEUlT_E_NS1_11comp_targetILNS1_3genE3ELNS1_11target_archE908ELNS1_3gpuE7ELNS1_3repE0EEENS1_30default_config_static_selectorELNS0_4arch9wavefront6targetE0EEEvSN_,"axG",@progbits,_ZN7rocprim17ROCPRIM_400000_NS6detail17trampoline_kernelINS0_14default_configENS1_27lower_bound_config_selectorItlEEZNS1_14transform_implILb0ES3_S5_N6thrust23THRUST_200600_302600_NS17counting_iteratorItNS8_11use_defaultESA_SA_EEPlZNS1_13binary_searchIS3_S5_PtSB_SC_NS1_21lower_bound_search_opENS8_6detail16wrapped_functionI11custom_lessbEEEE10hipError_tPvRmT1_T2_T3_mmT4_T5_P12ihipStream_tbEUlRKtE_EESK_SO_SP_mSQ_ST_bEUlT_E_NS1_11comp_targetILNS1_3genE3ELNS1_11target_archE908ELNS1_3gpuE7ELNS1_3repE0EEENS1_30default_config_static_selectorELNS0_4arch9wavefront6targetE0EEEvSN_,comdat
	.protected	_ZN7rocprim17ROCPRIM_400000_NS6detail17trampoline_kernelINS0_14default_configENS1_27lower_bound_config_selectorItlEEZNS1_14transform_implILb0ES3_S5_N6thrust23THRUST_200600_302600_NS17counting_iteratorItNS8_11use_defaultESA_SA_EEPlZNS1_13binary_searchIS3_S5_PtSB_SC_NS1_21lower_bound_search_opENS8_6detail16wrapped_functionI11custom_lessbEEEE10hipError_tPvRmT1_T2_T3_mmT4_T5_P12ihipStream_tbEUlRKtE_EESK_SO_SP_mSQ_ST_bEUlT_E_NS1_11comp_targetILNS1_3genE3ELNS1_11target_archE908ELNS1_3gpuE7ELNS1_3repE0EEENS1_30default_config_static_selectorELNS0_4arch9wavefront6targetE0EEEvSN_ ; -- Begin function _ZN7rocprim17ROCPRIM_400000_NS6detail17trampoline_kernelINS0_14default_configENS1_27lower_bound_config_selectorItlEEZNS1_14transform_implILb0ES3_S5_N6thrust23THRUST_200600_302600_NS17counting_iteratorItNS8_11use_defaultESA_SA_EEPlZNS1_13binary_searchIS3_S5_PtSB_SC_NS1_21lower_bound_search_opENS8_6detail16wrapped_functionI11custom_lessbEEEE10hipError_tPvRmT1_T2_T3_mmT4_T5_P12ihipStream_tbEUlRKtE_EESK_SO_SP_mSQ_ST_bEUlT_E_NS1_11comp_targetILNS1_3genE3ELNS1_11target_archE908ELNS1_3gpuE7ELNS1_3repE0EEENS1_30default_config_static_selectorELNS0_4arch9wavefront6targetE0EEEvSN_
	.globl	_ZN7rocprim17ROCPRIM_400000_NS6detail17trampoline_kernelINS0_14default_configENS1_27lower_bound_config_selectorItlEEZNS1_14transform_implILb0ES3_S5_N6thrust23THRUST_200600_302600_NS17counting_iteratorItNS8_11use_defaultESA_SA_EEPlZNS1_13binary_searchIS3_S5_PtSB_SC_NS1_21lower_bound_search_opENS8_6detail16wrapped_functionI11custom_lessbEEEE10hipError_tPvRmT1_T2_T3_mmT4_T5_P12ihipStream_tbEUlRKtE_EESK_SO_SP_mSQ_ST_bEUlT_E_NS1_11comp_targetILNS1_3genE3ELNS1_11target_archE908ELNS1_3gpuE7ELNS1_3repE0EEENS1_30default_config_static_selectorELNS0_4arch9wavefront6targetE0EEEvSN_
	.p2align	8
	.type	_ZN7rocprim17ROCPRIM_400000_NS6detail17trampoline_kernelINS0_14default_configENS1_27lower_bound_config_selectorItlEEZNS1_14transform_implILb0ES3_S5_N6thrust23THRUST_200600_302600_NS17counting_iteratorItNS8_11use_defaultESA_SA_EEPlZNS1_13binary_searchIS3_S5_PtSB_SC_NS1_21lower_bound_search_opENS8_6detail16wrapped_functionI11custom_lessbEEEE10hipError_tPvRmT1_T2_T3_mmT4_T5_P12ihipStream_tbEUlRKtE_EESK_SO_SP_mSQ_ST_bEUlT_E_NS1_11comp_targetILNS1_3genE3ELNS1_11target_archE908ELNS1_3gpuE7ELNS1_3repE0EEENS1_30default_config_static_selectorELNS0_4arch9wavefront6targetE0EEEvSN_,@function
_ZN7rocprim17ROCPRIM_400000_NS6detail17trampoline_kernelINS0_14default_configENS1_27lower_bound_config_selectorItlEEZNS1_14transform_implILb0ES3_S5_N6thrust23THRUST_200600_302600_NS17counting_iteratorItNS8_11use_defaultESA_SA_EEPlZNS1_13binary_searchIS3_S5_PtSB_SC_NS1_21lower_bound_search_opENS8_6detail16wrapped_functionI11custom_lessbEEEE10hipError_tPvRmT1_T2_T3_mmT4_T5_P12ihipStream_tbEUlRKtE_EESK_SO_SP_mSQ_ST_bEUlT_E_NS1_11comp_targetILNS1_3genE3ELNS1_11target_archE908ELNS1_3gpuE7ELNS1_3repE0EEENS1_30default_config_static_selectorELNS0_4arch9wavefront6targetE0EEEvSN_: ; @_ZN7rocprim17ROCPRIM_400000_NS6detail17trampoline_kernelINS0_14default_configENS1_27lower_bound_config_selectorItlEEZNS1_14transform_implILb0ES3_S5_N6thrust23THRUST_200600_302600_NS17counting_iteratorItNS8_11use_defaultESA_SA_EEPlZNS1_13binary_searchIS3_S5_PtSB_SC_NS1_21lower_bound_search_opENS8_6detail16wrapped_functionI11custom_lessbEEEE10hipError_tPvRmT1_T2_T3_mmT4_T5_P12ihipStream_tbEUlRKtE_EESK_SO_SP_mSQ_ST_bEUlT_E_NS1_11comp_targetILNS1_3genE3ELNS1_11target_archE908ELNS1_3gpuE7ELNS1_3repE0EEENS1_30default_config_static_selectorELNS0_4arch9wavefront6targetE0EEEvSN_
; %bb.0:
	.section	.rodata,"a",@progbits
	.p2align	6, 0x0
	.amdhsa_kernel _ZN7rocprim17ROCPRIM_400000_NS6detail17trampoline_kernelINS0_14default_configENS1_27lower_bound_config_selectorItlEEZNS1_14transform_implILb0ES3_S5_N6thrust23THRUST_200600_302600_NS17counting_iteratorItNS8_11use_defaultESA_SA_EEPlZNS1_13binary_searchIS3_S5_PtSB_SC_NS1_21lower_bound_search_opENS8_6detail16wrapped_functionI11custom_lessbEEEE10hipError_tPvRmT1_T2_T3_mmT4_T5_P12ihipStream_tbEUlRKtE_EESK_SO_SP_mSQ_ST_bEUlT_E_NS1_11comp_targetILNS1_3genE3ELNS1_11target_archE908ELNS1_3gpuE7ELNS1_3repE0EEENS1_30default_config_static_selectorELNS0_4arch9wavefront6targetE0EEEvSN_
		.amdhsa_group_segment_fixed_size 0
		.amdhsa_private_segment_fixed_size 0
		.amdhsa_kernarg_size 56
		.amdhsa_user_sgpr_count 15
		.amdhsa_user_sgpr_dispatch_ptr 0
		.amdhsa_user_sgpr_queue_ptr 0
		.amdhsa_user_sgpr_kernarg_segment_ptr 1
		.amdhsa_user_sgpr_dispatch_id 0
		.amdhsa_user_sgpr_private_segment_size 0
		.amdhsa_wavefront_size32 1
		.amdhsa_uses_dynamic_stack 0
		.amdhsa_enable_private_segment 0
		.amdhsa_system_sgpr_workgroup_id_x 1
		.amdhsa_system_sgpr_workgroup_id_y 0
		.amdhsa_system_sgpr_workgroup_id_z 0
		.amdhsa_system_sgpr_workgroup_info 0
		.amdhsa_system_vgpr_workitem_id 0
		.amdhsa_next_free_vgpr 1
		.amdhsa_next_free_sgpr 1
		.amdhsa_reserve_vcc 0
		.amdhsa_float_round_mode_32 0
		.amdhsa_float_round_mode_16_64 0
		.amdhsa_float_denorm_mode_32 3
		.amdhsa_float_denorm_mode_16_64 3
		.amdhsa_dx10_clamp 1
		.amdhsa_ieee_mode 1
		.amdhsa_fp16_overflow 0
		.amdhsa_workgroup_processor_mode 1
		.amdhsa_memory_ordered 1
		.amdhsa_forward_progress 0
		.amdhsa_shared_vgpr_count 0
		.amdhsa_exception_fp_ieee_invalid_op 0
		.amdhsa_exception_fp_denorm_src 0
		.amdhsa_exception_fp_ieee_div_zero 0
		.amdhsa_exception_fp_ieee_overflow 0
		.amdhsa_exception_fp_ieee_underflow 0
		.amdhsa_exception_fp_ieee_inexact 0
		.amdhsa_exception_int_div_zero 0
	.end_amdhsa_kernel
	.section	.text._ZN7rocprim17ROCPRIM_400000_NS6detail17trampoline_kernelINS0_14default_configENS1_27lower_bound_config_selectorItlEEZNS1_14transform_implILb0ES3_S5_N6thrust23THRUST_200600_302600_NS17counting_iteratorItNS8_11use_defaultESA_SA_EEPlZNS1_13binary_searchIS3_S5_PtSB_SC_NS1_21lower_bound_search_opENS8_6detail16wrapped_functionI11custom_lessbEEEE10hipError_tPvRmT1_T2_T3_mmT4_T5_P12ihipStream_tbEUlRKtE_EESK_SO_SP_mSQ_ST_bEUlT_E_NS1_11comp_targetILNS1_3genE3ELNS1_11target_archE908ELNS1_3gpuE7ELNS1_3repE0EEENS1_30default_config_static_selectorELNS0_4arch9wavefront6targetE0EEEvSN_,"axG",@progbits,_ZN7rocprim17ROCPRIM_400000_NS6detail17trampoline_kernelINS0_14default_configENS1_27lower_bound_config_selectorItlEEZNS1_14transform_implILb0ES3_S5_N6thrust23THRUST_200600_302600_NS17counting_iteratorItNS8_11use_defaultESA_SA_EEPlZNS1_13binary_searchIS3_S5_PtSB_SC_NS1_21lower_bound_search_opENS8_6detail16wrapped_functionI11custom_lessbEEEE10hipError_tPvRmT1_T2_T3_mmT4_T5_P12ihipStream_tbEUlRKtE_EESK_SO_SP_mSQ_ST_bEUlT_E_NS1_11comp_targetILNS1_3genE3ELNS1_11target_archE908ELNS1_3gpuE7ELNS1_3repE0EEENS1_30default_config_static_selectorELNS0_4arch9wavefront6targetE0EEEvSN_,comdat
.Lfunc_end50:
	.size	_ZN7rocprim17ROCPRIM_400000_NS6detail17trampoline_kernelINS0_14default_configENS1_27lower_bound_config_selectorItlEEZNS1_14transform_implILb0ES3_S5_N6thrust23THRUST_200600_302600_NS17counting_iteratorItNS8_11use_defaultESA_SA_EEPlZNS1_13binary_searchIS3_S5_PtSB_SC_NS1_21lower_bound_search_opENS8_6detail16wrapped_functionI11custom_lessbEEEE10hipError_tPvRmT1_T2_T3_mmT4_T5_P12ihipStream_tbEUlRKtE_EESK_SO_SP_mSQ_ST_bEUlT_E_NS1_11comp_targetILNS1_3genE3ELNS1_11target_archE908ELNS1_3gpuE7ELNS1_3repE0EEENS1_30default_config_static_selectorELNS0_4arch9wavefront6targetE0EEEvSN_, .Lfunc_end50-_ZN7rocprim17ROCPRIM_400000_NS6detail17trampoline_kernelINS0_14default_configENS1_27lower_bound_config_selectorItlEEZNS1_14transform_implILb0ES3_S5_N6thrust23THRUST_200600_302600_NS17counting_iteratorItNS8_11use_defaultESA_SA_EEPlZNS1_13binary_searchIS3_S5_PtSB_SC_NS1_21lower_bound_search_opENS8_6detail16wrapped_functionI11custom_lessbEEEE10hipError_tPvRmT1_T2_T3_mmT4_T5_P12ihipStream_tbEUlRKtE_EESK_SO_SP_mSQ_ST_bEUlT_E_NS1_11comp_targetILNS1_3genE3ELNS1_11target_archE908ELNS1_3gpuE7ELNS1_3repE0EEENS1_30default_config_static_selectorELNS0_4arch9wavefront6targetE0EEEvSN_
                                        ; -- End function
	.section	.AMDGPU.csdata,"",@progbits
; Kernel info:
; codeLenInByte = 0
; NumSgprs: 0
; NumVgprs: 0
; ScratchSize: 0
; MemoryBound: 0
; FloatMode: 240
; IeeeMode: 1
; LDSByteSize: 0 bytes/workgroup (compile time only)
; SGPRBlocks: 0
; VGPRBlocks: 0
; NumSGPRsForWavesPerEU: 1
; NumVGPRsForWavesPerEU: 1
; Occupancy: 16
; WaveLimiterHint : 0
; COMPUTE_PGM_RSRC2:SCRATCH_EN: 0
; COMPUTE_PGM_RSRC2:USER_SGPR: 15
; COMPUTE_PGM_RSRC2:TRAP_HANDLER: 0
; COMPUTE_PGM_RSRC2:TGID_X_EN: 1
; COMPUTE_PGM_RSRC2:TGID_Y_EN: 0
; COMPUTE_PGM_RSRC2:TGID_Z_EN: 0
; COMPUTE_PGM_RSRC2:TIDIG_COMP_CNT: 0
	.section	.text._ZN7rocprim17ROCPRIM_400000_NS6detail17trampoline_kernelINS0_14default_configENS1_27lower_bound_config_selectorItlEEZNS1_14transform_implILb0ES3_S5_N6thrust23THRUST_200600_302600_NS17counting_iteratorItNS8_11use_defaultESA_SA_EEPlZNS1_13binary_searchIS3_S5_PtSB_SC_NS1_21lower_bound_search_opENS8_6detail16wrapped_functionI11custom_lessbEEEE10hipError_tPvRmT1_T2_T3_mmT4_T5_P12ihipStream_tbEUlRKtE_EESK_SO_SP_mSQ_ST_bEUlT_E_NS1_11comp_targetILNS1_3genE2ELNS1_11target_archE906ELNS1_3gpuE6ELNS1_3repE0EEENS1_30default_config_static_selectorELNS0_4arch9wavefront6targetE0EEEvSN_,"axG",@progbits,_ZN7rocprim17ROCPRIM_400000_NS6detail17trampoline_kernelINS0_14default_configENS1_27lower_bound_config_selectorItlEEZNS1_14transform_implILb0ES3_S5_N6thrust23THRUST_200600_302600_NS17counting_iteratorItNS8_11use_defaultESA_SA_EEPlZNS1_13binary_searchIS3_S5_PtSB_SC_NS1_21lower_bound_search_opENS8_6detail16wrapped_functionI11custom_lessbEEEE10hipError_tPvRmT1_T2_T3_mmT4_T5_P12ihipStream_tbEUlRKtE_EESK_SO_SP_mSQ_ST_bEUlT_E_NS1_11comp_targetILNS1_3genE2ELNS1_11target_archE906ELNS1_3gpuE6ELNS1_3repE0EEENS1_30default_config_static_selectorELNS0_4arch9wavefront6targetE0EEEvSN_,comdat
	.protected	_ZN7rocprim17ROCPRIM_400000_NS6detail17trampoline_kernelINS0_14default_configENS1_27lower_bound_config_selectorItlEEZNS1_14transform_implILb0ES3_S5_N6thrust23THRUST_200600_302600_NS17counting_iteratorItNS8_11use_defaultESA_SA_EEPlZNS1_13binary_searchIS3_S5_PtSB_SC_NS1_21lower_bound_search_opENS8_6detail16wrapped_functionI11custom_lessbEEEE10hipError_tPvRmT1_T2_T3_mmT4_T5_P12ihipStream_tbEUlRKtE_EESK_SO_SP_mSQ_ST_bEUlT_E_NS1_11comp_targetILNS1_3genE2ELNS1_11target_archE906ELNS1_3gpuE6ELNS1_3repE0EEENS1_30default_config_static_selectorELNS0_4arch9wavefront6targetE0EEEvSN_ ; -- Begin function _ZN7rocprim17ROCPRIM_400000_NS6detail17trampoline_kernelINS0_14default_configENS1_27lower_bound_config_selectorItlEEZNS1_14transform_implILb0ES3_S5_N6thrust23THRUST_200600_302600_NS17counting_iteratorItNS8_11use_defaultESA_SA_EEPlZNS1_13binary_searchIS3_S5_PtSB_SC_NS1_21lower_bound_search_opENS8_6detail16wrapped_functionI11custom_lessbEEEE10hipError_tPvRmT1_T2_T3_mmT4_T5_P12ihipStream_tbEUlRKtE_EESK_SO_SP_mSQ_ST_bEUlT_E_NS1_11comp_targetILNS1_3genE2ELNS1_11target_archE906ELNS1_3gpuE6ELNS1_3repE0EEENS1_30default_config_static_selectorELNS0_4arch9wavefront6targetE0EEEvSN_
	.globl	_ZN7rocprim17ROCPRIM_400000_NS6detail17trampoline_kernelINS0_14default_configENS1_27lower_bound_config_selectorItlEEZNS1_14transform_implILb0ES3_S5_N6thrust23THRUST_200600_302600_NS17counting_iteratorItNS8_11use_defaultESA_SA_EEPlZNS1_13binary_searchIS3_S5_PtSB_SC_NS1_21lower_bound_search_opENS8_6detail16wrapped_functionI11custom_lessbEEEE10hipError_tPvRmT1_T2_T3_mmT4_T5_P12ihipStream_tbEUlRKtE_EESK_SO_SP_mSQ_ST_bEUlT_E_NS1_11comp_targetILNS1_3genE2ELNS1_11target_archE906ELNS1_3gpuE6ELNS1_3repE0EEENS1_30default_config_static_selectorELNS0_4arch9wavefront6targetE0EEEvSN_
	.p2align	8
	.type	_ZN7rocprim17ROCPRIM_400000_NS6detail17trampoline_kernelINS0_14default_configENS1_27lower_bound_config_selectorItlEEZNS1_14transform_implILb0ES3_S5_N6thrust23THRUST_200600_302600_NS17counting_iteratorItNS8_11use_defaultESA_SA_EEPlZNS1_13binary_searchIS3_S5_PtSB_SC_NS1_21lower_bound_search_opENS8_6detail16wrapped_functionI11custom_lessbEEEE10hipError_tPvRmT1_T2_T3_mmT4_T5_P12ihipStream_tbEUlRKtE_EESK_SO_SP_mSQ_ST_bEUlT_E_NS1_11comp_targetILNS1_3genE2ELNS1_11target_archE906ELNS1_3gpuE6ELNS1_3repE0EEENS1_30default_config_static_selectorELNS0_4arch9wavefront6targetE0EEEvSN_,@function
_ZN7rocprim17ROCPRIM_400000_NS6detail17trampoline_kernelINS0_14default_configENS1_27lower_bound_config_selectorItlEEZNS1_14transform_implILb0ES3_S5_N6thrust23THRUST_200600_302600_NS17counting_iteratorItNS8_11use_defaultESA_SA_EEPlZNS1_13binary_searchIS3_S5_PtSB_SC_NS1_21lower_bound_search_opENS8_6detail16wrapped_functionI11custom_lessbEEEE10hipError_tPvRmT1_T2_T3_mmT4_T5_P12ihipStream_tbEUlRKtE_EESK_SO_SP_mSQ_ST_bEUlT_E_NS1_11comp_targetILNS1_3genE2ELNS1_11target_archE906ELNS1_3gpuE6ELNS1_3repE0EEENS1_30default_config_static_selectorELNS0_4arch9wavefront6targetE0EEEvSN_: ; @_ZN7rocprim17ROCPRIM_400000_NS6detail17trampoline_kernelINS0_14default_configENS1_27lower_bound_config_selectorItlEEZNS1_14transform_implILb0ES3_S5_N6thrust23THRUST_200600_302600_NS17counting_iteratorItNS8_11use_defaultESA_SA_EEPlZNS1_13binary_searchIS3_S5_PtSB_SC_NS1_21lower_bound_search_opENS8_6detail16wrapped_functionI11custom_lessbEEEE10hipError_tPvRmT1_T2_T3_mmT4_T5_P12ihipStream_tbEUlRKtE_EESK_SO_SP_mSQ_ST_bEUlT_E_NS1_11comp_targetILNS1_3genE2ELNS1_11target_archE906ELNS1_3gpuE6ELNS1_3repE0EEENS1_30default_config_static_selectorELNS0_4arch9wavefront6targetE0EEEvSN_
; %bb.0:
	.section	.rodata,"a",@progbits
	.p2align	6, 0x0
	.amdhsa_kernel _ZN7rocprim17ROCPRIM_400000_NS6detail17trampoline_kernelINS0_14default_configENS1_27lower_bound_config_selectorItlEEZNS1_14transform_implILb0ES3_S5_N6thrust23THRUST_200600_302600_NS17counting_iteratorItNS8_11use_defaultESA_SA_EEPlZNS1_13binary_searchIS3_S5_PtSB_SC_NS1_21lower_bound_search_opENS8_6detail16wrapped_functionI11custom_lessbEEEE10hipError_tPvRmT1_T2_T3_mmT4_T5_P12ihipStream_tbEUlRKtE_EESK_SO_SP_mSQ_ST_bEUlT_E_NS1_11comp_targetILNS1_3genE2ELNS1_11target_archE906ELNS1_3gpuE6ELNS1_3repE0EEENS1_30default_config_static_selectorELNS0_4arch9wavefront6targetE0EEEvSN_
		.amdhsa_group_segment_fixed_size 0
		.amdhsa_private_segment_fixed_size 0
		.amdhsa_kernarg_size 56
		.amdhsa_user_sgpr_count 15
		.amdhsa_user_sgpr_dispatch_ptr 0
		.amdhsa_user_sgpr_queue_ptr 0
		.amdhsa_user_sgpr_kernarg_segment_ptr 1
		.amdhsa_user_sgpr_dispatch_id 0
		.amdhsa_user_sgpr_private_segment_size 0
		.amdhsa_wavefront_size32 1
		.amdhsa_uses_dynamic_stack 0
		.amdhsa_enable_private_segment 0
		.amdhsa_system_sgpr_workgroup_id_x 1
		.amdhsa_system_sgpr_workgroup_id_y 0
		.amdhsa_system_sgpr_workgroup_id_z 0
		.amdhsa_system_sgpr_workgroup_info 0
		.amdhsa_system_vgpr_workitem_id 0
		.amdhsa_next_free_vgpr 1
		.amdhsa_next_free_sgpr 1
		.amdhsa_reserve_vcc 0
		.amdhsa_float_round_mode_32 0
		.amdhsa_float_round_mode_16_64 0
		.amdhsa_float_denorm_mode_32 3
		.amdhsa_float_denorm_mode_16_64 3
		.amdhsa_dx10_clamp 1
		.amdhsa_ieee_mode 1
		.amdhsa_fp16_overflow 0
		.amdhsa_workgroup_processor_mode 1
		.amdhsa_memory_ordered 1
		.amdhsa_forward_progress 0
		.amdhsa_shared_vgpr_count 0
		.amdhsa_exception_fp_ieee_invalid_op 0
		.amdhsa_exception_fp_denorm_src 0
		.amdhsa_exception_fp_ieee_div_zero 0
		.amdhsa_exception_fp_ieee_overflow 0
		.amdhsa_exception_fp_ieee_underflow 0
		.amdhsa_exception_fp_ieee_inexact 0
		.amdhsa_exception_int_div_zero 0
	.end_amdhsa_kernel
	.section	.text._ZN7rocprim17ROCPRIM_400000_NS6detail17trampoline_kernelINS0_14default_configENS1_27lower_bound_config_selectorItlEEZNS1_14transform_implILb0ES3_S5_N6thrust23THRUST_200600_302600_NS17counting_iteratorItNS8_11use_defaultESA_SA_EEPlZNS1_13binary_searchIS3_S5_PtSB_SC_NS1_21lower_bound_search_opENS8_6detail16wrapped_functionI11custom_lessbEEEE10hipError_tPvRmT1_T2_T3_mmT4_T5_P12ihipStream_tbEUlRKtE_EESK_SO_SP_mSQ_ST_bEUlT_E_NS1_11comp_targetILNS1_3genE2ELNS1_11target_archE906ELNS1_3gpuE6ELNS1_3repE0EEENS1_30default_config_static_selectorELNS0_4arch9wavefront6targetE0EEEvSN_,"axG",@progbits,_ZN7rocprim17ROCPRIM_400000_NS6detail17trampoline_kernelINS0_14default_configENS1_27lower_bound_config_selectorItlEEZNS1_14transform_implILb0ES3_S5_N6thrust23THRUST_200600_302600_NS17counting_iteratorItNS8_11use_defaultESA_SA_EEPlZNS1_13binary_searchIS3_S5_PtSB_SC_NS1_21lower_bound_search_opENS8_6detail16wrapped_functionI11custom_lessbEEEE10hipError_tPvRmT1_T2_T3_mmT4_T5_P12ihipStream_tbEUlRKtE_EESK_SO_SP_mSQ_ST_bEUlT_E_NS1_11comp_targetILNS1_3genE2ELNS1_11target_archE906ELNS1_3gpuE6ELNS1_3repE0EEENS1_30default_config_static_selectorELNS0_4arch9wavefront6targetE0EEEvSN_,comdat
.Lfunc_end51:
	.size	_ZN7rocprim17ROCPRIM_400000_NS6detail17trampoline_kernelINS0_14default_configENS1_27lower_bound_config_selectorItlEEZNS1_14transform_implILb0ES3_S5_N6thrust23THRUST_200600_302600_NS17counting_iteratorItNS8_11use_defaultESA_SA_EEPlZNS1_13binary_searchIS3_S5_PtSB_SC_NS1_21lower_bound_search_opENS8_6detail16wrapped_functionI11custom_lessbEEEE10hipError_tPvRmT1_T2_T3_mmT4_T5_P12ihipStream_tbEUlRKtE_EESK_SO_SP_mSQ_ST_bEUlT_E_NS1_11comp_targetILNS1_3genE2ELNS1_11target_archE906ELNS1_3gpuE6ELNS1_3repE0EEENS1_30default_config_static_selectorELNS0_4arch9wavefront6targetE0EEEvSN_, .Lfunc_end51-_ZN7rocprim17ROCPRIM_400000_NS6detail17trampoline_kernelINS0_14default_configENS1_27lower_bound_config_selectorItlEEZNS1_14transform_implILb0ES3_S5_N6thrust23THRUST_200600_302600_NS17counting_iteratorItNS8_11use_defaultESA_SA_EEPlZNS1_13binary_searchIS3_S5_PtSB_SC_NS1_21lower_bound_search_opENS8_6detail16wrapped_functionI11custom_lessbEEEE10hipError_tPvRmT1_T2_T3_mmT4_T5_P12ihipStream_tbEUlRKtE_EESK_SO_SP_mSQ_ST_bEUlT_E_NS1_11comp_targetILNS1_3genE2ELNS1_11target_archE906ELNS1_3gpuE6ELNS1_3repE0EEENS1_30default_config_static_selectorELNS0_4arch9wavefront6targetE0EEEvSN_
                                        ; -- End function
	.section	.AMDGPU.csdata,"",@progbits
; Kernel info:
; codeLenInByte = 0
; NumSgprs: 0
; NumVgprs: 0
; ScratchSize: 0
; MemoryBound: 0
; FloatMode: 240
; IeeeMode: 1
; LDSByteSize: 0 bytes/workgroup (compile time only)
; SGPRBlocks: 0
; VGPRBlocks: 0
; NumSGPRsForWavesPerEU: 1
; NumVGPRsForWavesPerEU: 1
; Occupancy: 16
; WaveLimiterHint : 0
; COMPUTE_PGM_RSRC2:SCRATCH_EN: 0
; COMPUTE_PGM_RSRC2:USER_SGPR: 15
; COMPUTE_PGM_RSRC2:TRAP_HANDLER: 0
; COMPUTE_PGM_RSRC2:TGID_X_EN: 1
; COMPUTE_PGM_RSRC2:TGID_Y_EN: 0
; COMPUTE_PGM_RSRC2:TGID_Z_EN: 0
; COMPUTE_PGM_RSRC2:TIDIG_COMP_CNT: 0
	.section	.text._ZN7rocprim17ROCPRIM_400000_NS6detail17trampoline_kernelINS0_14default_configENS1_27lower_bound_config_selectorItlEEZNS1_14transform_implILb0ES3_S5_N6thrust23THRUST_200600_302600_NS17counting_iteratorItNS8_11use_defaultESA_SA_EEPlZNS1_13binary_searchIS3_S5_PtSB_SC_NS1_21lower_bound_search_opENS8_6detail16wrapped_functionI11custom_lessbEEEE10hipError_tPvRmT1_T2_T3_mmT4_T5_P12ihipStream_tbEUlRKtE_EESK_SO_SP_mSQ_ST_bEUlT_E_NS1_11comp_targetILNS1_3genE10ELNS1_11target_archE1201ELNS1_3gpuE5ELNS1_3repE0EEENS1_30default_config_static_selectorELNS0_4arch9wavefront6targetE0EEEvSN_,"axG",@progbits,_ZN7rocprim17ROCPRIM_400000_NS6detail17trampoline_kernelINS0_14default_configENS1_27lower_bound_config_selectorItlEEZNS1_14transform_implILb0ES3_S5_N6thrust23THRUST_200600_302600_NS17counting_iteratorItNS8_11use_defaultESA_SA_EEPlZNS1_13binary_searchIS3_S5_PtSB_SC_NS1_21lower_bound_search_opENS8_6detail16wrapped_functionI11custom_lessbEEEE10hipError_tPvRmT1_T2_T3_mmT4_T5_P12ihipStream_tbEUlRKtE_EESK_SO_SP_mSQ_ST_bEUlT_E_NS1_11comp_targetILNS1_3genE10ELNS1_11target_archE1201ELNS1_3gpuE5ELNS1_3repE0EEENS1_30default_config_static_selectorELNS0_4arch9wavefront6targetE0EEEvSN_,comdat
	.protected	_ZN7rocprim17ROCPRIM_400000_NS6detail17trampoline_kernelINS0_14default_configENS1_27lower_bound_config_selectorItlEEZNS1_14transform_implILb0ES3_S5_N6thrust23THRUST_200600_302600_NS17counting_iteratorItNS8_11use_defaultESA_SA_EEPlZNS1_13binary_searchIS3_S5_PtSB_SC_NS1_21lower_bound_search_opENS8_6detail16wrapped_functionI11custom_lessbEEEE10hipError_tPvRmT1_T2_T3_mmT4_T5_P12ihipStream_tbEUlRKtE_EESK_SO_SP_mSQ_ST_bEUlT_E_NS1_11comp_targetILNS1_3genE10ELNS1_11target_archE1201ELNS1_3gpuE5ELNS1_3repE0EEENS1_30default_config_static_selectorELNS0_4arch9wavefront6targetE0EEEvSN_ ; -- Begin function _ZN7rocprim17ROCPRIM_400000_NS6detail17trampoline_kernelINS0_14default_configENS1_27lower_bound_config_selectorItlEEZNS1_14transform_implILb0ES3_S5_N6thrust23THRUST_200600_302600_NS17counting_iteratorItNS8_11use_defaultESA_SA_EEPlZNS1_13binary_searchIS3_S5_PtSB_SC_NS1_21lower_bound_search_opENS8_6detail16wrapped_functionI11custom_lessbEEEE10hipError_tPvRmT1_T2_T3_mmT4_T5_P12ihipStream_tbEUlRKtE_EESK_SO_SP_mSQ_ST_bEUlT_E_NS1_11comp_targetILNS1_3genE10ELNS1_11target_archE1201ELNS1_3gpuE5ELNS1_3repE0EEENS1_30default_config_static_selectorELNS0_4arch9wavefront6targetE0EEEvSN_
	.globl	_ZN7rocprim17ROCPRIM_400000_NS6detail17trampoline_kernelINS0_14default_configENS1_27lower_bound_config_selectorItlEEZNS1_14transform_implILb0ES3_S5_N6thrust23THRUST_200600_302600_NS17counting_iteratorItNS8_11use_defaultESA_SA_EEPlZNS1_13binary_searchIS3_S5_PtSB_SC_NS1_21lower_bound_search_opENS8_6detail16wrapped_functionI11custom_lessbEEEE10hipError_tPvRmT1_T2_T3_mmT4_T5_P12ihipStream_tbEUlRKtE_EESK_SO_SP_mSQ_ST_bEUlT_E_NS1_11comp_targetILNS1_3genE10ELNS1_11target_archE1201ELNS1_3gpuE5ELNS1_3repE0EEENS1_30default_config_static_selectorELNS0_4arch9wavefront6targetE0EEEvSN_
	.p2align	8
	.type	_ZN7rocprim17ROCPRIM_400000_NS6detail17trampoline_kernelINS0_14default_configENS1_27lower_bound_config_selectorItlEEZNS1_14transform_implILb0ES3_S5_N6thrust23THRUST_200600_302600_NS17counting_iteratorItNS8_11use_defaultESA_SA_EEPlZNS1_13binary_searchIS3_S5_PtSB_SC_NS1_21lower_bound_search_opENS8_6detail16wrapped_functionI11custom_lessbEEEE10hipError_tPvRmT1_T2_T3_mmT4_T5_P12ihipStream_tbEUlRKtE_EESK_SO_SP_mSQ_ST_bEUlT_E_NS1_11comp_targetILNS1_3genE10ELNS1_11target_archE1201ELNS1_3gpuE5ELNS1_3repE0EEENS1_30default_config_static_selectorELNS0_4arch9wavefront6targetE0EEEvSN_,@function
_ZN7rocprim17ROCPRIM_400000_NS6detail17trampoline_kernelINS0_14default_configENS1_27lower_bound_config_selectorItlEEZNS1_14transform_implILb0ES3_S5_N6thrust23THRUST_200600_302600_NS17counting_iteratorItNS8_11use_defaultESA_SA_EEPlZNS1_13binary_searchIS3_S5_PtSB_SC_NS1_21lower_bound_search_opENS8_6detail16wrapped_functionI11custom_lessbEEEE10hipError_tPvRmT1_T2_T3_mmT4_T5_P12ihipStream_tbEUlRKtE_EESK_SO_SP_mSQ_ST_bEUlT_E_NS1_11comp_targetILNS1_3genE10ELNS1_11target_archE1201ELNS1_3gpuE5ELNS1_3repE0EEENS1_30default_config_static_selectorELNS0_4arch9wavefront6targetE0EEEvSN_: ; @_ZN7rocprim17ROCPRIM_400000_NS6detail17trampoline_kernelINS0_14default_configENS1_27lower_bound_config_selectorItlEEZNS1_14transform_implILb0ES3_S5_N6thrust23THRUST_200600_302600_NS17counting_iteratorItNS8_11use_defaultESA_SA_EEPlZNS1_13binary_searchIS3_S5_PtSB_SC_NS1_21lower_bound_search_opENS8_6detail16wrapped_functionI11custom_lessbEEEE10hipError_tPvRmT1_T2_T3_mmT4_T5_P12ihipStream_tbEUlRKtE_EESK_SO_SP_mSQ_ST_bEUlT_E_NS1_11comp_targetILNS1_3genE10ELNS1_11target_archE1201ELNS1_3gpuE5ELNS1_3repE0EEENS1_30default_config_static_selectorELNS0_4arch9wavefront6targetE0EEEvSN_
; %bb.0:
	.section	.rodata,"a",@progbits
	.p2align	6, 0x0
	.amdhsa_kernel _ZN7rocprim17ROCPRIM_400000_NS6detail17trampoline_kernelINS0_14default_configENS1_27lower_bound_config_selectorItlEEZNS1_14transform_implILb0ES3_S5_N6thrust23THRUST_200600_302600_NS17counting_iteratorItNS8_11use_defaultESA_SA_EEPlZNS1_13binary_searchIS3_S5_PtSB_SC_NS1_21lower_bound_search_opENS8_6detail16wrapped_functionI11custom_lessbEEEE10hipError_tPvRmT1_T2_T3_mmT4_T5_P12ihipStream_tbEUlRKtE_EESK_SO_SP_mSQ_ST_bEUlT_E_NS1_11comp_targetILNS1_3genE10ELNS1_11target_archE1201ELNS1_3gpuE5ELNS1_3repE0EEENS1_30default_config_static_selectorELNS0_4arch9wavefront6targetE0EEEvSN_
		.amdhsa_group_segment_fixed_size 0
		.amdhsa_private_segment_fixed_size 0
		.amdhsa_kernarg_size 56
		.amdhsa_user_sgpr_count 15
		.amdhsa_user_sgpr_dispatch_ptr 0
		.amdhsa_user_sgpr_queue_ptr 0
		.amdhsa_user_sgpr_kernarg_segment_ptr 1
		.amdhsa_user_sgpr_dispatch_id 0
		.amdhsa_user_sgpr_private_segment_size 0
		.amdhsa_wavefront_size32 1
		.amdhsa_uses_dynamic_stack 0
		.amdhsa_enable_private_segment 0
		.amdhsa_system_sgpr_workgroup_id_x 1
		.amdhsa_system_sgpr_workgroup_id_y 0
		.amdhsa_system_sgpr_workgroup_id_z 0
		.amdhsa_system_sgpr_workgroup_info 0
		.amdhsa_system_vgpr_workitem_id 0
		.amdhsa_next_free_vgpr 1
		.amdhsa_next_free_sgpr 1
		.amdhsa_reserve_vcc 0
		.amdhsa_float_round_mode_32 0
		.amdhsa_float_round_mode_16_64 0
		.amdhsa_float_denorm_mode_32 3
		.amdhsa_float_denorm_mode_16_64 3
		.amdhsa_dx10_clamp 1
		.amdhsa_ieee_mode 1
		.amdhsa_fp16_overflow 0
		.amdhsa_workgroup_processor_mode 1
		.amdhsa_memory_ordered 1
		.amdhsa_forward_progress 0
		.amdhsa_shared_vgpr_count 0
		.amdhsa_exception_fp_ieee_invalid_op 0
		.amdhsa_exception_fp_denorm_src 0
		.amdhsa_exception_fp_ieee_div_zero 0
		.amdhsa_exception_fp_ieee_overflow 0
		.amdhsa_exception_fp_ieee_underflow 0
		.amdhsa_exception_fp_ieee_inexact 0
		.amdhsa_exception_int_div_zero 0
	.end_amdhsa_kernel
	.section	.text._ZN7rocprim17ROCPRIM_400000_NS6detail17trampoline_kernelINS0_14default_configENS1_27lower_bound_config_selectorItlEEZNS1_14transform_implILb0ES3_S5_N6thrust23THRUST_200600_302600_NS17counting_iteratorItNS8_11use_defaultESA_SA_EEPlZNS1_13binary_searchIS3_S5_PtSB_SC_NS1_21lower_bound_search_opENS8_6detail16wrapped_functionI11custom_lessbEEEE10hipError_tPvRmT1_T2_T3_mmT4_T5_P12ihipStream_tbEUlRKtE_EESK_SO_SP_mSQ_ST_bEUlT_E_NS1_11comp_targetILNS1_3genE10ELNS1_11target_archE1201ELNS1_3gpuE5ELNS1_3repE0EEENS1_30default_config_static_selectorELNS0_4arch9wavefront6targetE0EEEvSN_,"axG",@progbits,_ZN7rocprim17ROCPRIM_400000_NS6detail17trampoline_kernelINS0_14default_configENS1_27lower_bound_config_selectorItlEEZNS1_14transform_implILb0ES3_S5_N6thrust23THRUST_200600_302600_NS17counting_iteratorItNS8_11use_defaultESA_SA_EEPlZNS1_13binary_searchIS3_S5_PtSB_SC_NS1_21lower_bound_search_opENS8_6detail16wrapped_functionI11custom_lessbEEEE10hipError_tPvRmT1_T2_T3_mmT4_T5_P12ihipStream_tbEUlRKtE_EESK_SO_SP_mSQ_ST_bEUlT_E_NS1_11comp_targetILNS1_3genE10ELNS1_11target_archE1201ELNS1_3gpuE5ELNS1_3repE0EEENS1_30default_config_static_selectorELNS0_4arch9wavefront6targetE0EEEvSN_,comdat
.Lfunc_end52:
	.size	_ZN7rocprim17ROCPRIM_400000_NS6detail17trampoline_kernelINS0_14default_configENS1_27lower_bound_config_selectorItlEEZNS1_14transform_implILb0ES3_S5_N6thrust23THRUST_200600_302600_NS17counting_iteratorItNS8_11use_defaultESA_SA_EEPlZNS1_13binary_searchIS3_S5_PtSB_SC_NS1_21lower_bound_search_opENS8_6detail16wrapped_functionI11custom_lessbEEEE10hipError_tPvRmT1_T2_T3_mmT4_T5_P12ihipStream_tbEUlRKtE_EESK_SO_SP_mSQ_ST_bEUlT_E_NS1_11comp_targetILNS1_3genE10ELNS1_11target_archE1201ELNS1_3gpuE5ELNS1_3repE0EEENS1_30default_config_static_selectorELNS0_4arch9wavefront6targetE0EEEvSN_, .Lfunc_end52-_ZN7rocprim17ROCPRIM_400000_NS6detail17trampoline_kernelINS0_14default_configENS1_27lower_bound_config_selectorItlEEZNS1_14transform_implILb0ES3_S5_N6thrust23THRUST_200600_302600_NS17counting_iteratorItNS8_11use_defaultESA_SA_EEPlZNS1_13binary_searchIS3_S5_PtSB_SC_NS1_21lower_bound_search_opENS8_6detail16wrapped_functionI11custom_lessbEEEE10hipError_tPvRmT1_T2_T3_mmT4_T5_P12ihipStream_tbEUlRKtE_EESK_SO_SP_mSQ_ST_bEUlT_E_NS1_11comp_targetILNS1_3genE10ELNS1_11target_archE1201ELNS1_3gpuE5ELNS1_3repE0EEENS1_30default_config_static_selectorELNS0_4arch9wavefront6targetE0EEEvSN_
                                        ; -- End function
	.section	.AMDGPU.csdata,"",@progbits
; Kernel info:
; codeLenInByte = 0
; NumSgprs: 0
; NumVgprs: 0
; ScratchSize: 0
; MemoryBound: 0
; FloatMode: 240
; IeeeMode: 1
; LDSByteSize: 0 bytes/workgroup (compile time only)
; SGPRBlocks: 0
; VGPRBlocks: 0
; NumSGPRsForWavesPerEU: 1
; NumVGPRsForWavesPerEU: 1
; Occupancy: 16
; WaveLimiterHint : 0
; COMPUTE_PGM_RSRC2:SCRATCH_EN: 0
; COMPUTE_PGM_RSRC2:USER_SGPR: 15
; COMPUTE_PGM_RSRC2:TRAP_HANDLER: 0
; COMPUTE_PGM_RSRC2:TGID_X_EN: 1
; COMPUTE_PGM_RSRC2:TGID_Y_EN: 0
; COMPUTE_PGM_RSRC2:TGID_Z_EN: 0
; COMPUTE_PGM_RSRC2:TIDIG_COMP_CNT: 0
	.section	.text._ZN7rocprim17ROCPRIM_400000_NS6detail17trampoline_kernelINS0_14default_configENS1_27lower_bound_config_selectorItlEEZNS1_14transform_implILb0ES3_S5_N6thrust23THRUST_200600_302600_NS17counting_iteratorItNS8_11use_defaultESA_SA_EEPlZNS1_13binary_searchIS3_S5_PtSB_SC_NS1_21lower_bound_search_opENS8_6detail16wrapped_functionI11custom_lessbEEEE10hipError_tPvRmT1_T2_T3_mmT4_T5_P12ihipStream_tbEUlRKtE_EESK_SO_SP_mSQ_ST_bEUlT_E_NS1_11comp_targetILNS1_3genE10ELNS1_11target_archE1200ELNS1_3gpuE4ELNS1_3repE0EEENS1_30default_config_static_selectorELNS0_4arch9wavefront6targetE0EEEvSN_,"axG",@progbits,_ZN7rocprim17ROCPRIM_400000_NS6detail17trampoline_kernelINS0_14default_configENS1_27lower_bound_config_selectorItlEEZNS1_14transform_implILb0ES3_S5_N6thrust23THRUST_200600_302600_NS17counting_iteratorItNS8_11use_defaultESA_SA_EEPlZNS1_13binary_searchIS3_S5_PtSB_SC_NS1_21lower_bound_search_opENS8_6detail16wrapped_functionI11custom_lessbEEEE10hipError_tPvRmT1_T2_T3_mmT4_T5_P12ihipStream_tbEUlRKtE_EESK_SO_SP_mSQ_ST_bEUlT_E_NS1_11comp_targetILNS1_3genE10ELNS1_11target_archE1200ELNS1_3gpuE4ELNS1_3repE0EEENS1_30default_config_static_selectorELNS0_4arch9wavefront6targetE0EEEvSN_,comdat
	.protected	_ZN7rocprim17ROCPRIM_400000_NS6detail17trampoline_kernelINS0_14default_configENS1_27lower_bound_config_selectorItlEEZNS1_14transform_implILb0ES3_S5_N6thrust23THRUST_200600_302600_NS17counting_iteratorItNS8_11use_defaultESA_SA_EEPlZNS1_13binary_searchIS3_S5_PtSB_SC_NS1_21lower_bound_search_opENS8_6detail16wrapped_functionI11custom_lessbEEEE10hipError_tPvRmT1_T2_T3_mmT4_T5_P12ihipStream_tbEUlRKtE_EESK_SO_SP_mSQ_ST_bEUlT_E_NS1_11comp_targetILNS1_3genE10ELNS1_11target_archE1200ELNS1_3gpuE4ELNS1_3repE0EEENS1_30default_config_static_selectorELNS0_4arch9wavefront6targetE0EEEvSN_ ; -- Begin function _ZN7rocprim17ROCPRIM_400000_NS6detail17trampoline_kernelINS0_14default_configENS1_27lower_bound_config_selectorItlEEZNS1_14transform_implILb0ES3_S5_N6thrust23THRUST_200600_302600_NS17counting_iteratorItNS8_11use_defaultESA_SA_EEPlZNS1_13binary_searchIS3_S5_PtSB_SC_NS1_21lower_bound_search_opENS8_6detail16wrapped_functionI11custom_lessbEEEE10hipError_tPvRmT1_T2_T3_mmT4_T5_P12ihipStream_tbEUlRKtE_EESK_SO_SP_mSQ_ST_bEUlT_E_NS1_11comp_targetILNS1_3genE10ELNS1_11target_archE1200ELNS1_3gpuE4ELNS1_3repE0EEENS1_30default_config_static_selectorELNS0_4arch9wavefront6targetE0EEEvSN_
	.globl	_ZN7rocprim17ROCPRIM_400000_NS6detail17trampoline_kernelINS0_14default_configENS1_27lower_bound_config_selectorItlEEZNS1_14transform_implILb0ES3_S5_N6thrust23THRUST_200600_302600_NS17counting_iteratorItNS8_11use_defaultESA_SA_EEPlZNS1_13binary_searchIS3_S5_PtSB_SC_NS1_21lower_bound_search_opENS8_6detail16wrapped_functionI11custom_lessbEEEE10hipError_tPvRmT1_T2_T3_mmT4_T5_P12ihipStream_tbEUlRKtE_EESK_SO_SP_mSQ_ST_bEUlT_E_NS1_11comp_targetILNS1_3genE10ELNS1_11target_archE1200ELNS1_3gpuE4ELNS1_3repE0EEENS1_30default_config_static_selectorELNS0_4arch9wavefront6targetE0EEEvSN_
	.p2align	8
	.type	_ZN7rocprim17ROCPRIM_400000_NS6detail17trampoline_kernelINS0_14default_configENS1_27lower_bound_config_selectorItlEEZNS1_14transform_implILb0ES3_S5_N6thrust23THRUST_200600_302600_NS17counting_iteratorItNS8_11use_defaultESA_SA_EEPlZNS1_13binary_searchIS3_S5_PtSB_SC_NS1_21lower_bound_search_opENS8_6detail16wrapped_functionI11custom_lessbEEEE10hipError_tPvRmT1_T2_T3_mmT4_T5_P12ihipStream_tbEUlRKtE_EESK_SO_SP_mSQ_ST_bEUlT_E_NS1_11comp_targetILNS1_3genE10ELNS1_11target_archE1200ELNS1_3gpuE4ELNS1_3repE0EEENS1_30default_config_static_selectorELNS0_4arch9wavefront6targetE0EEEvSN_,@function
_ZN7rocprim17ROCPRIM_400000_NS6detail17trampoline_kernelINS0_14default_configENS1_27lower_bound_config_selectorItlEEZNS1_14transform_implILb0ES3_S5_N6thrust23THRUST_200600_302600_NS17counting_iteratorItNS8_11use_defaultESA_SA_EEPlZNS1_13binary_searchIS3_S5_PtSB_SC_NS1_21lower_bound_search_opENS8_6detail16wrapped_functionI11custom_lessbEEEE10hipError_tPvRmT1_T2_T3_mmT4_T5_P12ihipStream_tbEUlRKtE_EESK_SO_SP_mSQ_ST_bEUlT_E_NS1_11comp_targetILNS1_3genE10ELNS1_11target_archE1200ELNS1_3gpuE4ELNS1_3repE0EEENS1_30default_config_static_selectorELNS0_4arch9wavefront6targetE0EEEvSN_: ; @_ZN7rocprim17ROCPRIM_400000_NS6detail17trampoline_kernelINS0_14default_configENS1_27lower_bound_config_selectorItlEEZNS1_14transform_implILb0ES3_S5_N6thrust23THRUST_200600_302600_NS17counting_iteratorItNS8_11use_defaultESA_SA_EEPlZNS1_13binary_searchIS3_S5_PtSB_SC_NS1_21lower_bound_search_opENS8_6detail16wrapped_functionI11custom_lessbEEEE10hipError_tPvRmT1_T2_T3_mmT4_T5_P12ihipStream_tbEUlRKtE_EESK_SO_SP_mSQ_ST_bEUlT_E_NS1_11comp_targetILNS1_3genE10ELNS1_11target_archE1200ELNS1_3gpuE4ELNS1_3repE0EEENS1_30default_config_static_selectorELNS0_4arch9wavefront6targetE0EEEvSN_
; %bb.0:
	.section	.rodata,"a",@progbits
	.p2align	6, 0x0
	.amdhsa_kernel _ZN7rocprim17ROCPRIM_400000_NS6detail17trampoline_kernelINS0_14default_configENS1_27lower_bound_config_selectorItlEEZNS1_14transform_implILb0ES3_S5_N6thrust23THRUST_200600_302600_NS17counting_iteratorItNS8_11use_defaultESA_SA_EEPlZNS1_13binary_searchIS3_S5_PtSB_SC_NS1_21lower_bound_search_opENS8_6detail16wrapped_functionI11custom_lessbEEEE10hipError_tPvRmT1_T2_T3_mmT4_T5_P12ihipStream_tbEUlRKtE_EESK_SO_SP_mSQ_ST_bEUlT_E_NS1_11comp_targetILNS1_3genE10ELNS1_11target_archE1200ELNS1_3gpuE4ELNS1_3repE0EEENS1_30default_config_static_selectorELNS0_4arch9wavefront6targetE0EEEvSN_
		.amdhsa_group_segment_fixed_size 0
		.amdhsa_private_segment_fixed_size 0
		.amdhsa_kernarg_size 56
		.amdhsa_user_sgpr_count 15
		.amdhsa_user_sgpr_dispatch_ptr 0
		.amdhsa_user_sgpr_queue_ptr 0
		.amdhsa_user_sgpr_kernarg_segment_ptr 1
		.amdhsa_user_sgpr_dispatch_id 0
		.amdhsa_user_sgpr_private_segment_size 0
		.amdhsa_wavefront_size32 1
		.amdhsa_uses_dynamic_stack 0
		.amdhsa_enable_private_segment 0
		.amdhsa_system_sgpr_workgroup_id_x 1
		.amdhsa_system_sgpr_workgroup_id_y 0
		.amdhsa_system_sgpr_workgroup_id_z 0
		.amdhsa_system_sgpr_workgroup_info 0
		.amdhsa_system_vgpr_workitem_id 0
		.amdhsa_next_free_vgpr 1
		.amdhsa_next_free_sgpr 1
		.amdhsa_reserve_vcc 0
		.amdhsa_float_round_mode_32 0
		.amdhsa_float_round_mode_16_64 0
		.amdhsa_float_denorm_mode_32 3
		.amdhsa_float_denorm_mode_16_64 3
		.amdhsa_dx10_clamp 1
		.amdhsa_ieee_mode 1
		.amdhsa_fp16_overflow 0
		.amdhsa_workgroup_processor_mode 1
		.amdhsa_memory_ordered 1
		.amdhsa_forward_progress 0
		.amdhsa_shared_vgpr_count 0
		.amdhsa_exception_fp_ieee_invalid_op 0
		.amdhsa_exception_fp_denorm_src 0
		.amdhsa_exception_fp_ieee_div_zero 0
		.amdhsa_exception_fp_ieee_overflow 0
		.amdhsa_exception_fp_ieee_underflow 0
		.amdhsa_exception_fp_ieee_inexact 0
		.amdhsa_exception_int_div_zero 0
	.end_amdhsa_kernel
	.section	.text._ZN7rocprim17ROCPRIM_400000_NS6detail17trampoline_kernelINS0_14default_configENS1_27lower_bound_config_selectorItlEEZNS1_14transform_implILb0ES3_S5_N6thrust23THRUST_200600_302600_NS17counting_iteratorItNS8_11use_defaultESA_SA_EEPlZNS1_13binary_searchIS3_S5_PtSB_SC_NS1_21lower_bound_search_opENS8_6detail16wrapped_functionI11custom_lessbEEEE10hipError_tPvRmT1_T2_T3_mmT4_T5_P12ihipStream_tbEUlRKtE_EESK_SO_SP_mSQ_ST_bEUlT_E_NS1_11comp_targetILNS1_3genE10ELNS1_11target_archE1200ELNS1_3gpuE4ELNS1_3repE0EEENS1_30default_config_static_selectorELNS0_4arch9wavefront6targetE0EEEvSN_,"axG",@progbits,_ZN7rocprim17ROCPRIM_400000_NS6detail17trampoline_kernelINS0_14default_configENS1_27lower_bound_config_selectorItlEEZNS1_14transform_implILb0ES3_S5_N6thrust23THRUST_200600_302600_NS17counting_iteratorItNS8_11use_defaultESA_SA_EEPlZNS1_13binary_searchIS3_S5_PtSB_SC_NS1_21lower_bound_search_opENS8_6detail16wrapped_functionI11custom_lessbEEEE10hipError_tPvRmT1_T2_T3_mmT4_T5_P12ihipStream_tbEUlRKtE_EESK_SO_SP_mSQ_ST_bEUlT_E_NS1_11comp_targetILNS1_3genE10ELNS1_11target_archE1200ELNS1_3gpuE4ELNS1_3repE0EEENS1_30default_config_static_selectorELNS0_4arch9wavefront6targetE0EEEvSN_,comdat
.Lfunc_end53:
	.size	_ZN7rocprim17ROCPRIM_400000_NS6detail17trampoline_kernelINS0_14default_configENS1_27lower_bound_config_selectorItlEEZNS1_14transform_implILb0ES3_S5_N6thrust23THRUST_200600_302600_NS17counting_iteratorItNS8_11use_defaultESA_SA_EEPlZNS1_13binary_searchIS3_S5_PtSB_SC_NS1_21lower_bound_search_opENS8_6detail16wrapped_functionI11custom_lessbEEEE10hipError_tPvRmT1_T2_T3_mmT4_T5_P12ihipStream_tbEUlRKtE_EESK_SO_SP_mSQ_ST_bEUlT_E_NS1_11comp_targetILNS1_3genE10ELNS1_11target_archE1200ELNS1_3gpuE4ELNS1_3repE0EEENS1_30default_config_static_selectorELNS0_4arch9wavefront6targetE0EEEvSN_, .Lfunc_end53-_ZN7rocprim17ROCPRIM_400000_NS6detail17trampoline_kernelINS0_14default_configENS1_27lower_bound_config_selectorItlEEZNS1_14transform_implILb0ES3_S5_N6thrust23THRUST_200600_302600_NS17counting_iteratorItNS8_11use_defaultESA_SA_EEPlZNS1_13binary_searchIS3_S5_PtSB_SC_NS1_21lower_bound_search_opENS8_6detail16wrapped_functionI11custom_lessbEEEE10hipError_tPvRmT1_T2_T3_mmT4_T5_P12ihipStream_tbEUlRKtE_EESK_SO_SP_mSQ_ST_bEUlT_E_NS1_11comp_targetILNS1_3genE10ELNS1_11target_archE1200ELNS1_3gpuE4ELNS1_3repE0EEENS1_30default_config_static_selectorELNS0_4arch9wavefront6targetE0EEEvSN_
                                        ; -- End function
	.section	.AMDGPU.csdata,"",@progbits
; Kernel info:
; codeLenInByte = 0
; NumSgprs: 0
; NumVgprs: 0
; ScratchSize: 0
; MemoryBound: 0
; FloatMode: 240
; IeeeMode: 1
; LDSByteSize: 0 bytes/workgroup (compile time only)
; SGPRBlocks: 0
; VGPRBlocks: 0
; NumSGPRsForWavesPerEU: 1
; NumVGPRsForWavesPerEU: 1
; Occupancy: 16
; WaveLimiterHint : 0
; COMPUTE_PGM_RSRC2:SCRATCH_EN: 0
; COMPUTE_PGM_RSRC2:USER_SGPR: 15
; COMPUTE_PGM_RSRC2:TRAP_HANDLER: 0
; COMPUTE_PGM_RSRC2:TGID_X_EN: 1
; COMPUTE_PGM_RSRC2:TGID_Y_EN: 0
; COMPUTE_PGM_RSRC2:TGID_Z_EN: 0
; COMPUTE_PGM_RSRC2:TIDIG_COMP_CNT: 0
	.section	.text._ZN7rocprim17ROCPRIM_400000_NS6detail17trampoline_kernelINS0_14default_configENS1_27lower_bound_config_selectorItlEEZNS1_14transform_implILb0ES3_S5_N6thrust23THRUST_200600_302600_NS17counting_iteratorItNS8_11use_defaultESA_SA_EEPlZNS1_13binary_searchIS3_S5_PtSB_SC_NS1_21lower_bound_search_opENS8_6detail16wrapped_functionI11custom_lessbEEEE10hipError_tPvRmT1_T2_T3_mmT4_T5_P12ihipStream_tbEUlRKtE_EESK_SO_SP_mSQ_ST_bEUlT_E_NS1_11comp_targetILNS1_3genE9ELNS1_11target_archE1100ELNS1_3gpuE3ELNS1_3repE0EEENS1_30default_config_static_selectorELNS0_4arch9wavefront6targetE0EEEvSN_,"axG",@progbits,_ZN7rocprim17ROCPRIM_400000_NS6detail17trampoline_kernelINS0_14default_configENS1_27lower_bound_config_selectorItlEEZNS1_14transform_implILb0ES3_S5_N6thrust23THRUST_200600_302600_NS17counting_iteratorItNS8_11use_defaultESA_SA_EEPlZNS1_13binary_searchIS3_S5_PtSB_SC_NS1_21lower_bound_search_opENS8_6detail16wrapped_functionI11custom_lessbEEEE10hipError_tPvRmT1_T2_T3_mmT4_T5_P12ihipStream_tbEUlRKtE_EESK_SO_SP_mSQ_ST_bEUlT_E_NS1_11comp_targetILNS1_3genE9ELNS1_11target_archE1100ELNS1_3gpuE3ELNS1_3repE0EEENS1_30default_config_static_selectorELNS0_4arch9wavefront6targetE0EEEvSN_,comdat
	.protected	_ZN7rocprim17ROCPRIM_400000_NS6detail17trampoline_kernelINS0_14default_configENS1_27lower_bound_config_selectorItlEEZNS1_14transform_implILb0ES3_S5_N6thrust23THRUST_200600_302600_NS17counting_iteratorItNS8_11use_defaultESA_SA_EEPlZNS1_13binary_searchIS3_S5_PtSB_SC_NS1_21lower_bound_search_opENS8_6detail16wrapped_functionI11custom_lessbEEEE10hipError_tPvRmT1_T2_T3_mmT4_T5_P12ihipStream_tbEUlRKtE_EESK_SO_SP_mSQ_ST_bEUlT_E_NS1_11comp_targetILNS1_3genE9ELNS1_11target_archE1100ELNS1_3gpuE3ELNS1_3repE0EEENS1_30default_config_static_selectorELNS0_4arch9wavefront6targetE0EEEvSN_ ; -- Begin function _ZN7rocprim17ROCPRIM_400000_NS6detail17trampoline_kernelINS0_14default_configENS1_27lower_bound_config_selectorItlEEZNS1_14transform_implILb0ES3_S5_N6thrust23THRUST_200600_302600_NS17counting_iteratorItNS8_11use_defaultESA_SA_EEPlZNS1_13binary_searchIS3_S5_PtSB_SC_NS1_21lower_bound_search_opENS8_6detail16wrapped_functionI11custom_lessbEEEE10hipError_tPvRmT1_T2_T3_mmT4_T5_P12ihipStream_tbEUlRKtE_EESK_SO_SP_mSQ_ST_bEUlT_E_NS1_11comp_targetILNS1_3genE9ELNS1_11target_archE1100ELNS1_3gpuE3ELNS1_3repE0EEENS1_30default_config_static_selectorELNS0_4arch9wavefront6targetE0EEEvSN_
	.globl	_ZN7rocprim17ROCPRIM_400000_NS6detail17trampoline_kernelINS0_14default_configENS1_27lower_bound_config_selectorItlEEZNS1_14transform_implILb0ES3_S5_N6thrust23THRUST_200600_302600_NS17counting_iteratorItNS8_11use_defaultESA_SA_EEPlZNS1_13binary_searchIS3_S5_PtSB_SC_NS1_21lower_bound_search_opENS8_6detail16wrapped_functionI11custom_lessbEEEE10hipError_tPvRmT1_T2_T3_mmT4_T5_P12ihipStream_tbEUlRKtE_EESK_SO_SP_mSQ_ST_bEUlT_E_NS1_11comp_targetILNS1_3genE9ELNS1_11target_archE1100ELNS1_3gpuE3ELNS1_3repE0EEENS1_30default_config_static_selectorELNS0_4arch9wavefront6targetE0EEEvSN_
	.p2align	8
	.type	_ZN7rocprim17ROCPRIM_400000_NS6detail17trampoline_kernelINS0_14default_configENS1_27lower_bound_config_selectorItlEEZNS1_14transform_implILb0ES3_S5_N6thrust23THRUST_200600_302600_NS17counting_iteratorItNS8_11use_defaultESA_SA_EEPlZNS1_13binary_searchIS3_S5_PtSB_SC_NS1_21lower_bound_search_opENS8_6detail16wrapped_functionI11custom_lessbEEEE10hipError_tPvRmT1_T2_T3_mmT4_T5_P12ihipStream_tbEUlRKtE_EESK_SO_SP_mSQ_ST_bEUlT_E_NS1_11comp_targetILNS1_3genE9ELNS1_11target_archE1100ELNS1_3gpuE3ELNS1_3repE0EEENS1_30default_config_static_selectorELNS0_4arch9wavefront6targetE0EEEvSN_,@function
_ZN7rocprim17ROCPRIM_400000_NS6detail17trampoline_kernelINS0_14default_configENS1_27lower_bound_config_selectorItlEEZNS1_14transform_implILb0ES3_S5_N6thrust23THRUST_200600_302600_NS17counting_iteratorItNS8_11use_defaultESA_SA_EEPlZNS1_13binary_searchIS3_S5_PtSB_SC_NS1_21lower_bound_search_opENS8_6detail16wrapped_functionI11custom_lessbEEEE10hipError_tPvRmT1_T2_T3_mmT4_T5_P12ihipStream_tbEUlRKtE_EESK_SO_SP_mSQ_ST_bEUlT_E_NS1_11comp_targetILNS1_3genE9ELNS1_11target_archE1100ELNS1_3gpuE3ELNS1_3repE0EEENS1_30default_config_static_selectorELNS0_4arch9wavefront6targetE0EEEvSN_: ; @_ZN7rocprim17ROCPRIM_400000_NS6detail17trampoline_kernelINS0_14default_configENS1_27lower_bound_config_selectorItlEEZNS1_14transform_implILb0ES3_S5_N6thrust23THRUST_200600_302600_NS17counting_iteratorItNS8_11use_defaultESA_SA_EEPlZNS1_13binary_searchIS3_S5_PtSB_SC_NS1_21lower_bound_search_opENS8_6detail16wrapped_functionI11custom_lessbEEEE10hipError_tPvRmT1_T2_T3_mmT4_T5_P12ihipStream_tbEUlRKtE_EESK_SO_SP_mSQ_ST_bEUlT_E_NS1_11comp_targetILNS1_3genE9ELNS1_11target_archE1100ELNS1_3gpuE3ELNS1_3repE0EEENS1_30default_config_static_selectorELNS0_4arch9wavefront6targetE0EEEvSN_
; %bb.0:
	s_clause 0x4
	s_load_b64 s[2:3], s[0:1], 0x8
	s_load_b32 s6, s[0:1], 0x0
	s_load_b128 s[16:19], s[0:1], 0x18
	s_load_b32 s7, s[0:1], 0x38
	s_load_b64 s[20:21], s[0:1], 0x28
	s_waitcnt lgkmcnt(0)
	s_lshl_b64 s[4:5], s[2:3], 3
	s_add_i32 s2, s6, s2
	s_add_u32 s22, s16, s4
	s_addc_u32 s23, s17, s5
	s_add_i32 s7, s7, -1
	s_lshl_b32 s16, s15, 10
	s_mov_b32 s17, 0
	s_cmp_lg_u32 s15, s7
	s_mov_b32 s3, -1
	s_cbranch_scc0 .LBB54_51
; %bb.1:
	v_or_b32_e32 v3, s16, v0
	v_mov_b32_e32 v1, 0
	v_mov_b32_e32 v2, 0
	s_cmp_lg_u64 s[20:21], 0
	s_cselect_b32 s3, -1, 0
	v_add_nc_u16 v33, s2, v3
	s_cmp_eq_u64 s[20:21], 0
	s_cbranch_scc1 .LBB54_5
; %bb.2:
	v_mov_b32_e32 v1, 0
	v_dual_mov_b32 v2, 0 :: v_dual_mov_b32 v3, s20
	v_mov_b32_e32 v4, s21
	s_mov_b32 s4, 0
	.p2align	6
.LBB54_3:                               ; =>This Inner Loop Header: Depth=1
	s_delay_alu instid0(VALU_DEP_2) | instskip(NEXT) | instid1(VALU_DEP_2)
	v_sub_co_u32 v5, vcc_lo, v3, v1
	v_sub_co_ci_u32_e32 v6, vcc_lo, v4, v2, vcc_lo
	s_delay_alu instid0(VALU_DEP_1) | instskip(SKIP_1) | instid1(VALU_DEP_2)
	v_lshrrev_b64 v[7:8], 1, v[5:6]
	v_lshrrev_b64 v[5:6], 6, v[5:6]
	v_add_co_u32 v7, vcc_lo, v7, v1
	s_delay_alu instid0(VALU_DEP_3) | instskip(NEXT) | instid1(VALU_DEP_2)
	v_add_co_ci_u32_e32 v8, vcc_lo, v8, v2, vcc_lo
	v_add_co_u32 v5, vcc_lo, v7, v5
	s_delay_alu instid0(VALU_DEP_2) | instskip(NEXT) | instid1(VALU_DEP_1)
	v_add_co_ci_u32_e32 v6, vcc_lo, v8, v6, vcc_lo
	v_lshlrev_b64 v[7:8], 1, v[5:6]
	s_delay_alu instid0(VALU_DEP_1) | instskip(NEXT) | instid1(VALU_DEP_2)
	v_add_co_u32 v7, vcc_lo, s18, v7
	v_add_co_ci_u32_e32 v8, vcc_lo, s19, v8, vcc_lo
	global_load_u16 v7, v[7:8], off
	v_add_co_u32 v8, vcc_lo, v5, 1
	v_add_co_ci_u32_e32 v9, vcc_lo, 0, v6, vcc_lo
	s_waitcnt vmcnt(0)
	v_cmp_lt_u16_e32 vcc_lo, v7, v33
	v_dual_cndmask_b32 v4, v6, v4 :: v_dual_cndmask_b32 v3, v5, v3
	s_delay_alu instid0(VALU_DEP_3) | instskip(NEXT) | instid1(VALU_DEP_1)
	v_dual_cndmask_b32 v2, v2, v9 :: v_dual_cndmask_b32 v1, v1, v8
	v_cmp_ge_u64_e32 vcc_lo, v[1:2], v[3:4]
	s_or_b32 s4, vcc_lo, s4
	s_delay_alu instid0(SALU_CYCLE_1)
	s_and_not1_b32 exec_lo, exec_lo, s4
	s_cbranch_execnz .LBB54_3
; %bb.4:
	s_or_b32 exec_lo, exec_lo, s4
.LBB54_5:
	v_cndmask_b32_e64 v34, 0, 1, s3
	s_and_not1_b32 vcc_lo, exec_lo, s3
	s_cbranch_vccnz .LBB54_52
; %bb.6:
	v_mov_b32_e32 v3, 0
	v_dual_mov_b32 v4, 0 :: v_dual_mov_b32 v5, s20
	v_add_nc_u16 v7, v33, 64
	v_mov_b32_e32 v6, s21
	s_mov_b32 s3, 0
	.p2align	6
.LBB54_7:                               ; =>This Inner Loop Header: Depth=1
	s_delay_alu instid0(VALU_DEP_3) | instskip(NEXT) | instid1(VALU_DEP_2)
	v_sub_co_u32 v8, vcc_lo, v5, v3
	v_sub_co_ci_u32_e32 v9, vcc_lo, v6, v4, vcc_lo
	s_delay_alu instid0(VALU_DEP_1) | instskip(SKIP_1) | instid1(VALU_DEP_2)
	v_lshrrev_b64 v[10:11], 1, v[8:9]
	v_lshrrev_b64 v[8:9], 6, v[8:9]
	v_add_co_u32 v10, vcc_lo, v10, v3
	s_delay_alu instid0(VALU_DEP_3) | instskip(NEXT) | instid1(VALU_DEP_2)
	v_add_co_ci_u32_e32 v11, vcc_lo, v11, v4, vcc_lo
	v_add_co_u32 v8, vcc_lo, v10, v8
	s_delay_alu instid0(VALU_DEP_2) | instskip(NEXT) | instid1(VALU_DEP_1)
	v_add_co_ci_u32_e32 v9, vcc_lo, v11, v9, vcc_lo
	v_lshlrev_b64 v[10:11], 1, v[8:9]
	s_delay_alu instid0(VALU_DEP_1) | instskip(NEXT) | instid1(VALU_DEP_2)
	v_add_co_u32 v10, vcc_lo, s18, v10
	v_add_co_ci_u32_e32 v11, vcc_lo, s19, v11, vcc_lo
	global_load_u16 v10, v[10:11], off
	v_add_co_u32 v11, vcc_lo, v8, 1
	v_add_co_ci_u32_e32 v12, vcc_lo, 0, v9, vcc_lo
	s_waitcnt vmcnt(0)
	v_cmp_lt_u16_e32 vcc_lo, v10, v7
	v_dual_cndmask_b32 v6, v9, v6 :: v_dual_cndmask_b32 v5, v8, v5
	s_delay_alu instid0(VALU_DEP_3) | instskip(NEXT) | instid1(VALU_DEP_1)
	v_dual_cndmask_b32 v4, v4, v12 :: v_dual_cndmask_b32 v3, v3, v11
	v_cmp_ge_u64_e32 vcc_lo, v[3:4], v[5:6]
	s_or_b32 s3, vcc_lo, s3
	s_delay_alu instid0(SALU_CYCLE_1)
	s_and_not1_b32 exec_lo, exec_lo, s3
	s_cbranch_execnz .LBB54_7
; %bb.8:
	s_or_b32 exec_lo, exec_lo, s3
	v_cmp_ne_u32_e32 vcc_lo, 1, v34
	s_cbranch_vccnz .LBB54_53
.LBB54_9:
	v_mov_b32_e32 v5, 0
	v_dual_mov_b32 v6, 0 :: v_dual_mov_b32 v7, s20
	v_add_nc_u16 v9, v33, 0x80
	v_mov_b32_e32 v8, s21
	s_mov_b32 s3, 0
	.p2align	6
.LBB54_10:                              ; =>This Inner Loop Header: Depth=1
	s_delay_alu instid0(VALU_DEP_3) | instskip(NEXT) | instid1(VALU_DEP_2)
	v_sub_co_u32 v10, vcc_lo, v7, v5
	v_sub_co_ci_u32_e32 v11, vcc_lo, v8, v6, vcc_lo
	s_delay_alu instid0(VALU_DEP_1) | instskip(SKIP_1) | instid1(VALU_DEP_2)
	v_lshrrev_b64 v[12:13], 1, v[10:11]
	v_lshrrev_b64 v[10:11], 6, v[10:11]
	v_add_co_u32 v12, vcc_lo, v12, v5
	s_delay_alu instid0(VALU_DEP_3) | instskip(NEXT) | instid1(VALU_DEP_2)
	v_add_co_ci_u32_e32 v13, vcc_lo, v13, v6, vcc_lo
	v_add_co_u32 v10, vcc_lo, v12, v10
	s_delay_alu instid0(VALU_DEP_2) | instskip(NEXT) | instid1(VALU_DEP_1)
	v_add_co_ci_u32_e32 v11, vcc_lo, v13, v11, vcc_lo
	v_lshlrev_b64 v[12:13], 1, v[10:11]
	s_delay_alu instid0(VALU_DEP_1) | instskip(NEXT) | instid1(VALU_DEP_2)
	v_add_co_u32 v12, vcc_lo, s18, v12
	v_add_co_ci_u32_e32 v13, vcc_lo, s19, v13, vcc_lo
	global_load_u16 v12, v[12:13], off
	v_add_co_u32 v13, vcc_lo, v10, 1
	v_add_co_ci_u32_e32 v14, vcc_lo, 0, v11, vcc_lo
	s_waitcnt vmcnt(0)
	v_cmp_lt_u16_e32 vcc_lo, v12, v9
	v_dual_cndmask_b32 v8, v11, v8 :: v_dual_cndmask_b32 v7, v10, v7
	s_delay_alu instid0(VALU_DEP_3) | instskip(NEXT) | instid1(VALU_DEP_1)
	v_dual_cndmask_b32 v6, v6, v14 :: v_dual_cndmask_b32 v5, v5, v13
	v_cmp_ge_u64_e32 vcc_lo, v[5:6], v[7:8]
	s_or_b32 s3, vcc_lo, s3
	s_delay_alu instid0(SALU_CYCLE_1)
	s_and_not1_b32 exec_lo, exec_lo, s3
	s_cbranch_execnz .LBB54_10
; %bb.11:
	s_or_b32 exec_lo, exec_lo, s3
	v_cmp_ne_u32_e32 vcc_lo, 1, v34
	s_cbranch_vccnz .LBB54_54
.LBB54_12:
	v_mov_b32_e32 v7, 0
	v_dual_mov_b32 v8, 0 :: v_dual_mov_b32 v9, s20
	v_add_nc_u16 v11, v33, 0xc0
	v_mov_b32_e32 v10, s21
	s_mov_b32 s3, 0
	.p2align	6
.LBB54_13:                              ; =>This Inner Loop Header: Depth=1
	s_delay_alu instid0(VALU_DEP_3) | instskip(NEXT) | instid1(VALU_DEP_2)
	v_sub_co_u32 v12, vcc_lo, v9, v7
	v_sub_co_ci_u32_e32 v13, vcc_lo, v10, v8, vcc_lo
	s_delay_alu instid0(VALU_DEP_1) | instskip(SKIP_1) | instid1(VALU_DEP_2)
	v_lshrrev_b64 v[14:15], 1, v[12:13]
	v_lshrrev_b64 v[12:13], 6, v[12:13]
	v_add_co_u32 v14, vcc_lo, v14, v7
	s_delay_alu instid0(VALU_DEP_3) | instskip(NEXT) | instid1(VALU_DEP_2)
	v_add_co_ci_u32_e32 v15, vcc_lo, v15, v8, vcc_lo
	v_add_co_u32 v12, vcc_lo, v14, v12
	s_delay_alu instid0(VALU_DEP_2) | instskip(NEXT) | instid1(VALU_DEP_1)
	v_add_co_ci_u32_e32 v13, vcc_lo, v15, v13, vcc_lo
	v_lshlrev_b64 v[14:15], 1, v[12:13]
	s_delay_alu instid0(VALU_DEP_1) | instskip(NEXT) | instid1(VALU_DEP_2)
	v_add_co_u32 v14, vcc_lo, s18, v14
	v_add_co_ci_u32_e32 v15, vcc_lo, s19, v15, vcc_lo
	global_load_u16 v14, v[14:15], off
	v_add_co_u32 v15, vcc_lo, v12, 1
	v_add_co_ci_u32_e32 v16, vcc_lo, 0, v13, vcc_lo
	s_waitcnt vmcnt(0)
	v_cmp_lt_u16_e32 vcc_lo, v14, v11
	v_dual_cndmask_b32 v10, v13, v10 :: v_dual_cndmask_b32 v9, v12, v9
	s_delay_alu instid0(VALU_DEP_3) | instskip(NEXT) | instid1(VALU_DEP_1)
	v_dual_cndmask_b32 v8, v8, v16 :: v_dual_cndmask_b32 v7, v7, v15
	v_cmp_ge_u64_e32 vcc_lo, v[7:8], v[9:10]
	s_or_b32 s3, vcc_lo, s3
	s_delay_alu instid0(SALU_CYCLE_1)
	s_and_not1_b32 exec_lo, exec_lo, s3
	s_cbranch_execnz .LBB54_13
; %bb.14:
	s_or_b32 exec_lo, exec_lo, s3
	v_cmp_ne_u32_e32 vcc_lo, 1, v34
	s_cbranch_vccnz .LBB54_55
.LBB54_15:
	v_mov_b32_e32 v9, 0
	v_dual_mov_b32 v10, 0 :: v_dual_mov_b32 v11, s20
	v_add_nc_u16 v13, v33, 0x100
	v_mov_b32_e32 v12, s21
	s_mov_b32 s3, 0
	.p2align	6
.LBB54_16:                              ; =>This Inner Loop Header: Depth=1
	s_delay_alu instid0(VALU_DEP_3) | instskip(NEXT) | instid1(VALU_DEP_2)
	v_sub_co_u32 v14, vcc_lo, v11, v9
	v_sub_co_ci_u32_e32 v15, vcc_lo, v12, v10, vcc_lo
	s_delay_alu instid0(VALU_DEP_1) | instskip(SKIP_1) | instid1(VALU_DEP_2)
	v_lshrrev_b64 v[16:17], 1, v[14:15]
	v_lshrrev_b64 v[14:15], 6, v[14:15]
	v_add_co_u32 v16, vcc_lo, v16, v9
	s_delay_alu instid0(VALU_DEP_3) | instskip(NEXT) | instid1(VALU_DEP_2)
	v_add_co_ci_u32_e32 v17, vcc_lo, v17, v10, vcc_lo
	v_add_co_u32 v14, vcc_lo, v16, v14
	s_delay_alu instid0(VALU_DEP_2) | instskip(NEXT) | instid1(VALU_DEP_1)
	v_add_co_ci_u32_e32 v15, vcc_lo, v17, v15, vcc_lo
	v_lshlrev_b64 v[16:17], 1, v[14:15]
	s_delay_alu instid0(VALU_DEP_1) | instskip(NEXT) | instid1(VALU_DEP_2)
	v_add_co_u32 v16, vcc_lo, s18, v16
	v_add_co_ci_u32_e32 v17, vcc_lo, s19, v17, vcc_lo
	global_load_u16 v16, v[16:17], off
	v_add_co_u32 v17, vcc_lo, v14, 1
	v_add_co_ci_u32_e32 v18, vcc_lo, 0, v15, vcc_lo
	s_waitcnt vmcnt(0)
	v_cmp_lt_u16_e32 vcc_lo, v16, v13
	v_dual_cndmask_b32 v12, v15, v12 :: v_dual_cndmask_b32 v11, v14, v11
	s_delay_alu instid0(VALU_DEP_3) | instskip(NEXT) | instid1(VALU_DEP_1)
	v_dual_cndmask_b32 v10, v10, v18 :: v_dual_cndmask_b32 v9, v9, v17
	v_cmp_ge_u64_e32 vcc_lo, v[9:10], v[11:12]
	s_or_b32 s3, vcc_lo, s3
	s_delay_alu instid0(SALU_CYCLE_1)
	s_and_not1_b32 exec_lo, exec_lo, s3
	s_cbranch_execnz .LBB54_16
; %bb.17:
	s_or_b32 exec_lo, exec_lo, s3
	v_cmp_ne_u32_e32 vcc_lo, 1, v34
	s_cbranch_vccnz .LBB54_56
.LBB54_18:
	v_mov_b32_e32 v11, 0
	v_dual_mov_b32 v12, 0 :: v_dual_mov_b32 v13, s20
	v_add_nc_u16 v15, v33, 0x140
	v_mov_b32_e32 v14, s21
	s_mov_b32 s3, 0
	.p2align	6
.LBB54_19:                              ; =>This Inner Loop Header: Depth=1
	s_delay_alu instid0(VALU_DEP_3) | instskip(NEXT) | instid1(VALU_DEP_2)
	v_sub_co_u32 v16, vcc_lo, v13, v11
	v_sub_co_ci_u32_e32 v17, vcc_lo, v14, v12, vcc_lo
	s_delay_alu instid0(VALU_DEP_1) | instskip(SKIP_1) | instid1(VALU_DEP_2)
	v_lshrrev_b64 v[18:19], 1, v[16:17]
	v_lshrrev_b64 v[16:17], 6, v[16:17]
	v_add_co_u32 v18, vcc_lo, v18, v11
	s_delay_alu instid0(VALU_DEP_3) | instskip(NEXT) | instid1(VALU_DEP_2)
	v_add_co_ci_u32_e32 v19, vcc_lo, v19, v12, vcc_lo
	v_add_co_u32 v16, vcc_lo, v18, v16
	s_delay_alu instid0(VALU_DEP_2) | instskip(NEXT) | instid1(VALU_DEP_1)
	v_add_co_ci_u32_e32 v17, vcc_lo, v19, v17, vcc_lo
	v_lshlrev_b64 v[18:19], 1, v[16:17]
	s_delay_alu instid0(VALU_DEP_1) | instskip(NEXT) | instid1(VALU_DEP_2)
	v_add_co_u32 v18, vcc_lo, s18, v18
	v_add_co_ci_u32_e32 v19, vcc_lo, s19, v19, vcc_lo
	global_load_u16 v18, v[18:19], off
	v_add_co_u32 v19, vcc_lo, v16, 1
	v_add_co_ci_u32_e32 v20, vcc_lo, 0, v17, vcc_lo
	s_waitcnt vmcnt(0)
	v_cmp_lt_u16_e32 vcc_lo, v18, v15
	v_dual_cndmask_b32 v14, v17, v14 :: v_dual_cndmask_b32 v13, v16, v13
	s_delay_alu instid0(VALU_DEP_3) | instskip(NEXT) | instid1(VALU_DEP_1)
	v_dual_cndmask_b32 v12, v12, v20 :: v_dual_cndmask_b32 v11, v11, v19
	v_cmp_ge_u64_e32 vcc_lo, v[11:12], v[13:14]
	s_or_b32 s3, vcc_lo, s3
	s_delay_alu instid0(SALU_CYCLE_1)
	s_and_not1_b32 exec_lo, exec_lo, s3
	s_cbranch_execnz .LBB54_19
; %bb.20:
	s_or_b32 exec_lo, exec_lo, s3
	v_cmp_ne_u32_e32 vcc_lo, 1, v34
	s_cbranch_vccnz .LBB54_57
.LBB54_21:
	v_mov_b32_e32 v13, 0
	v_dual_mov_b32 v14, 0 :: v_dual_mov_b32 v15, s20
	v_add_nc_u16 v17, v33, 0x180
	v_mov_b32_e32 v16, s21
	s_mov_b32 s3, 0
	.p2align	6
.LBB54_22:                              ; =>This Inner Loop Header: Depth=1
	s_delay_alu instid0(VALU_DEP_3) | instskip(NEXT) | instid1(VALU_DEP_2)
	v_sub_co_u32 v18, vcc_lo, v15, v13
	v_sub_co_ci_u32_e32 v19, vcc_lo, v16, v14, vcc_lo
	s_delay_alu instid0(VALU_DEP_1) | instskip(SKIP_1) | instid1(VALU_DEP_2)
	v_lshrrev_b64 v[20:21], 1, v[18:19]
	v_lshrrev_b64 v[18:19], 6, v[18:19]
	v_add_co_u32 v20, vcc_lo, v20, v13
	s_delay_alu instid0(VALU_DEP_3) | instskip(NEXT) | instid1(VALU_DEP_2)
	v_add_co_ci_u32_e32 v21, vcc_lo, v21, v14, vcc_lo
	v_add_co_u32 v18, vcc_lo, v20, v18
	s_delay_alu instid0(VALU_DEP_2) | instskip(NEXT) | instid1(VALU_DEP_1)
	v_add_co_ci_u32_e32 v19, vcc_lo, v21, v19, vcc_lo
	v_lshlrev_b64 v[20:21], 1, v[18:19]
	s_delay_alu instid0(VALU_DEP_1) | instskip(NEXT) | instid1(VALU_DEP_2)
	v_add_co_u32 v20, vcc_lo, s18, v20
	v_add_co_ci_u32_e32 v21, vcc_lo, s19, v21, vcc_lo
	global_load_u16 v20, v[20:21], off
	v_add_co_u32 v21, vcc_lo, v18, 1
	v_add_co_ci_u32_e32 v22, vcc_lo, 0, v19, vcc_lo
	s_waitcnt vmcnt(0)
	v_cmp_lt_u16_e32 vcc_lo, v20, v17
	v_dual_cndmask_b32 v16, v19, v16 :: v_dual_cndmask_b32 v15, v18, v15
	s_delay_alu instid0(VALU_DEP_3) | instskip(NEXT) | instid1(VALU_DEP_1)
	v_dual_cndmask_b32 v14, v14, v22 :: v_dual_cndmask_b32 v13, v13, v21
	v_cmp_ge_u64_e32 vcc_lo, v[13:14], v[15:16]
	s_or_b32 s3, vcc_lo, s3
	s_delay_alu instid0(SALU_CYCLE_1)
	s_and_not1_b32 exec_lo, exec_lo, s3
	s_cbranch_execnz .LBB54_22
; %bb.23:
	s_or_b32 exec_lo, exec_lo, s3
	v_cmp_ne_u32_e32 vcc_lo, 1, v34
	s_cbranch_vccnz .LBB54_58
.LBB54_24:
	v_mov_b32_e32 v15, 0
	v_dual_mov_b32 v16, 0 :: v_dual_mov_b32 v17, s20
	v_add_nc_u16 v19, v33, 0x1c0
	v_mov_b32_e32 v18, s21
	s_mov_b32 s3, 0
	.p2align	6
.LBB54_25:                              ; =>This Inner Loop Header: Depth=1
	s_delay_alu instid0(VALU_DEP_3) | instskip(NEXT) | instid1(VALU_DEP_2)
	v_sub_co_u32 v20, vcc_lo, v17, v15
	v_sub_co_ci_u32_e32 v21, vcc_lo, v18, v16, vcc_lo
	s_delay_alu instid0(VALU_DEP_1) | instskip(SKIP_1) | instid1(VALU_DEP_2)
	v_lshrrev_b64 v[22:23], 1, v[20:21]
	v_lshrrev_b64 v[20:21], 6, v[20:21]
	v_add_co_u32 v22, vcc_lo, v22, v15
	s_delay_alu instid0(VALU_DEP_3) | instskip(NEXT) | instid1(VALU_DEP_2)
	v_add_co_ci_u32_e32 v23, vcc_lo, v23, v16, vcc_lo
	v_add_co_u32 v20, vcc_lo, v22, v20
	s_delay_alu instid0(VALU_DEP_2) | instskip(NEXT) | instid1(VALU_DEP_1)
	v_add_co_ci_u32_e32 v21, vcc_lo, v23, v21, vcc_lo
	v_lshlrev_b64 v[22:23], 1, v[20:21]
	s_delay_alu instid0(VALU_DEP_1) | instskip(NEXT) | instid1(VALU_DEP_2)
	v_add_co_u32 v22, vcc_lo, s18, v22
	v_add_co_ci_u32_e32 v23, vcc_lo, s19, v23, vcc_lo
	global_load_u16 v22, v[22:23], off
	v_add_co_u32 v23, vcc_lo, v20, 1
	v_add_co_ci_u32_e32 v24, vcc_lo, 0, v21, vcc_lo
	s_waitcnt vmcnt(0)
	v_cmp_lt_u16_e32 vcc_lo, v22, v19
	v_dual_cndmask_b32 v18, v21, v18 :: v_dual_cndmask_b32 v17, v20, v17
	s_delay_alu instid0(VALU_DEP_3) | instskip(NEXT) | instid1(VALU_DEP_1)
	v_dual_cndmask_b32 v16, v16, v24 :: v_dual_cndmask_b32 v15, v15, v23
	v_cmp_ge_u64_e32 vcc_lo, v[15:16], v[17:18]
	s_or_b32 s3, vcc_lo, s3
	s_delay_alu instid0(SALU_CYCLE_1)
	s_and_not1_b32 exec_lo, exec_lo, s3
	s_cbranch_execnz .LBB54_25
; %bb.26:
	s_or_b32 exec_lo, exec_lo, s3
	v_cmp_ne_u32_e32 vcc_lo, 1, v34
	s_cbranch_vccnz .LBB54_59
.LBB54_27:
	v_mov_b32_e32 v17, 0
	v_dual_mov_b32 v18, 0 :: v_dual_mov_b32 v19, s20
	v_add_nc_u16 v21, v33, 0x200
	v_mov_b32_e32 v20, s21
	s_mov_b32 s3, 0
	.p2align	6
.LBB54_28:                              ; =>This Inner Loop Header: Depth=1
	s_delay_alu instid0(VALU_DEP_3) | instskip(NEXT) | instid1(VALU_DEP_2)
	v_sub_co_u32 v22, vcc_lo, v19, v17
	v_sub_co_ci_u32_e32 v23, vcc_lo, v20, v18, vcc_lo
	s_delay_alu instid0(VALU_DEP_1) | instskip(SKIP_1) | instid1(VALU_DEP_2)
	v_lshrrev_b64 v[24:25], 1, v[22:23]
	v_lshrrev_b64 v[22:23], 6, v[22:23]
	v_add_co_u32 v24, vcc_lo, v24, v17
	s_delay_alu instid0(VALU_DEP_3) | instskip(NEXT) | instid1(VALU_DEP_2)
	v_add_co_ci_u32_e32 v25, vcc_lo, v25, v18, vcc_lo
	v_add_co_u32 v22, vcc_lo, v24, v22
	s_delay_alu instid0(VALU_DEP_2) | instskip(NEXT) | instid1(VALU_DEP_1)
	v_add_co_ci_u32_e32 v23, vcc_lo, v25, v23, vcc_lo
	v_lshlrev_b64 v[24:25], 1, v[22:23]
	s_delay_alu instid0(VALU_DEP_1) | instskip(NEXT) | instid1(VALU_DEP_2)
	v_add_co_u32 v24, vcc_lo, s18, v24
	v_add_co_ci_u32_e32 v25, vcc_lo, s19, v25, vcc_lo
	global_load_u16 v24, v[24:25], off
	v_add_co_u32 v25, vcc_lo, v22, 1
	v_add_co_ci_u32_e32 v26, vcc_lo, 0, v23, vcc_lo
	s_waitcnt vmcnt(0)
	v_cmp_lt_u16_e32 vcc_lo, v24, v21
	v_dual_cndmask_b32 v20, v23, v20 :: v_dual_cndmask_b32 v19, v22, v19
	s_delay_alu instid0(VALU_DEP_3) | instskip(NEXT) | instid1(VALU_DEP_1)
	v_dual_cndmask_b32 v18, v18, v26 :: v_dual_cndmask_b32 v17, v17, v25
	v_cmp_ge_u64_e32 vcc_lo, v[17:18], v[19:20]
	s_or_b32 s3, vcc_lo, s3
	s_delay_alu instid0(SALU_CYCLE_1)
	s_and_not1_b32 exec_lo, exec_lo, s3
	s_cbranch_execnz .LBB54_28
; %bb.29:
	s_or_b32 exec_lo, exec_lo, s3
	v_cmp_ne_u32_e32 vcc_lo, 1, v34
	s_cbranch_vccnz .LBB54_60
.LBB54_30:
	v_dual_mov_b32 v19, 0 :: v_dual_mov_b32 v22, s21
	v_add_nc_u16 v23, v33, 0x240
	v_dual_mov_b32 v20, 0 :: v_dual_mov_b32 v21, s20
	s_mov_b32 s3, 0
	.p2align	6
.LBB54_31:                              ; =>This Inner Loop Header: Depth=1
	s_delay_alu instid0(VALU_DEP_1) | instskip(NEXT) | instid1(VALU_DEP_2)
	v_sub_co_u32 v24, vcc_lo, v21, v19
	v_sub_co_ci_u32_e32 v25, vcc_lo, v22, v20, vcc_lo
	s_delay_alu instid0(VALU_DEP_1) | instskip(SKIP_1) | instid1(VALU_DEP_2)
	v_lshrrev_b64 v[26:27], 1, v[24:25]
	v_lshrrev_b64 v[24:25], 6, v[24:25]
	v_add_co_u32 v26, vcc_lo, v26, v19
	s_delay_alu instid0(VALU_DEP_3) | instskip(NEXT) | instid1(VALU_DEP_2)
	v_add_co_ci_u32_e32 v27, vcc_lo, v27, v20, vcc_lo
	v_add_co_u32 v24, vcc_lo, v26, v24
	s_delay_alu instid0(VALU_DEP_2) | instskip(NEXT) | instid1(VALU_DEP_1)
	v_add_co_ci_u32_e32 v25, vcc_lo, v27, v25, vcc_lo
	v_lshlrev_b64 v[26:27], 1, v[24:25]
	s_delay_alu instid0(VALU_DEP_1) | instskip(NEXT) | instid1(VALU_DEP_2)
	v_add_co_u32 v26, vcc_lo, s18, v26
	v_add_co_ci_u32_e32 v27, vcc_lo, s19, v27, vcc_lo
	global_load_u16 v26, v[26:27], off
	v_add_co_u32 v27, vcc_lo, v24, 1
	v_add_co_ci_u32_e32 v28, vcc_lo, 0, v25, vcc_lo
	s_waitcnt vmcnt(0)
	v_cmp_lt_u16_e32 vcc_lo, v26, v23
	v_dual_cndmask_b32 v22, v25, v22 :: v_dual_cndmask_b32 v21, v24, v21
	s_delay_alu instid0(VALU_DEP_3) | instskip(NEXT) | instid1(VALU_DEP_1)
	v_dual_cndmask_b32 v20, v20, v28 :: v_dual_cndmask_b32 v19, v19, v27
	v_cmp_ge_u64_e32 vcc_lo, v[19:20], v[21:22]
	s_or_b32 s3, vcc_lo, s3
	s_delay_alu instid0(SALU_CYCLE_1)
	s_and_not1_b32 exec_lo, exec_lo, s3
	s_cbranch_execnz .LBB54_31
; %bb.32:
	s_or_b32 exec_lo, exec_lo, s3
	v_cmp_ne_u32_e32 vcc_lo, 1, v34
	s_cbranch_vccnz .LBB54_61
.LBB54_33:
	v_dual_mov_b32 v21, 0 :: v_dual_mov_b32 v24, s21
	v_add_nc_u16 v25, v33, 0x280
	v_dual_mov_b32 v22, 0 :: v_dual_mov_b32 v23, s20
	s_mov_b32 s3, 0
	.p2align	6
.LBB54_34:                              ; =>This Inner Loop Header: Depth=1
	s_delay_alu instid0(VALU_DEP_1) | instskip(NEXT) | instid1(VALU_DEP_2)
	v_sub_co_u32 v26, vcc_lo, v23, v21
	v_sub_co_ci_u32_e32 v27, vcc_lo, v24, v22, vcc_lo
	s_delay_alu instid0(VALU_DEP_1) | instskip(SKIP_1) | instid1(VALU_DEP_2)
	v_lshrrev_b64 v[28:29], 1, v[26:27]
	v_lshrrev_b64 v[26:27], 6, v[26:27]
	v_add_co_u32 v28, vcc_lo, v28, v21
	s_delay_alu instid0(VALU_DEP_3) | instskip(NEXT) | instid1(VALU_DEP_2)
	v_add_co_ci_u32_e32 v29, vcc_lo, v29, v22, vcc_lo
	v_add_co_u32 v26, vcc_lo, v28, v26
	s_delay_alu instid0(VALU_DEP_2) | instskip(NEXT) | instid1(VALU_DEP_1)
	v_add_co_ci_u32_e32 v27, vcc_lo, v29, v27, vcc_lo
	v_lshlrev_b64 v[28:29], 1, v[26:27]
	s_delay_alu instid0(VALU_DEP_1) | instskip(NEXT) | instid1(VALU_DEP_2)
	v_add_co_u32 v28, vcc_lo, s18, v28
	v_add_co_ci_u32_e32 v29, vcc_lo, s19, v29, vcc_lo
	global_load_u16 v28, v[28:29], off
	v_add_co_u32 v29, vcc_lo, v26, 1
	v_add_co_ci_u32_e32 v30, vcc_lo, 0, v27, vcc_lo
	s_waitcnt vmcnt(0)
	v_cmp_lt_u16_e32 vcc_lo, v28, v25
	v_dual_cndmask_b32 v24, v27, v24 :: v_dual_cndmask_b32 v23, v26, v23
	s_delay_alu instid0(VALU_DEP_3) | instskip(NEXT) | instid1(VALU_DEP_1)
	v_dual_cndmask_b32 v22, v22, v30 :: v_dual_cndmask_b32 v21, v21, v29
	v_cmp_ge_u64_e32 vcc_lo, v[21:22], v[23:24]
	s_or_b32 s3, vcc_lo, s3
	s_delay_alu instid0(SALU_CYCLE_1)
	s_and_not1_b32 exec_lo, exec_lo, s3
	s_cbranch_execnz .LBB54_34
; %bb.35:
	s_or_b32 exec_lo, exec_lo, s3
	v_cmp_ne_u32_e32 vcc_lo, 1, v34
	s_cbranch_vccnz .LBB54_62
.LBB54_36:
	v_dual_mov_b32 v23, 0 :: v_dual_mov_b32 v26, s21
	v_add_nc_u16 v27, v33, 0x2c0
	v_dual_mov_b32 v24, 0 :: v_dual_mov_b32 v25, s20
	s_mov_b32 s3, 0
	.p2align	6
.LBB54_37:                              ; =>This Inner Loop Header: Depth=1
	s_delay_alu instid0(VALU_DEP_1) | instskip(NEXT) | instid1(VALU_DEP_2)
	v_sub_co_u32 v28, vcc_lo, v25, v23
	v_sub_co_ci_u32_e32 v29, vcc_lo, v26, v24, vcc_lo
	s_delay_alu instid0(VALU_DEP_1) | instskip(SKIP_1) | instid1(VALU_DEP_2)
	v_lshrrev_b64 v[30:31], 1, v[28:29]
	v_lshrrev_b64 v[28:29], 6, v[28:29]
	v_add_co_u32 v30, vcc_lo, v30, v23
	s_delay_alu instid0(VALU_DEP_3) | instskip(NEXT) | instid1(VALU_DEP_2)
	v_add_co_ci_u32_e32 v31, vcc_lo, v31, v24, vcc_lo
	v_add_co_u32 v28, vcc_lo, v30, v28
	s_delay_alu instid0(VALU_DEP_2) | instskip(NEXT) | instid1(VALU_DEP_1)
	v_add_co_ci_u32_e32 v29, vcc_lo, v31, v29, vcc_lo
	v_lshlrev_b64 v[30:31], 1, v[28:29]
	s_delay_alu instid0(VALU_DEP_1) | instskip(NEXT) | instid1(VALU_DEP_2)
	v_add_co_u32 v30, vcc_lo, s18, v30
	v_add_co_ci_u32_e32 v31, vcc_lo, s19, v31, vcc_lo
	global_load_u16 v30, v[30:31], off
	v_add_co_u32 v31, vcc_lo, v28, 1
	v_add_co_ci_u32_e32 v32, vcc_lo, 0, v29, vcc_lo
	s_waitcnt vmcnt(0)
	v_cmp_lt_u16_e32 vcc_lo, v30, v27
	v_dual_cndmask_b32 v26, v29, v26 :: v_dual_cndmask_b32 v25, v28, v25
	s_delay_alu instid0(VALU_DEP_3) | instskip(NEXT) | instid1(VALU_DEP_1)
	v_dual_cndmask_b32 v24, v24, v32 :: v_dual_cndmask_b32 v23, v23, v31
	v_cmp_ge_u64_e32 vcc_lo, v[23:24], v[25:26]
	s_or_b32 s3, vcc_lo, s3
	s_delay_alu instid0(SALU_CYCLE_1)
	s_and_not1_b32 exec_lo, exec_lo, s3
	s_cbranch_execnz .LBB54_37
; %bb.38:
	s_or_b32 exec_lo, exec_lo, s3
	v_cmp_ne_u32_e32 vcc_lo, 1, v34
	s_cbranch_vccnz .LBB54_63
.LBB54_39:
	v_dual_mov_b32 v25, 0 :: v_dual_mov_b32 v28, s21
	v_add_nc_u16 v29, v33, 0x300
	v_dual_mov_b32 v26, 0 :: v_dual_mov_b32 v27, s20
	s_mov_b32 s3, 0
	.p2align	6
.LBB54_40:                              ; =>This Inner Loop Header: Depth=1
	s_delay_alu instid0(VALU_DEP_1) | instskip(NEXT) | instid1(VALU_DEP_2)
	v_sub_co_u32 v30, vcc_lo, v27, v25
	v_sub_co_ci_u32_e32 v31, vcc_lo, v28, v26, vcc_lo
	s_delay_alu instid0(VALU_DEP_1) | instskip(SKIP_1) | instid1(VALU_DEP_2)
	v_lshrrev_b64 v[35:36], 1, v[30:31]
	v_lshrrev_b64 v[30:31], 6, v[30:31]
	v_add_co_u32 v32, vcc_lo, v35, v25
	s_delay_alu instid0(VALU_DEP_3) | instskip(NEXT) | instid1(VALU_DEP_2)
	v_add_co_ci_u32_e32 v35, vcc_lo, v36, v26, vcc_lo
	v_add_co_u32 v30, vcc_lo, v32, v30
	s_delay_alu instid0(VALU_DEP_2) | instskip(NEXT) | instid1(VALU_DEP_1)
	v_add_co_ci_u32_e32 v31, vcc_lo, v35, v31, vcc_lo
	v_lshlrev_b64 v[35:36], 1, v[30:31]
	s_delay_alu instid0(VALU_DEP_1) | instskip(NEXT) | instid1(VALU_DEP_2)
	v_add_co_u32 v35, vcc_lo, s18, v35
	v_add_co_ci_u32_e32 v36, vcc_lo, s19, v36, vcc_lo
	global_load_u16 v32, v[35:36], off
	v_add_co_u32 v35, vcc_lo, v30, 1
	v_add_co_ci_u32_e32 v36, vcc_lo, 0, v31, vcc_lo
	s_waitcnt vmcnt(0)
	v_cmp_lt_u16_e32 vcc_lo, v32, v29
	v_dual_cndmask_b32 v28, v31, v28 :: v_dual_cndmask_b32 v27, v30, v27
	s_delay_alu instid0(VALU_DEP_3) | instskip(NEXT) | instid1(VALU_DEP_1)
	v_dual_cndmask_b32 v26, v26, v36 :: v_dual_cndmask_b32 v25, v25, v35
	v_cmp_ge_u64_e32 vcc_lo, v[25:26], v[27:28]
	s_or_b32 s3, vcc_lo, s3
	s_delay_alu instid0(SALU_CYCLE_1)
	s_and_not1_b32 exec_lo, exec_lo, s3
	s_cbranch_execnz .LBB54_40
; %bb.41:
	s_or_b32 exec_lo, exec_lo, s3
	v_cmp_ne_u32_e32 vcc_lo, 1, v34
	s_cbranch_vccnz .LBB54_64
.LBB54_42:
	v_dual_mov_b32 v27, 0 :: v_dual_mov_b32 v30, s21
	v_add_nc_u16 v31, v33, 0x340
	v_dual_mov_b32 v28, 0 :: v_dual_mov_b32 v29, s20
	s_mov_b32 s3, 0
	.p2align	6
.LBB54_43:                              ; =>This Inner Loop Header: Depth=1
	s_delay_alu instid0(VALU_DEP_1) | instskip(NEXT) | instid1(VALU_DEP_2)
	v_sub_co_u32 v35, vcc_lo, v29, v27
	v_sub_co_ci_u32_e32 v36, vcc_lo, v30, v28, vcc_lo
	s_delay_alu instid0(VALU_DEP_1) | instskip(SKIP_1) | instid1(VALU_DEP_2)
	v_lshrrev_b64 v[37:38], 1, v[35:36]
	v_lshrrev_b64 v[35:36], 6, v[35:36]
	v_add_co_u32 v32, vcc_lo, v37, v27
	s_delay_alu instid0(VALU_DEP_3) | instskip(NEXT) | instid1(VALU_DEP_2)
	v_add_co_ci_u32_e32 v37, vcc_lo, v38, v28, vcc_lo
	v_add_co_u32 v35, vcc_lo, v32, v35
	s_delay_alu instid0(VALU_DEP_2) | instskip(NEXT) | instid1(VALU_DEP_1)
	v_add_co_ci_u32_e32 v36, vcc_lo, v37, v36, vcc_lo
	v_lshlrev_b64 v[37:38], 1, v[35:36]
	s_delay_alu instid0(VALU_DEP_1) | instskip(NEXT) | instid1(VALU_DEP_2)
	v_add_co_u32 v37, vcc_lo, s18, v37
	v_add_co_ci_u32_e32 v38, vcc_lo, s19, v38, vcc_lo
	global_load_u16 v32, v[37:38], off
	v_add_co_u32 v37, vcc_lo, v35, 1
	v_add_co_ci_u32_e32 v38, vcc_lo, 0, v36, vcc_lo
	s_waitcnt vmcnt(0)
	v_cmp_lt_u16_e32 vcc_lo, v32, v31
	v_dual_cndmask_b32 v30, v36, v30 :: v_dual_cndmask_b32 v29, v35, v29
	s_delay_alu instid0(VALU_DEP_3) | instskip(NEXT) | instid1(VALU_DEP_1)
	v_dual_cndmask_b32 v28, v28, v38 :: v_dual_cndmask_b32 v27, v27, v37
	v_cmp_ge_u64_e32 vcc_lo, v[27:28], v[29:30]
	s_or_b32 s3, vcc_lo, s3
	s_delay_alu instid0(SALU_CYCLE_1)
	s_and_not1_b32 exec_lo, exec_lo, s3
	s_cbranch_execnz .LBB54_43
; %bb.44:
	s_or_b32 exec_lo, exec_lo, s3
	v_cmp_ne_u32_e32 vcc_lo, 1, v34
	s_cbranch_vccnz .LBB54_65
.LBB54_45:
	v_dual_mov_b32 v31, 0 :: v_dual_mov_b32 v30, s21
	v_add_nc_u16 v35, v33, 0x380
	v_dual_mov_b32 v32, 0 :: v_dual_mov_b32 v29, s20
	s_mov_b32 s3, 0
	.p2align	6
.LBB54_46:                              ; =>This Inner Loop Header: Depth=1
	s_delay_alu instid0(VALU_DEP_1) | instskip(NEXT) | instid1(VALU_DEP_2)
	v_sub_co_u32 v36, vcc_lo, v29, v31
	v_sub_co_ci_u32_e32 v37, vcc_lo, v30, v32, vcc_lo
	s_delay_alu instid0(VALU_DEP_1) | instskip(SKIP_1) | instid1(VALU_DEP_2)
	v_lshrrev_b64 v[38:39], 1, v[36:37]
	v_lshrrev_b64 v[36:37], 6, v[36:37]
	v_add_co_u32 v38, vcc_lo, v38, v31
	s_delay_alu instid0(VALU_DEP_3) | instskip(NEXT) | instid1(VALU_DEP_2)
	v_add_co_ci_u32_e32 v39, vcc_lo, v39, v32, vcc_lo
	v_add_co_u32 v36, vcc_lo, v38, v36
	s_delay_alu instid0(VALU_DEP_2) | instskip(NEXT) | instid1(VALU_DEP_1)
	v_add_co_ci_u32_e32 v37, vcc_lo, v39, v37, vcc_lo
	v_lshlrev_b64 v[38:39], 1, v[36:37]
	s_delay_alu instid0(VALU_DEP_1) | instskip(NEXT) | instid1(VALU_DEP_2)
	v_add_co_u32 v38, vcc_lo, s18, v38
	v_add_co_ci_u32_e32 v39, vcc_lo, s19, v39, vcc_lo
	global_load_u16 v38, v[38:39], off
	v_add_co_u32 v39, vcc_lo, v36, 1
	v_add_co_ci_u32_e32 v40, vcc_lo, 0, v37, vcc_lo
	s_waitcnt vmcnt(0)
	v_cmp_lt_u16_e32 vcc_lo, v38, v35
	v_dual_cndmask_b32 v30, v37, v30 :: v_dual_cndmask_b32 v29, v36, v29
	s_delay_alu instid0(VALU_DEP_3) | instskip(NEXT) | instid1(VALU_DEP_1)
	v_dual_cndmask_b32 v32, v32, v40 :: v_dual_cndmask_b32 v31, v31, v39
	v_cmp_ge_u64_e32 vcc_lo, v[31:32], v[29:30]
	s_or_b32 s3, vcc_lo, s3
	s_delay_alu instid0(SALU_CYCLE_1)
	s_and_not1_b32 exec_lo, exec_lo, s3
	s_cbranch_execnz .LBB54_46
; %bb.47:
	s_or_b32 exec_lo, exec_lo, s3
	v_cmp_ne_u32_e32 vcc_lo, 1, v34
	s_cbranch_vccnz .LBB54_66
.LBB54_48:
	v_add_nc_u16 v35, v33, 0x3c0
	v_dual_mov_b32 v29, 0 :: v_dual_mov_b32 v34, s21
	v_dual_mov_b32 v30, 0 :: v_dual_mov_b32 v33, s20
	s_mov_b32 s3, 0
	.p2align	6
.LBB54_49:                              ; =>This Inner Loop Header: Depth=1
	s_delay_alu instid0(VALU_DEP_1) | instskip(NEXT) | instid1(VALU_DEP_2)
	v_sub_co_u32 v36, vcc_lo, v33, v29
	v_sub_co_ci_u32_e32 v37, vcc_lo, v34, v30, vcc_lo
	s_delay_alu instid0(VALU_DEP_1) | instskip(SKIP_1) | instid1(VALU_DEP_2)
	v_lshrrev_b64 v[38:39], 1, v[36:37]
	v_lshrrev_b64 v[36:37], 6, v[36:37]
	v_add_co_u32 v38, vcc_lo, v38, v29
	s_delay_alu instid0(VALU_DEP_3) | instskip(NEXT) | instid1(VALU_DEP_2)
	v_add_co_ci_u32_e32 v39, vcc_lo, v39, v30, vcc_lo
	v_add_co_u32 v36, vcc_lo, v38, v36
	s_delay_alu instid0(VALU_DEP_2) | instskip(NEXT) | instid1(VALU_DEP_1)
	v_add_co_ci_u32_e32 v37, vcc_lo, v39, v37, vcc_lo
	v_lshlrev_b64 v[38:39], 1, v[36:37]
	s_delay_alu instid0(VALU_DEP_1) | instskip(NEXT) | instid1(VALU_DEP_2)
	v_add_co_u32 v38, vcc_lo, s18, v38
	v_add_co_ci_u32_e32 v39, vcc_lo, s19, v39, vcc_lo
	global_load_u16 v38, v[38:39], off
	v_add_co_u32 v39, vcc_lo, v36, 1
	v_add_co_ci_u32_e32 v40, vcc_lo, 0, v37, vcc_lo
	s_waitcnt vmcnt(0)
	v_cmp_lt_u16_e32 vcc_lo, v38, v35
	v_dual_cndmask_b32 v34, v37, v34 :: v_dual_cndmask_b32 v33, v36, v33
	s_delay_alu instid0(VALU_DEP_3) | instskip(NEXT) | instid1(VALU_DEP_1)
	v_dual_cndmask_b32 v30, v30, v40 :: v_dual_cndmask_b32 v29, v29, v39
	v_cmp_ge_u64_e32 vcc_lo, v[29:30], v[33:34]
	s_or_b32 s3, vcc_lo, s3
	s_delay_alu instid0(SALU_CYCLE_1)
	s_and_not1_b32 exec_lo, exec_lo, s3
	s_cbranch_execnz .LBB54_49
; %bb.50:
	s_or_b32 exec_lo, exec_lo, s3
	s_branch .LBB54_67
.LBB54_51:
	s_mov_b32 s15, s17
                                        ; implicit-def: $vgpr29_vgpr30
                                        ; implicit-def: $vgpr33_vgpr34
	s_and_b32 vcc_lo, exec_lo, s3
	s_cbranch_vccnz .LBB54_68
	s_branch .LBB54_174
.LBB54_52:
	v_mov_b32_e32 v3, 0
	v_mov_b32_e32 v4, 0
	v_cmp_ne_u32_e32 vcc_lo, 1, v34
	s_cbranch_vccz .LBB54_9
.LBB54_53:
	v_mov_b32_e32 v5, 0
	v_mov_b32_e32 v6, 0
	v_cmp_ne_u32_e32 vcc_lo, 1, v34
	s_cbranch_vccz .LBB54_12
.LBB54_54:
	v_mov_b32_e32 v7, 0
	v_mov_b32_e32 v8, 0
	v_cmp_ne_u32_e32 vcc_lo, 1, v34
	s_cbranch_vccz .LBB54_15
.LBB54_55:
	v_mov_b32_e32 v9, 0
	v_mov_b32_e32 v10, 0
	v_cmp_ne_u32_e32 vcc_lo, 1, v34
	s_cbranch_vccz .LBB54_18
.LBB54_56:
	v_mov_b32_e32 v11, 0
	v_mov_b32_e32 v12, 0
	v_cmp_ne_u32_e32 vcc_lo, 1, v34
	s_cbranch_vccz .LBB54_21
.LBB54_57:
	v_mov_b32_e32 v13, 0
	v_mov_b32_e32 v14, 0
	v_cmp_ne_u32_e32 vcc_lo, 1, v34
	s_cbranch_vccz .LBB54_24
.LBB54_58:
	v_mov_b32_e32 v15, 0
	v_mov_b32_e32 v16, 0
	v_cmp_ne_u32_e32 vcc_lo, 1, v34
	s_cbranch_vccz .LBB54_27
.LBB54_59:
	v_mov_b32_e32 v17, 0
	v_mov_b32_e32 v18, 0
	v_cmp_ne_u32_e32 vcc_lo, 1, v34
	s_cbranch_vccz .LBB54_30
.LBB54_60:
	v_mov_b32_e32 v19, 0
	v_mov_b32_e32 v20, 0
	v_cmp_ne_u32_e32 vcc_lo, 1, v34
	s_cbranch_vccz .LBB54_33
.LBB54_61:
	v_mov_b32_e32 v21, 0
	v_mov_b32_e32 v22, 0
	v_cmp_ne_u32_e32 vcc_lo, 1, v34
	s_cbranch_vccz .LBB54_36
.LBB54_62:
	v_mov_b32_e32 v23, 0
	v_mov_b32_e32 v24, 0
	v_cmp_ne_u32_e32 vcc_lo, 1, v34
	s_cbranch_vccz .LBB54_39
.LBB54_63:
	v_mov_b32_e32 v25, 0
	v_mov_b32_e32 v26, 0
	v_cmp_ne_u32_e32 vcc_lo, 1, v34
	s_cbranch_vccz .LBB54_42
.LBB54_64:
	v_mov_b32_e32 v27, 0
	v_mov_b32_e32 v28, 0
	v_cmp_ne_u32_e32 vcc_lo, 1, v34
	s_cbranch_vccz .LBB54_45
.LBB54_65:
	v_mov_b32_e32 v31, 0
	v_mov_b32_e32 v32, 0
	v_cmp_ne_u32_e32 vcc_lo, 1, v34
	s_cbranch_vccz .LBB54_48
.LBB54_66:
	v_mov_b32_e32 v29, 0
	v_mov_b32_e32 v30, 0
.LBB54_67:
	v_lshlrev_b32_e32 v35, 3, v0
	s_lshl_b64 s[4:5], s[16:17], 3
	s_delay_alu instid0(SALU_CYCLE_1) | instskip(SKIP_1) | instid1(VALU_DEP_1)
	s_add_u32 s4, s22, s4
	s_addc_u32 s5, s23, s5
	v_add_co_u32 v33, s6, s4, v35
	s_delay_alu instid0(VALU_DEP_1)
	v_add_co_ci_u32_e64 v34, null, s5, 0, s6
	s_clause 0x3
	global_store_b64 v35, v[1:2], s[4:5]
	global_store_b64 v35, v[3:4], s[4:5] offset:512
	global_store_b64 v35, v[5:6], s[4:5] offset:1024
	;; [unrolled: 1-line block ×3, first 2 shown]
	v_add_co_u32 v1, vcc_lo, 0x1000, v33
	v_add_co_ci_u32_e32 v2, vcc_lo, 0, v34, vcc_lo
	s_clause 0x7
	global_store_b64 v35, v[9:10], s[4:5] offset:2048
	global_store_b64 v35, v[11:12], s[4:5] offset:2560
	;; [unrolled: 1-line block ×4, first 2 shown]
	global_store_b64 v[1:2], v[17:18], off
	global_store_b64 v[1:2], v[19:20], off offset:512
	global_store_b64 v[1:2], v[21:22], off offset:1024
	;; [unrolled: 1-line block ×3, first 2 shown]
	s_mov_b32 s15, -1
	s_clause 0x2
	global_store_b64 v[1:2], v[25:26], off offset:2048
	global_store_b64 v[1:2], v[27:28], off offset:2560
	;; [unrolled: 1-line block ×3, first 2 shown]
	s_branch .LBB54_174
.LBB54_68:
	s_load_b32 s0, s[0:1], 0x10
	v_or_b32_e32 v1, 64, v0
	s_add_i32 s2, s2, s16
	v_or_b32_e32 v2, 0x80, v0
	v_or_b32_e32 v3, 0xc0, v0
	v_or_b32_e32 v4, 0x100, v0
	v_or_b32_e32 v6, 0x140, v0
	v_add_nc_u16 v5, s2, v0
	v_add_nc_u16 v8, s2, v1
	v_or_b32_e32 v7, 0x180, v0
	v_add_nc_u16 v9, s2, v2
	v_add_nc_u16 v10, s2, v3
	;; [unrolled: 1-line block ×4, first 2 shown]
	v_perm_b32 v8, v8, v5, 0x5040100
	v_and_b32_e32 v13, 0xffff, v9
	v_perm_b32 v9, v10, v9, 0x5040100
	v_or_b32_e32 v10, 0x200, v0
	s_waitcnt lgkmcnt(0)
	s_sub_i32 s14, s0, s16
	s_cmp_lg_u64 s[20:21], 0
	v_cmp_gt_u32_e64 s13, s14, v1
	v_or_b32_e32 v1, 0x1c0, v0
	v_cmp_gt_u32_e64 s12, s14, v2
	v_cmp_gt_u32_e64 s10, s14, v3
	;; [unrolled: 1-line block ×3, first 2 shown]
	v_cndmask_b32_e64 v5, v5, v8, s13
	v_and_b32_e32 v2, 0xffff, v11
	v_perm_b32 v3, v12, v11, 0x5040100
	v_add_nc_u16 v4, s2, v7
	v_add_nc_u16 v8, s2, v1
	v_or_b32_e32 v11, 0x240, v0
	v_cmp_gt_u32_e64 s11, s14, v6
	v_cndmask_b32_e64 v9, v13, v9, s10
	v_cmp_gt_u32_e64 s7, s14, v1
	v_cmp_gt_u32_e64 s9, s14, v7
	v_add_nc_u16 v6, s2, v11
	v_cndmask_b32_e64 v13, v2, v3, s11
	v_and_b32_e32 v2, 0xffff, v4
	v_perm_b32 v3, v8, v4, 0x5040100
	v_add_nc_u16 v4, s2, v10
	v_or_b32_e32 v7, 0x280, v0
	v_cmp_gt_u32_e64 s5, s14, v11
	v_cmp_gt_u32_e64 s6, s14, v10
	v_cndmask_b32_e64 v17, v2, v3, s7
	v_perm_b32 v1, v6, v4, 0x5040100
	v_or_b32_e32 v2, 0x2c0, v0
	v_add_nc_u16 v3, s2, v7
	v_cmp_gt_u32_e64 s3, s14, v7
	v_or_b32_e32 v7, 0x340, v0
	v_cndmask_b32_e64 v21, v4, v1, s5
	v_add_nc_u16 v1, s2, v2
	v_or_b32_e32 v4, 0x300, v0
	v_and_b32_e32 v6, 0xffff, v3
	v_or_b32_e32 v8, 0x380, v0
	v_or_b32_e32 v10, 0x3c0, v0
	v_perm_b32 v1, v1, v3, 0x5040100
	v_cmp_gt_u32_e64 s4, s14, v2
	v_add_nc_u16 v3, s2, v4
	v_add_nc_u16 v11, s2, v7
	;; [unrolled: 1-line block ×3, first 2 shown]
	v_cmp_gt_u32_e64 s1, s14, v7
	v_cndmask_b32_e64 v25, v6, v1, s4
	v_add_nc_u16 v1, s2, v8
	v_and_b32_e32 v6, 0xffff, v3
	v_perm_b32 v3, v11, v3, 0x5040100
	v_cmp_gt_u32_e64 s2, s14, v4
	v_cmp_gt_u32_e64 s15, s14, v10
	v_and_b32_e32 v4, 0xffff, v1
	v_perm_b32 v1, v2, v1, 0x5040100
	v_cndmask_b32_e64 v29, v6, v3, s1
	v_cmp_gt_u32_e64 s0, s14, v8
	v_cmp_gt_u32_e64 s14, s14, v0
	s_cselect_b32 s24, -1, 0
	v_cndmask_b32_e64 v33, v4, v1, s15
                                        ; implicit-def: $vgpr1_vgpr2
	s_delay_alu instid0(VALU_DEP_2)
	s_and_saveexec_b32 s25, s14
	s_cbranch_execz .LBB54_73
; %bb.69:
	v_mov_b32_e32 v1, 0
	v_mov_b32_e32 v2, 0
	s_and_not1_b32 vcc_lo, exec_lo, s24
	s_cbranch_vccnz .LBB54_73
; %bb.70:
	v_dual_mov_b32 v3, s20 :: v_dual_mov_b32 v4, s21
	s_mov_b32 s26, 0
	.p2align	6
.LBB54_71:                              ; =>This Inner Loop Header: Depth=1
	s_delay_alu instid0(VALU_DEP_1) | instskip(NEXT) | instid1(VALU_DEP_2)
	v_sub_co_u32 v6, vcc_lo, v3, v1
	v_sub_co_ci_u32_e32 v7, vcc_lo, v4, v2, vcc_lo
	s_delay_alu instid0(VALU_DEP_1) | instskip(SKIP_1) | instid1(VALU_DEP_2)
	v_lshrrev_b64 v[10:11], 1, v[6:7]
	v_lshrrev_b64 v[6:7], 6, v[6:7]
	v_add_co_u32 v8, vcc_lo, v10, v1
	s_delay_alu instid0(VALU_DEP_3) | instskip(NEXT) | instid1(VALU_DEP_2)
	v_add_co_ci_u32_e32 v10, vcc_lo, v11, v2, vcc_lo
	v_add_co_u32 v6, vcc_lo, v8, v6
	s_delay_alu instid0(VALU_DEP_2) | instskip(NEXT) | instid1(VALU_DEP_1)
	v_add_co_ci_u32_e32 v7, vcc_lo, v10, v7, vcc_lo
	v_lshlrev_b64 v[10:11], 1, v[6:7]
	s_delay_alu instid0(VALU_DEP_1) | instskip(NEXT) | instid1(VALU_DEP_2)
	v_add_co_u32 v10, vcc_lo, s18, v10
	v_add_co_ci_u32_e32 v11, vcc_lo, s19, v11, vcc_lo
	global_load_u16 v8, v[10:11], off
	v_add_co_u32 v10, vcc_lo, v6, 1
	v_add_co_ci_u32_e32 v11, vcc_lo, 0, v7, vcc_lo
	s_waitcnt vmcnt(0)
	v_cmp_lt_u16_e32 vcc_lo, v8, v5
	v_dual_cndmask_b32 v4, v7, v4 :: v_dual_cndmask_b32 v3, v6, v3
	s_delay_alu instid0(VALU_DEP_3) | instskip(NEXT) | instid1(VALU_DEP_1)
	v_dual_cndmask_b32 v2, v2, v11 :: v_dual_cndmask_b32 v1, v1, v10
	v_cmp_ge_u64_e32 vcc_lo, v[1:2], v[3:4]
	s_or_b32 s26, vcc_lo, s26
	s_delay_alu instid0(SALU_CYCLE_1)
	s_and_not1_b32 exec_lo, exec_lo, s26
	s_cbranch_execnz .LBB54_71
; %bb.72:
	s_or_b32 exec_lo, exec_lo, s26
.LBB54_73:
	s_delay_alu instid0(SALU_CYCLE_1)
	s_or_b32 exec_lo, exec_lo, s25
                                        ; implicit-def: $vgpr3_vgpr4
	s_and_saveexec_b32 s25, s13
	s_cbranch_execz .LBB54_78
; %bb.74:
	s_and_not1_b32 vcc_lo, exec_lo, s24
	s_cbranch_vccnz .LBB54_83
; %bb.75:
	v_mov_b32_e32 v3, 0
	v_lshrrev_b32_e32 v7, 16, v5
	v_dual_mov_b32 v4, 0 :: v_dual_mov_b32 v5, s20
	v_mov_b32_e32 v6, s21
	s_mov_b32 s26, 0
	.p2align	6
.LBB54_76:                              ; =>This Inner Loop Header: Depth=1
	s_delay_alu instid0(VALU_DEP_2) | instskip(NEXT) | instid1(VALU_DEP_2)
	v_sub_co_u32 v10, vcc_lo, v5, v3
	v_sub_co_ci_u32_e32 v11, vcc_lo, v6, v4, vcc_lo
	s_delay_alu instid0(VALU_DEP_1) | instskip(SKIP_1) | instid1(VALU_DEP_2)
	v_lshrrev_b64 v[14:15], 1, v[10:11]
	v_lshrrev_b64 v[10:11], 6, v[10:11]
	v_add_co_u32 v8, vcc_lo, v14, v3
	s_delay_alu instid0(VALU_DEP_3) | instskip(NEXT) | instid1(VALU_DEP_2)
	v_add_co_ci_u32_e32 v12, vcc_lo, v15, v4, vcc_lo
	v_add_co_u32 v10, vcc_lo, v8, v10
	s_delay_alu instid0(VALU_DEP_2) | instskip(NEXT) | instid1(VALU_DEP_1)
	v_add_co_ci_u32_e32 v11, vcc_lo, v12, v11, vcc_lo
	v_lshlrev_b64 v[14:15], 1, v[10:11]
	s_delay_alu instid0(VALU_DEP_1) | instskip(NEXT) | instid1(VALU_DEP_2)
	v_add_co_u32 v14, vcc_lo, s18, v14
	v_add_co_ci_u32_e32 v15, vcc_lo, s19, v15, vcc_lo
	v_add_co_u32 v12, vcc_lo, v10, 1
	global_load_u16 v8, v[14:15], off
	v_add_co_ci_u32_e32 v14, vcc_lo, 0, v11, vcc_lo
	s_waitcnt vmcnt(0)
	v_cmp_lt_u16_e32 vcc_lo, v8, v7
	v_dual_cndmask_b32 v6, v11, v6 :: v_dual_cndmask_b32 v5, v10, v5
	s_delay_alu instid0(VALU_DEP_3) | instskip(NEXT) | instid1(VALU_DEP_1)
	v_dual_cndmask_b32 v4, v4, v14 :: v_dual_cndmask_b32 v3, v3, v12
	v_cmp_ge_u64_e32 vcc_lo, v[3:4], v[5:6]
	s_or_b32 s26, vcc_lo, s26
	s_delay_alu instid0(SALU_CYCLE_1)
	s_and_not1_b32 exec_lo, exec_lo, s26
	s_cbranch_execnz .LBB54_76
; %bb.77:
	s_or_b32 exec_lo, exec_lo, s26
.LBB54_78:
	s_delay_alu instid0(SALU_CYCLE_1)
	s_or_b32 exec_lo, exec_lo, s25
                                        ; implicit-def: $vgpr5_vgpr6
	s_and_saveexec_b32 s25, s12
	s_cbranch_execz .LBB54_84
.LBB54_79:
	v_mov_b32_e32 v5, 0
	v_mov_b32_e32 v6, 0
	s_and_not1_b32 vcc_lo, exec_lo, s24
	s_cbranch_vccnz .LBB54_84
; %bb.80:
	v_dual_mov_b32 v7, s20 :: v_dual_mov_b32 v8, s21
	s_mov_b32 s26, 0
	.p2align	6
.LBB54_81:                              ; =>This Inner Loop Header: Depth=1
	s_delay_alu instid0(VALU_DEP_1) | instskip(NEXT) | instid1(VALU_DEP_2)
	v_sub_co_u32 v10, vcc_lo, v7, v5
	v_sub_co_ci_u32_e32 v11, vcc_lo, v8, v6, vcc_lo
	s_delay_alu instid0(VALU_DEP_1) | instskip(SKIP_1) | instid1(VALU_DEP_2)
	v_lshrrev_b64 v[14:15], 1, v[10:11]
	v_lshrrev_b64 v[10:11], 6, v[10:11]
	v_add_co_u32 v12, vcc_lo, v14, v5
	s_delay_alu instid0(VALU_DEP_3) | instskip(NEXT) | instid1(VALU_DEP_2)
	v_add_co_ci_u32_e32 v14, vcc_lo, v15, v6, vcc_lo
	v_add_co_u32 v10, vcc_lo, v12, v10
	s_delay_alu instid0(VALU_DEP_2) | instskip(NEXT) | instid1(VALU_DEP_1)
	v_add_co_ci_u32_e32 v11, vcc_lo, v14, v11, vcc_lo
	v_lshlrev_b64 v[14:15], 1, v[10:11]
	s_delay_alu instid0(VALU_DEP_1) | instskip(NEXT) | instid1(VALU_DEP_2)
	v_add_co_u32 v14, vcc_lo, s18, v14
	v_add_co_ci_u32_e32 v15, vcc_lo, s19, v15, vcc_lo
	global_load_u16 v12, v[14:15], off
	v_add_co_u32 v14, vcc_lo, v10, 1
	v_add_co_ci_u32_e32 v15, vcc_lo, 0, v11, vcc_lo
	s_waitcnt vmcnt(0)
	v_cmp_lt_u16_e32 vcc_lo, v12, v9
	v_dual_cndmask_b32 v8, v11, v8 :: v_dual_cndmask_b32 v7, v10, v7
	s_delay_alu instid0(VALU_DEP_3) | instskip(NEXT) | instid1(VALU_DEP_1)
	v_dual_cndmask_b32 v6, v6, v15 :: v_dual_cndmask_b32 v5, v5, v14
	v_cmp_ge_u64_e32 vcc_lo, v[5:6], v[7:8]
	s_or_b32 s26, vcc_lo, s26
	s_delay_alu instid0(SALU_CYCLE_1)
	s_and_not1_b32 exec_lo, exec_lo, s26
	s_cbranch_execnz .LBB54_81
; %bb.82:
	s_or_b32 exec_lo, exec_lo, s26
	s_branch .LBB54_84
.LBB54_83:
	v_mov_b32_e32 v3, 0
	v_mov_b32_e32 v4, 0
	s_or_b32 exec_lo, exec_lo, s25
                                        ; implicit-def: $vgpr5_vgpr6
	s_and_saveexec_b32 s25, s12
	s_cbranch_execnz .LBB54_79
.LBB54_84:
	s_or_b32 exec_lo, exec_lo, s25
                                        ; implicit-def: $vgpr7_vgpr8
	s_and_saveexec_b32 s25, s10
	s_cbranch_execz .LBB54_89
; %bb.85:
	s_and_not1_b32 vcc_lo, exec_lo, s24
	s_cbranch_vccnz .LBB54_94
; %bb.86:
	v_mov_b32_e32 v7, 0
	v_lshrrev_b32_e32 v11, 16, v9
	v_dual_mov_b32 v8, 0 :: v_dual_mov_b32 v9, s20
	v_mov_b32_e32 v10, s21
	s_mov_b32 s26, 0
	.p2align	6
.LBB54_87:                              ; =>This Inner Loop Header: Depth=1
	s_delay_alu instid0(VALU_DEP_2) | instskip(NEXT) | instid1(VALU_DEP_2)
	v_sub_co_u32 v14, vcc_lo, v9, v7
	v_sub_co_ci_u32_e32 v15, vcc_lo, v10, v8, vcc_lo
	s_delay_alu instid0(VALU_DEP_1) | instskip(SKIP_1) | instid1(VALU_DEP_2)
	v_lshrrev_b64 v[18:19], 1, v[14:15]
	v_lshrrev_b64 v[14:15], 6, v[14:15]
	v_add_co_u32 v12, vcc_lo, v18, v7
	s_delay_alu instid0(VALU_DEP_3) | instskip(NEXT) | instid1(VALU_DEP_2)
	v_add_co_ci_u32_e32 v16, vcc_lo, v19, v8, vcc_lo
	v_add_co_u32 v14, vcc_lo, v12, v14
	s_delay_alu instid0(VALU_DEP_2) | instskip(NEXT) | instid1(VALU_DEP_1)
	v_add_co_ci_u32_e32 v15, vcc_lo, v16, v15, vcc_lo
	v_lshlrev_b64 v[18:19], 1, v[14:15]
	s_delay_alu instid0(VALU_DEP_1) | instskip(NEXT) | instid1(VALU_DEP_2)
	v_add_co_u32 v18, vcc_lo, s18, v18
	v_add_co_ci_u32_e32 v19, vcc_lo, s19, v19, vcc_lo
	v_add_co_u32 v16, vcc_lo, v14, 1
	global_load_u16 v12, v[18:19], off
	v_add_co_ci_u32_e32 v18, vcc_lo, 0, v15, vcc_lo
	s_waitcnt vmcnt(0)
	v_cmp_lt_u16_e32 vcc_lo, v12, v11
	v_dual_cndmask_b32 v10, v15, v10 :: v_dual_cndmask_b32 v9, v14, v9
	s_delay_alu instid0(VALU_DEP_3) | instskip(NEXT) | instid1(VALU_DEP_1)
	v_dual_cndmask_b32 v8, v8, v18 :: v_dual_cndmask_b32 v7, v7, v16
	v_cmp_ge_u64_e32 vcc_lo, v[7:8], v[9:10]
	s_or_b32 s26, vcc_lo, s26
	s_delay_alu instid0(SALU_CYCLE_1)
	s_and_not1_b32 exec_lo, exec_lo, s26
	s_cbranch_execnz .LBB54_87
; %bb.88:
	s_or_b32 exec_lo, exec_lo, s26
.LBB54_89:
	s_delay_alu instid0(SALU_CYCLE_1)
	s_or_b32 exec_lo, exec_lo, s25
                                        ; implicit-def: $vgpr9_vgpr10
	s_and_saveexec_b32 s25, s8
	s_cbranch_execz .LBB54_95
.LBB54_90:
	v_mov_b32_e32 v9, 0
	v_mov_b32_e32 v10, 0
	s_and_not1_b32 vcc_lo, exec_lo, s24
	s_cbranch_vccnz .LBB54_95
; %bb.91:
	v_dual_mov_b32 v11, s20 :: v_dual_mov_b32 v12, s21
	s_mov_b32 s26, 0
	.p2align	6
.LBB54_92:                              ; =>This Inner Loop Header: Depth=1
	s_delay_alu instid0(VALU_DEP_1) | instskip(NEXT) | instid1(VALU_DEP_2)
	v_sub_co_u32 v14, vcc_lo, v11, v9
	v_sub_co_ci_u32_e32 v15, vcc_lo, v12, v10, vcc_lo
	s_delay_alu instid0(VALU_DEP_1) | instskip(SKIP_1) | instid1(VALU_DEP_2)
	v_lshrrev_b64 v[18:19], 1, v[14:15]
	v_lshrrev_b64 v[14:15], 6, v[14:15]
	v_add_co_u32 v16, vcc_lo, v18, v9
	s_delay_alu instid0(VALU_DEP_3) | instskip(NEXT) | instid1(VALU_DEP_2)
	v_add_co_ci_u32_e32 v18, vcc_lo, v19, v10, vcc_lo
	v_add_co_u32 v14, vcc_lo, v16, v14
	s_delay_alu instid0(VALU_DEP_2) | instskip(NEXT) | instid1(VALU_DEP_1)
	v_add_co_ci_u32_e32 v15, vcc_lo, v18, v15, vcc_lo
	v_lshlrev_b64 v[18:19], 1, v[14:15]
	s_delay_alu instid0(VALU_DEP_1) | instskip(NEXT) | instid1(VALU_DEP_2)
	v_add_co_u32 v18, vcc_lo, s18, v18
	v_add_co_ci_u32_e32 v19, vcc_lo, s19, v19, vcc_lo
	global_load_u16 v16, v[18:19], off
	v_add_co_u32 v18, vcc_lo, v14, 1
	v_add_co_ci_u32_e32 v19, vcc_lo, 0, v15, vcc_lo
	s_waitcnt vmcnt(0)
	v_cmp_lt_u16_e32 vcc_lo, v16, v13
	v_dual_cndmask_b32 v12, v15, v12 :: v_dual_cndmask_b32 v11, v14, v11
	s_delay_alu instid0(VALU_DEP_3) | instskip(NEXT) | instid1(VALU_DEP_1)
	v_dual_cndmask_b32 v10, v10, v19 :: v_dual_cndmask_b32 v9, v9, v18
	v_cmp_ge_u64_e32 vcc_lo, v[9:10], v[11:12]
	s_or_b32 s26, vcc_lo, s26
	s_delay_alu instid0(SALU_CYCLE_1)
	s_and_not1_b32 exec_lo, exec_lo, s26
	s_cbranch_execnz .LBB54_92
; %bb.93:
	s_or_b32 exec_lo, exec_lo, s26
	s_branch .LBB54_95
.LBB54_94:
	v_mov_b32_e32 v7, 0
	v_mov_b32_e32 v8, 0
	s_or_b32 exec_lo, exec_lo, s25
                                        ; implicit-def: $vgpr9_vgpr10
	s_and_saveexec_b32 s25, s8
	s_cbranch_execnz .LBB54_90
.LBB54_95:
	s_or_b32 exec_lo, exec_lo, s25
                                        ; implicit-def: $vgpr11_vgpr12
	s_and_saveexec_b32 s25, s11
	s_cbranch_execz .LBB54_100
; %bb.96:
	s_and_not1_b32 vcc_lo, exec_lo, s24
	s_cbranch_vccnz .LBB54_105
; %bb.97:
	v_mov_b32_e32 v11, 0
	v_lshrrev_b32_e32 v15, 16, v13
	v_dual_mov_b32 v12, 0 :: v_dual_mov_b32 v13, s20
	v_mov_b32_e32 v14, s21
	s_mov_b32 s26, 0
	.p2align	6
.LBB54_98:                              ; =>This Inner Loop Header: Depth=1
	s_delay_alu instid0(VALU_DEP_2) | instskip(NEXT) | instid1(VALU_DEP_2)
	v_sub_co_u32 v18, vcc_lo, v13, v11
	v_sub_co_ci_u32_e32 v19, vcc_lo, v14, v12, vcc_lo
	s_delay_alu instid0(VALU_DEP_1) | instskip(SKIP_1) | instid1(VALU_DEP_2)
	v_lshrrev_b64 v[22:23], 1, v[18:19]
	v_lshrrev_b64 v[18:19], 6, v[18:19]
	v_add_co_u32 v16, vcc_lo, v22, v11
	s_delay_alu instid0(VALU_DEP_3) | instskip(NEXT) | instid1(VALU_DEP_2)
	v_add_co_ci_u32_e32 v20, vcc_lo, v23, v12, vcc_lo
	v_add_co_u32 v18, vcc_lo, v16, v18
	s_delay_alu instid0(VALU_DEP_2) | instskip(NEXT) | instid1(VALU_DEP_1)
	v_add_co_ci_u32_e32 v19, vcc_lo, v20, v19, vcc_lo
	v_lshlrev_b64 v[22:23], 1, v[18:19]
	s_delay_alu instid0(VALU_DEP_1) | instskip(NEXT) | instid1(VALU_DEP_2)
	v_add_co_u32 v22, vcc_lo, s18, v22
	v_add_co_ci_u32_e32 v23, vcc_lo, s19, v23, vcc_lo
	v_add_co_u32 v20, vcc_lo, v18, 1
	global_load_u16 v16, v[22:23], off
	v_add_co_ci_u32_e32 v22, vcc_lo, 0, v19, vcc_lo
	s_waitcnt vmcnt(0)
	v_cmp_lt_u16_e32 vcc_lo, v16, v15
	v_dual_cndmask_b32 v14, v19, v14 :: v_dual_cndmask_b32 v13, v18, v13
	s_delay_alu instid0(VALU_DEP_3) | instskip(NEXT) | instid1(VALU_DEP_1)
	v_dual_cndmask_b32 v12, v12, v22 :: v_dual_cndmask_b32 v11, v11, v20
	v_cmp_ge_u64_e32 vcc_lo, v[11:12], v[13:14]
	s_or_b32 s26, vcc_lo, s26
	s_delay_alu instid0(SALU_CYCLE_1)
	s_and_not1_b32 exec_lo, exec_lo, s26
	s_cbranch_execnz .LBB54_98
; %bb.99:
	s_or_b32 exec_lo, exec_lo, s26
.LBB54_100:
	s_delay_alu instid0(SALU_CYCLE_1)
	s_or_b32 exec_lo, exec_lo, s25
                                        ; implicit-def: $vgpr13_vgpr14
	s_and_saveexec_b32 s25, s9
	s_cbranch_execz .LBB54_106
.LBB54_101:
	v_mov_b32_e32 v13, 0
	v_mov_b32_e32 v14, 0
	s_and_not1_b32 vcc_lo, exec_lo, s24
	s_cbranch_vccnz .LBB54_106
; %bb.102:
	v_dual_mov_b32 v15, s20 :: v_dual_mov_b32 v16, s21
	s_mov_b32 s26, 0
	.p2align	6
.LBB54_103:                             ; =>This Inner Loop Header: Depth=1
	s_delay_alu instid0(VALU_DEP_1) | instskip(NEXT) | instid1(VALU_DEP_2)
	v_sub_co_u32 v18, vcc_lo, v15, v13
	v_sub_co_ci_u32_e32 v19, vcc_lo, v16, v14, vcc_lo
	s_delay_alu instid0(VALU_DEP_1) | instskip(SKIP_1) | instid1(VALU_DEP_2)
	v_lshrrev_b64 v[22:23], 1, v[18:19]
	v_lshrrev_b64 v[18:19], 6, v[18:19]
	v_add_co_u32 v20, vcc_lo, v22, v13
	s_delay_alu instid0(VALU_DEP_3) | instskip(NEXT) | instid1(VALU_DEP_2)
	v_add_co_ci_u32_e32 v22, vcc_lo, v23, v14, vcc_lo
	v_add_co_u32 v18, vcc_lo, v20, v18
	s_delay_alu instid0(VALU_DEP_2) | instskip(NEXT) | instid1(VALU_DEP_1)
	v_add_co_ci_u32_e32 v19, vcc_lo, v22, v19, vcc_lo
	v_lshlrev_b64 v[22:23], 1, v[18:19]
	s_delay_alu instid0(VALU_DEP_1) | instskip(NEXT) | instid1(VALU_DEP_2)
	v_add_co_u32 v22, vcc_lo, s18, v22
	v_add_co_ci_u32_e32 v23, vcc_lo, s19, v23, vcc_lo
	global_load_u16 v20, v[22:23], off
	v_add_co_u32 v22, vcc_lo, v18, 1
	v_add_co_ci_u32_e32 v23, vcc_lo, 0, v19, vcc_lo
	s_waitcnt vmcnt(0)
	v_cmp_lt_u16_e32 vcc_lo, v20, v17
	v_dual_cndmask_b32 v16, v19, v16 :: v_dual_cndmask_b32 v15, v18, v15
	s_delay_alu instid0(VALU_DEP_3) | instskip(NEXT) | instid1(VALU_DEP_1)
	v_dual_cndmask_b32 v14, v14, v23 :: v_dual_cndmask_b32 v13, v13, v22
	v_cmp_ge_u64_e32 vcc_lo, v[13:14], v[15:16]
	s_or_b32 s26, vcc_lo, s26
	s_delay_alu instid0(SALU_CYCLE_1)
	s_and_not1_b32 exec_lo, exec_lo, s26
	s_cbranch_execnz .LBB54_103
; %bb.104:
	s_or_b32 exec_lo, exec_lo, s26
	s_branch .LBB54_106
.LBB54_105:
	v_mov_b32_e32 v11, 0
	v_mov_b32_e32 v12, 0
	s_or_b32 exec_lo, exec_lo, s25
                                        ; implicit-def: $vgpr13_vgpr14
	s_and_saveexec_b32 s25, s9
	s_cbranch_execnz .LBB54_101
.LBB54_106:
	s_or_b32 exec_lo, exec_lo, s25
                                        ; implicit-def: $vgpr15_vgpr16
	s_and_saveexec_b32 s25, s7
	s_cbranch_execz .LBB54_111
; %bb.107:
	s_and_not1_b32 vcc_lo, exec_lo, s24
	s_cbranch_vccnz .LBB54_116
; %bb.108:
	v_mov_b32_e32 v15, 0
	v_lshrrev_b32_e32 v19, 16, v17
	v_dual_mov_b32 v16, 0 :: v_dual_mov_b32 v17, s20
	v_mov_b32_e32 v18, s21
	s_mov_b32 s26, 0
	.p2align	6
.LBB54_109:                             ; =>This Inner Loop Header: Depth=1
	s_delay_alu instid0(VALU_DEP_2) | instskip(NEXT) | instid1(VALU_DEP_2)
	v_sub_co_u32 v22, vcc_lo, v17, v15
	v_sub_co_ci_u32_e32 v23, vcc_lo, v18, v16, vcc_lo
	s_delay_alu instid0(VALU_DEP_1) | instskip(SKIP_1) | instid1(VALU_DEP_2)
	v_lshrrev_b64 v[26:27], 1, v[22:23]
	v_lshrrev_b64 v[22:23], 6, v[22:23]
	v_add_co_u32 v20, vcc_lo, v26, v15
	s_delay_alu instid0(VALU_DEP_3) | instskip(NEXT) | instid1(VALU_DEP_2)
	v_add_co_ci_u32_e32 v24, vcc_lo, v27, v16, vcc_lo
	v_add_co_u32 v22, vcc_lo, v20, v22
	s_delay_alu instid0(VALU_DEP_2) | instskip(NEXT) | instid1(VALU_DEP_1)
	v_add_co_ci_u32_e32 v23, vcc_lo, v24, v23, vcc_lo
	v_lshlrev_b64 v[26:27], 1, v[22:23]
	s_delay_alu instid0(VALU_DEP_1) | instskip(NEXT) | instid1(VALU_DEP_2)
	v_add_co_u32 v26, vcc_lo, s18, v26
	v_add_co_ci_u32_e32 v27, vcc_lo, s19, v27, vcc_lo
	v_add_co_u32 v24, vcc_lo, v22, 1
	global_load_u16 v20, v[26:27], off
	v_add_co_ci_u32_e32 v26, vcc_lo, 0, v23, vcc_lo
	s_waitcnt vmcnt(0)
	v_cmp_lt_u16_e32 vcc_lo, v20, v19
	v_dual_cndmask_b32 v18, v23, v18 :: v_dual_cndmask_b32 v17, v22, v17
	s_delay_alu instid0(VALU_DEP_3) | instskip(NEXT) | instid1(VALU_DEP_1)
	v_dual_cndmask_b32 v16, v16, v26 :: v_dual_cndmask_b32 v15, v15, v24
	v_cmp_ge_u64_e32 vcc_lo, v[15:16], v[17:18]
	s_or_b32 s26, vcc_lo, s26
	s_delay_alu instid0(SALU_CYCLE_1)
	s_and_not1_b32 exec_lo, exec_lo, s26
	s_cbranch_execnz .LBB54_109
; %bb.110:
	s_or_b32 exec_lo, exec_lo, s26
.LBB54_111:
	s_delay_alu instid0(SALU_CYCLE_1)
	s_or_b32 exec_lo, exec_lo, s25
                                        ; implicit-def: $vgpr17_vgpr18
	s_and_saveexec_b32 s25, s6
	s_cbranch_execz .LBB54_117
.LBB54_112:
	v_mov_b32_e32 v17, 0
	v_mov_b32_e32 v18, 0
	s_and_not1_b32 vcc_lo, exec_lo, s24
	s_cbranch_vccnz .LBB54_117
; %bb.113:
	v_dual_mov_b32 v19, s20 :: v_dual_mov_b32 v20, s21
	s_mov_b32 s26, 0
	.p2align	6
.LBB54_114:                             ; =>This Inner Loop Header: Depth=1
	s_delay_alu instid0(VALU_DEP_1) | instskip(NEXT) | instid1(VALU_DEP_2)
	v_sub_co_u32 v22, vcc_lo, v19, v17
	v_sub_co_ci_u32_e32 v23, vcc_lo, v20, v18, vcc_lo
	s_delay_alu instid0(VALU_DEP_1) | instskip(SKIP_1) | instid1(VALU_DEP_2)
	v_lshrrev_b64 v[26:27], 1, v[22:23]
	v_lshrrev_b64 v[22:23], 6, v[22:23]
	v_add_co_u32 v24, vcc_lo, v26, v17
	s_delay_alu instid0(VALU_DEP_3) | instskip(NEXT) | instid1(VALU_DEP_2)
	v_add_co_ci_u32_e32 v26, vcc_lo, v27, v18, vcc_lo
	v_add_co_u32 v22, vcc_lo, v24, v22
	s_delay_alu instid0(VALU_DEP_2) | instskip(NEXT) | instid1(VALU_DEP_1)
	v_add_co_ci_u32_e32 v23, vcc_lo, v26, v23, vcc_lo
	v_lshlrev_b64 v[26:27], 1, v[22:23]
	s_delay_alu instid0(VALU_DEP_1) | instskip(NEXT) | instid1(VALU_DEP_2)
	v_add_co_u32 v26, vcc_lo, s18, v26
	v_add_co_ci_u32_e32 v27, vcc_lo, s19, v27, vcc_lo
	global_load_u16 v24, v[26:27], off
	v_add_co_u32 v26, vcc_lo, v22, 1
	v_add_co_ci_u32_e32 v27, vcc_lo, 0, v23, vcc_lo
	s_waitcnt vmcnt(0)
	v_cmp_lt_u16_e32 vcc_lo, v24, v21
	v_dual_cndmask_b32 v20, v23, v20 :: v_dual_cndmask_b32 v19, v22, v19
	s_delay_alu instid0(VALU_DEP_3) | instskip(NEXT) | instid1(VALU_DEP_1)
	v_dual_cndmask_b32 v18, v18, v27 :: v_dual_cndmask_b32 v17, v17, v26
	v_cmp_ge_u64_e32 vcc_lo, v[17:18], v[19:20]
	s_or_b32 s26, vcc_lo, s26
	s_delay_alu instid0(SALU_CYCLE_1)
	s_and_not1_b32 exec_lo, exec_lo, s26
	s_cbranch_execnz .LBB54_114
; %bb.115:
	s_or_b32 exec_lo, exec_lo, s26
	s_branch .LBB54_117
.LBB54_116:
	v_mov_b32_e32 v15, 0
	v_mov_b32_e32 v16, 0
	s_or_b32 exec_lo, exec_lo, s25
                                        ; implicit-def: $vgpr17_vgpr18
	s_and_saveexec_b32 s25, s6
	s_cbranch_execnz .LBB54_112
.LBB54_117:
	s_or_b32 exec_lo, exec_lo, s25
                                        ; implicit-def: $vgpr19_vgpr20
	s_and_saveexec_b32 s25, s5
	s_cbranch_execz .LBB54_122
; %bb.118:
	s_and_not1_b32 vcc_lo, exec_lo, s24
	s_cbranch_vccnz .LBB54_127
; %bb.119:
	v_lshrrev_b32_e32 v23, 16, v21
	v_dual_mov_b32 v19, 0 :: v_dual_mov_b32 v22, s21
	v_dual_mov_b32 v20, 0 :: v_dual_mov_b32 v21, s20
	s_mov_b32 s26, 0
	.p2align	6
.LBB54_120:                             ; =>This Inner Loop Header: Depth=1
	s_delay_alu instid0(VALU_DEP_1) | instskip(NEXT) | instid1(VALU_DEP_2)
	v_sub_co_u32 v26, vcc_lo, v21, v19
	v_sub_co_ci_u32_e32 v27, vcc_lo, v22, v20, vcc_lo
	s_delay_alu instid0(VALU_DEP_1) | instskip(SKIP_1) | instid1(VALU_DEP_2)
	v_lshrrev_b64 v[30:31], 1, v[26:27]
	v_lshrrev_b64 v[26:27], 6, v[26:27]
	v_add_co_u32 v24, vcc_lo, v30, v19
	s_delay_alu instid0(VALU_DEP_3) | instskip(NEXT) | instid1(VALU_DEP_2)
	v_add_co_ci_u32_e32 v28, vcc_lo, v31, v20, vcc_lo
	v_add_co_u32 v26, vcc_lo, v24, v26
	s_delay_alu instid0(VALU_DEP_2) | instskip(NEXT) | instid1(VALU_DEP_1)
	v_add_co_ci_u32_e32 v27, vcc_lo, v28, v27, vcc_lo
	v_lshlrev_b64 v[30:31], 1, v[26:27]
	s_delay_alu instid0(VALU_DEP_1) | instskip(NEXT) | instid1(VALU_DEP_2)
	v_add_co_u32 v30, vcc_lo, s18, v30
	v_add_co_ci_u32_e32 v31, vcc_lo, s19, v31, vcc_lo
	v_add_co_u32 v28, vcc_lo, v26, 1
	global_load_u16 v24, v[30:31], off
	v_add_co_ci_u32_e32 v30, vcc_lo, 0, v27, vcc_lo
	s_waitcnt vmcnt(0)
	v_cmp_lt_u16_e32 vcc_lo, v24, v23
	v_dual_cndmask_b32 v22, v27, v22 :: v_dual_cndmask_b32 v21, v26, v21
	s_delay_alu instid0(VALU_DEP_3) | instskip(NEXT) | instid1(VALU_DEP_1)
	v_dual_cndmask_b32 v20, v20, v30 :: v_dual_cndmask_b32 v19, v19, v28
	v_cmp_ge_u64_e32 vcc_lo, v[19:20], v[21:22]
	s_or_b32 s26, vcc_lo, s26
	s_delay_alu instid0(SALU_CYCLE_1)
	s_and_not1_b32 exec_lo, exec_lo, s26
	s_cbranch_execnz .LBB54_120
; %bb.121:
	s_or_b32 exec_lo, exec_lo, s26
.LBB54_122:
	s_delay_alu instid0(SALU_CYCLE_1)
	s_or_b32 exec_lo, exec_lo, s25
                                        ; implicit-def: $vgpr21_vgpr22
	s_and_saveexec_b32 s25, s3
	s_cbranch_execz .LBB54_128
.LBB54_123:
	v_mov_b32_e32 v21, 0
	v_mov_b32_e32 v22, 0
	s_and_not1_b32 vcc_lo, exec_lo, s24
	s_cbranch_vccnz .LBB54_128
; %bb.124:
	v_dual_mov_b32 v24, s21 :: v_dual_mov_b32 v23, s20
	s_mov_b32 s26, 0
	.p2align	6
.LBB54_125:                             ; =>This Inner Loop Header: Depth=1
	s_delay_alu instid0(VALU_DEP_1) | instskip(NEXT) | instid1(VALU_DEP_2)
	v_sub_co_u32 v26, vcc_lo, v23, v21
	v_sub_co_ci_u32_e32 v27, vcc_lo, v24, v22, vcc_lo
	s_delay_alu instid0(VALU_DEP_1) | instskip(SKIP_1) | instid1(VALU_DEP_2)
	v_lshrrev_b64 v[30:31], 1, v[26:27]
	v_lshrrev_b64 v[26:27], 6, v[26:27]
	v_add_co_u32 v28, vcc_lo, v30, v21
	s_delay_alu instid0(VALU_DEP_3) | instskip(NEXT) | instid1(VALU_DEP_2)
	v_add_co_ci_u32_e32 v30, vcc_lo, v31, v22, vcc_lo
	v_add_co_u32 v26, vcc_lo, v28, v26
	s_delay_alu instid0(VALU_DEP_2) | instskip(NEXT) | instid1(VALU_DEP_1)
	v_add_co_ci_u32_e32 v27, vcc_lo, v30, v27, vcc_lo
	v_lshlrev_b64 v[30:31], 1, v[26:27]
	s_delay_alu instid0(VALU_DEP_1) | instskip(NEXT) | instid1(VALU_DEP_2)
	v_add_co_u32 v30, vcc_lo, s18, v30
	v_add_co_ci_u32_e32 v31, vcc_lo, s19, v31, vcc_lo
	global_load_u16 v28, v[30:31], off
	v_add_co_u32 v30, vcc_lo, v26, 1
	v_add_co_ci_u32_e32 v31, vcc_lo, 0, v27, vcc_lo
	s_waitcnt vmcnt(0)
	v_cmp_lt_u16_e32 vcc_lo, v28, v25
	v_dual_cndmask_b32 v24, v27, v24 :: v_dual_cndmask_b32 v23, v26, v23
	s_delay_alu instid0(VALU_DEP_3) | instskip(NEXT) | instid1(VALU_DEP_1)
	v_dual_cndmask_b32 v22, v22, v31 :: v_dual_cndmask_b32 v21, v21, v30
	v_cmp_ge_u64_e32 vcc_lo, v[21:22], v[23:24]
	s_or_b32 s26, vcc_lo, s26
	s_delay_alu instid0(SALU_CYCLE_1)
	s_and_not1_b32 exec_lo, exec_lo, s26
	s_cbranch_execnz .LBB54_125
; %bb.126:
	s_or_b32 exec_lo, exec_lo, s26
	s_branch .LBB54_128
.LBB54_127:
	v_mov_b32_e32 v19, 0
	v_mov_b32_e32 v20, 0
	s_or_b32 exec_lo, exec_lo, s25
                                        ; implicit-def: $vgpr21_vgpr22
	s_and_saveexec_b32 s25, s3
	s_cbranch_execnz .LBB54_123
.LBB54_128:
	s_or_b32 exec_lo, exec_lo, s25
                                        ; implicit-def: $vgpr23_vgpr24
	s_and_saveexec_b32 s25, s4
	s_cbranch_execz .LBB54_133
; %bb.129:
	s_and_not1_b32 vcc_lo, exec_lo, s24
	s_cbranch_vccnz .LBB54_138
; %bb.130:
	v_lshrrev_b32_e32 v27, 16, v25
	v_dual_mov_b32 v23, 0 :: v_dual_mov_b32 v26, s21
	v_dual_mov_b32 v24, 0 :: v_dual_mov_b32 v25, s20
	s_mov_b32 s26, 0
	.p2align	6
.LBB54_131:                             ; =>This Inner Loop Header: Depth=1
	s_delay_alu instid0(VALU_DEP_1) | instskip(NEXT) | instid1(VALU_DEP_2)
	v_sub_co_u32 v30, vcc_lo, v25, v23
	v_sub_co_ci_u32_e32 v31, vcc_lo, v26, v24, vcc_lo
	s_delay_alu instid0(VALU_DEP_1) | instskip(SKIP_1) | instid1(VALU_DEP_2)
	v_lshrrev_b64 v[34:35], 1, v[30:31]
	v_lshrrev_b64 v[30:31], 6, v[30:31]
	v_add_co_u32 v28, vcc_lo, v34, v23
	s_delay_alu instid0(VALU_DEP_3) | instskip(NEXT) | instid1(VALU_DEP_2)
	v_add_co_ci_u32_e32 v32, vcc_lo, v35, v24, vcc_lo
	v_add_co_u32 v30, vcc_lo, v28, v30
	s_delay_alu instid0(VALU_DEP_2) | instskip(NEXT) | instid1(VALU_DEP_1)
	v_add_co_ci_u32_e32 v31, vcc_lo, v32, v31, vcc_lo
	v_lshlrev_b64 v[34:35], 1, v[30:31]
	s_delay_alu instid0(VALU_DEP_1) | instskip(NEXT) | instid1(VALU_DEP_2)
	v_add_co_u32 v34, vcc_lo, s18, v34
	v_add_co_ci_u32_e32 v35, vcc_lo, s19, v35, vcc_lo
	v_add_co_u32 v32, vcc_lo, v30, 1
	global_load_u16 v28, v[34:35], off
	v_add_co_ci_u32_e32 v34, vcc_lo, 0, v31, vcc_lo
	s_waitcnt vmcnt(0)
	v_cmp_lt_u16_e32 vcc_lo, v28, v27
	v_dual_cndmask_b32 v26, v31, v26 :: v_dual_cndmask_b32 v25, v30, v25
	s_delay_alu instid0(VALU_DEP_3) | instskip(NEXT) | instid1(VALU_DEP_1)
	v_dual_cndmask_b32 v24, v24, v34 :: v_dual_cndmask_b32 v23, v23, v32
	v_cmp_ge_u64_e32 vcc_lo, v[23:24], v[25:26]
	s_or_b32 s26, vcc_lo, s26
	s_delay_alu instid0(SALU_CYCLE_1)
	s_and_not1_b32 exec_lo, exec_lo, s26
	s_cbranch_execnz .LBB54_131
; %bb.132:
	s_or_b32 exec_lo, exec_lo, s26
.LBB54_133:
	s_delay_alu instid0(SALU_CYCLE_1)
	s_or_b32 exec_lo, exec_lo, s25
                                        ; implicit-def: $vgpr25_vgpr26
	s_and_saveexec_b32 s25, s2
	s_cbranch_execz .LBB54_139
.LBB54_134:
	v_mov_b32_e32 v25, 0
	v_mov_b32_e32 v26, 0
	s_and_not1_b32 vcc_lo, exec_lo, s24
	s_cbranch_vccnz .LBB54_139
; %bb.135:
	v_dual_mov_b32 v28, s21 :: v_dual_mov_b32 v27, s20
	s_mov_b32 s26, 0
	.p2align	6
.LBB54_136:                             ; =>This Inner Loop Header: Depth=1
	s_delay_alu instid0(VALU_DEP_1) | instskip(NEXT) | instid1(VALU_DEP_2)
	v_sub_co_u32 v30, vcc_lo, v27, v25
	v_sub_co_ci_u32_e32 v31, vcc_lo, v28, v26, vcc_lo
	s_delay_alu instid0(VALU_DEP_1) | instskip(SKIP_1) | instid1(VALU_DEP_2)
	v_lshrrev_b64 v[34:35], 1, v[30:31]
	v_lshrrev_b64 v[30:31], 6, v[30:31]
	v_add_co_u32 v32, vcc_lo, v34, v25
	s_delay_alu instid0(VALU_DEP_3) | instskip(NEXT) | instid1(VALU_DEP_2)
	v_add_co_ci_u32_e32 v34, vcc_lo, v35, v26, vcc_lo
	v_add_co_u32 v30, vcc_lo, v32, v30
	s_delay_alu instid0(VALU_DEP_2) | instskip(NEXT) | instid1(VALU_DEP_1)
	v_add_co_ci_u32_e32 v31, vcc_lo, v34, v31, vcc_lo
	v_lshlrev_b64 v[34:35], 1, v[30:31]
	s_delay_alu instid0(VALU_DEP_1) | instskip(NEXT) | instid1(VALU_DEP_2)
	v_add_co_u32 v34, vcc_lo, s18, v34
	v_add_co_ci_u32_e32 v35, vcc_lo, s19, v35, vcc_lo
	global_load_u16 v32, v[34:35], off
	v_add_co_u32 v34, vcc_lo, v30, 1
	v_add_co_ci_u32_e32 v35, vcc_lo, 0, v31, vcc_lo
	s_waitcnt vmcnt(0)
	v_cmp_lt_u16_e32 vcc_lo, v32, v29
	v_dual_cndmask_b32 v28, v31, v28 :: v_dual_cndmask_b32 v27, v30, v27
	s_delay_alu instid0(VALU_DEP_3) | instskip(NEXT) | instid1(VALU_DEP_1)
	v_dual_cndmask_b32 v26, v26, v35 :: v_dual_cndmask_b32 v25, v25, v34
	v_cmp_ge_u64_e32 vcc_lo, v[25:26], v[27:28]
	s_or_b32 s26, vcc_lo, s26
	s_delay_alu instid0(SALU_CYCLE_1)
	s_and_not1_b32 exec_lo, exec_lo, s26
	s_cbranch_execnz .LBB54_136
; %bb.137:
	s_or_b32 exec_lo, exec_lo, s26
	s_branch .LBB54_139
.LBB54_138:
	v_mov_b32_e32 v23, 0
	v_mov_b32_e32 v24, 0
	s_or_b32 exec_lo, exec_lo, s25
                                        ; implicit-def: $vgpr25_vgpr26
	s_and_saveexec_b32 s25, s2
	s_cbranch_execnz .LBB54_134
.LBB54_139:
	s_or_b32 exec_lo, exec_lo, s25
                                        ; implicit-def: $vgpr27_vgpr28
	s_and_saveexec_b32 s25, s1
	s_cbranch_execz .LBB54_144
; %bb.140:
	s_and_not1_b32 vcc_lo, exec_lo, s24
	s_cbranch_vccnz .LBB54_149
; %bb.141:
	v_lshrrev_b32_e32 v31, 16, v29
	v_dual_mov_b32 v27, 0 :: v_dual_mov_b32 v30, s21
	v_dual_mov_b32 v28, 0 :: v_dual_mov_b32 v29, s20
	s_mov_b32 s26, 0
	.p2align	6
.LBB54_142:                             ; =>This Inner Loop Header: Depth=1
	s_delay_alu instid0(VALU_DEP_1) | instskip(NEXT) | instid1(VALU_DEP_2)
	v_sub_co_u32 v34, vcc_lo, v29, v27
	v_sub_co_ci_u32_e32 v35, vcc_lo, v30, v28, vcc_lo
	s_delay_alu instid0(VALU_DEP_1) | instskip(SKIP_1) | instid1(VALU_DEP_2)
	v_lshrrev_b64 v[36:37], 1, v[34:35]
	v_lshrrev_b64 v[34:35], 6, v[34:35]
	v_add_co_u32 v32, vcc_lo, v36, v27
	s_delay_alu instid0(VALU_DEP_3) | instskip(NEXT) | instid1(VALU_DEP_2)
	v_add_co_ci_u32_e32 v36, vcc_lo, v37, v28, vcc_lo
	v_add_co_u32 v34, vcc_lo, v32, v34
	s_delay_alu instid0(VALU_DEP_2) | instskip(NEXT) | instid1(VALU_DEP_1)
	v_add_co_ci_u32_e32 v35, vcc_lo, v36, v35, vcc_lo
	v_lshlrev_b64 v[36:37], 1, v[34:35]
	s_delay_alu instid0(VALU_DEP_1) | instskip(NEXT) | instid1(VALU_DEP_2)
	v_add_co_u32 v36, vcc_lo, s18, v36
	v_add_co_ci_u32_e32 v37, vcc_lo, s19, v37, vcc_lo
	global_load_u16 v32, v[36:37], off
	v_add_co_u32 v36, vcc_lo, v34, 1
	v_add_co_ci_u32_e32 v37, vcc_lo, 0, v35, vcc_lo
	s_waitcnt vmcnt(0)
	v_cmp_lt_u16_e32 vcc_lo, v32, v31
	v_dual_cndmask_b32 v30, v35, v30 :: v_dual_cndmask_b32 v29, v34, v29
	s_delay_alu instid0(VALU_DEP_3) | instskip(NEXT) | instid1(VALU_DEP_1)
	v_dual_cndmask_b32 v28, v28, v37 :: v_dual_cndmask_b32 v27, v27, v36
	v_cmp_ge_u64_e32 vcc_lo, v[27:28], v[29:30]
	s_or_b32 s26, vcc_lo, s26
	s_delay_alu instid0(SALU_CYCLE_1)
	s_and_not1_b32 exec_lo, exec_lo, s26
	s_cbranch_execnz .LBB54_142
; %bb.143:
	s_or_b32 exec_lo, exec_lo, s26
.LBB54_144:
	s_delay_alu instid0(SALU_CYCLE_1)
	s_or_b32 exec_lo, exec_lo, s25
                                        ; implicit-def: $vgpr31_vgpr32
	s_and_saveexec_b32 s25, s0
	s_cbranch_execz .LBB54_150
.LBB54_145:
	v_mov_b32_e32 v31, 0
	v_mov_b32_e32 v32, 0
	s_and_not1_b32 vcc_lo, exec_lo, s24
	s_cbranch_vccnz .LBB54_150
; %bb.146:
	v_dual_mov_b32 v30, s21 :: v_dual_mov_b32 v29, s20
	s_mov_b32 s26, 0
	.p2align	6
.LBB54_147:                             ; =>This Inner Loop Header: Depth=1
	s_delay_alu instid0(VALU_DEP_1) | instskip(NEXT) | instid1(VALU_DEP_2)
	v_sub_co_u32 v34, vcc_lo, v29, v31
	v_sub_co_ci_u32_e32 v35, vcc_lo, v30, v32, vcc_lo
	s_delay_alu instid0(VALU_DEP_1) | instskip(SKIP_1) | instid1(VALU_DEP_2)
	v_lshrrev_b64 v[36:37], 1, v[34:35]
	v_lshrrev_b64 v[34:35], 6, v[34:35]
	v_add_co_u32 v36, vcc_lo, v36, v31
	s_delay_alu instid0(VALU_DEP_3) | instskip(NEXT) | instid1(VALU_DEP_2)
	v_add_co_ci_u32_e32 v37, vcc_lo, v37, v32, vcc_lo
	v_add_co_u32 v34, vcc_lo, v36, v34
	s_delay_alu instid0(VALU_DEP_2) | instskip(NEXT) | instid1(VALU_DEP_1)
	v_add_co_ci_u32_e32 v35, vcc_lo, v37, v35, vcc_lo
	v_lshlrev_b64 v[36:37], 1, v[34:35]
	s_delay_alu instid0(VALU_DEP_1) | instskip(NEXT) | instid1(VALU_DEP_2)
	v_add_co_u32 v36, vcc_lo, s18, v36
	v_add_co_ci_u32_e32 v37, vcc_lo, s19, v37, vcc_lo
	global_load_u16 v36, v[36:37], off
	v_add_co_u32 v37, vcc_lo, v34, 1
	v_add_co_ci_u32_e32 v38, vcc_lo, 0, v35, vcc_lo
	s_waitcnt vmcnt(0)
	v_cmp_lt_u16_e32 vcc_lo, v36, v33
	v_dual_cndmask_b32 v30, v35, v30 :: v_dual_cndmask_b32 v29, v34, v29
	s_delay_alu instid0(VALU_DEP_3) | instskip(NEXT) | instid1(VALU_DEP_1)
	v_dual_cndmask_b32 v32, v32, v38 :: v_dual_cndmask_b32 v31, v31, v37
	v_cmp_ge_u64_e32 vcc_lo, v[31:32], v[29:30]
	s_or_b32 s26, vcc_lo, s26
	s_delay_alu instid0(SALU_CYCLE_1)
	s_and_not1_b32 exec_lo, exec_lo, s26
	s_cbranch_execnz .LBB54_147
; %bb.148:
	s_or_b32 exec_lo, exec_lo, s26
	s_branch .LBB54_150
.LBB54_149:
	v_mov_b32_e32 v27, 0
	v_mov_b32_e32 v28, 0
	s_or_b32 exec_lo, exec_lo, s25
                                        ; implicit-def: $vgpr31_vgpr32
	s_and_saveexec_b32 s25, s0
	s_cbranch_execnz .LBB54_145
.LBB54_150:
	s_or_b32 exec_lo, exec_lo, s25
                                        ; implicit-def: $vgpr29_vgpr30
	s_and_saveexec_b32 s25, s15
	s_cbranch_execz .LBB54_156
; %bb.151:
	s_and_not1_b32 vcc_lo, exec_lo, s24
	s_cbranch_vccnz .LBB54_155
; %bb.152:
	v_lshrrev_b32_e32 v35, 16, v33
	v_dual_mov_b32 v29, 0 :: v_dual_mov_b32 v34, s21
	v_dual_mov_b32 v30, 0 :: v_dual_mov_b32 v33, s20
	s_mov_b32 s20, 0
	.p2align	6
.LBB54_153:                             ; =>This Inner Loop Header: Depth=1
	s_delay_alu instid0(VALU_DEP_1) | instskip(NEXT) | instid1(VALU_DEP_2)
	v_sub_co_u32 v36, vcc_lo, v33, v29
	v_sub_co_ci_u32_e32 v37, vcc_lo, v34, v30, vcc_lo
	s_delay_alu instid0(VALU_DEP_1) | instskip(SKIP_1) | instid1(VALU_DEP_2)
	v_lshrrev_b64 v[38:39], 1, v[36:37]
	v_lshrrev_b64 v[36:37], 6, v[36:37]
	v_add_co_u32 v38, vcc_lo, v38, v29
	s_delay_alu instid0(VALU_DEP_3) | instskip(NEXT) | instid1(VALU_DEP_2)
	v_add_co_ci_u32_e32 v39, vcc_lo, v39, v30, vcc_lo
	v_add_co_u32 v36, vcc_lo, v38, v36
	s_delay_alu instid0(VALU_DEP_2) | instskip(NEXT) | instid1(VALU_DEP_1)
	v_add_co_ci_u32_e32 v37, vcc_lo, v39, v37, vcc_lo
	v_lshlrev_b64 v[38:39], 1, v[36:37]
	s_delay_alu instid0(VALU_DEP_1) | instskip(NEXT) | instid1(VALU_DEP_2)
	v_add_co_u32 v38, vcc_lo, s18, v38
	v_add_co_ci_u32_e32 v39, vcc_lo, s19, v39, vcc_lo
	global_load_u16 v38, v[38:39], off
	v_add_co_u32 v39, vcc_lo, v36, 1
	v_add_co_ci_u32_e32 v40, vcc_lo, 0, v37, vcc_lo
	s_waitcnt vmcnt(0)
	v_cmp_lt_u16_e32 vcc_lo, v38, v35
	v_dual_cndmask_b32 v34, v37, v34 :: v_dual_cndmask_b32 v33, v36, v33
	s_delay_alu instid0(VALU_DEP_3) | instskip(NEXT) | instid1(VALU_DEP_1)
	v_dual_cndmask_b32 v30, v30, v40 :: v_dual_cndmask_b32 v29, v29, v39
	v_cmp_ge_u64_e32 vcc_lo, v[29:30], v[33:34]
	s_or_b32 s20, vcc_lo, s20
	s_delay_alu instid0(SALU_CYCLE_1)
	s_and_not1_b32 exec_lo, exec_lo, s20
	s_cbranch_execnz .LBB54_153
; %bb.154:
	s_or_b32 exec_lo, exec_lo, s20
	s_branch .LBB54_156
.LBB54_155:
	v_mov_b32_e32 v29, 0
	v_mov_b32_e32 v30, 0
.LBB54_156:
	s_or_b32 exec_lo, exec_lo, s25
	v_lshlrev_b32_e32 v0, 3, v0
	s_lshl_b64 s[16:17], s[16:17], 3
	s_delay_alu instid0(SALU_CYCLE_1) | instskip(SKIP_1) | instid1(VALU_DEP_1)
	s_add_u32 s16, s22, s16
	s_addc_u32 s17, s23, s17
	v_add_co_u32 v33, s16, s16, v0
	s_delay_alu instid0(VALU_DEP_1) | instskip(SKIP_1) | instid1(SALU_CYCLE_1)
	v_add_co_ci_u32_e64 v34, null, s17, 0, s16
	s_and_saveexec_b32 s16, s14
	s_xor_b32 s14, exec_lo, s16
	s_cbranch_execz .LBB54_158
; %bb.157:
	global_store_b64 v[33:34], v[1:2], off
.LBB54_158:
	s_or_b32 exec_lo, exec_lo, s14
	s_and_saveexec_b32 s14, s13
	s_cbranch_execnz .LBB54_177
; %bb.159:
	s_or_b32 exec_lo, exec_lo, s14
	s_and_saveexec_b32 s13, s12
	s_cbranch_execnz .LBB54_178
.LBB54_160:
	s_or_b32 exec_lo, exec_lo, s13
	s_and_saveexec_b32 s12, s10
	s_cbranch_execnz .LBB54_179
.LBB54_161:
	s_or_b32 exec_lo, exec_lo, s12
	s_and_saveexec_b32 s10, s8
	s_cbranch_execnz .LBB54_180
.LBB54_162:
	s_or_b32 exec_lo, exec_lo, s10
	s_and_saveexec_b32 s8, s11
	s_cbranch_execnz .LBB54_181
.LBB54_163:
	s_or_b32 exec_lo, exec_lo, s8
	s_and_saveexec_b32 s8, s9
	s_cbranch_execnz .LBB54_182
.LBB54_164:
	s_or_b32 exec_lo, exec_lo, s8
	s_and_saveexec_b32 s8, s7
	s_cbranch_execnz .LBB54_183
.LBB54_165:
	s_or_b32 exec_lo, exec_lo, s8
	s_and_saveexec_b32 s7, s6
	s_cbranch_execnz .LBB54_184
.LBB54_166:
	s_or_b32 exec_lo, exec_lo, s7
	s_and_saveexec_b32 s6, s5
	s_cbranch_execnz .LBB54_185
.LBB54_167:
	s_or_b32 exec_lo, exec_lo, s6
	s_and_saveexec_b32 s5, s3
	s_cbranch_execnz .LBB54_186
.LBB54_168:
	s_or_b32 exec_lo, exec_lo, s5
	s_and_saveexec_b32 s3, s4
	s_cbranch_execnz .LBB54_187
.LBB54_169:
	s_or_b32 exec_lo, exec_lo, s3
	s_and_saveexec_b32 s3, s2
	s_cbranch_execnz .LBB54_188
.LBB54_170:
	s_or_b32 exec_lo, exec_lo, s3
	s_and_saveexec_b32 s2, s1
	s_cbranch_execnz .LBB54_189
.LBB54_171:
	s_or_b32 exec_lo, exec_lo, s2
	s_and_saveexec_b32 s1, s0
	s_cbranch_execz .LBB54_173
.LBB54_172:
	v_add_co_u32 v0, vcc_lo, 0x1000, v33
	v_add_co_ci_u32_e32 v1, vcc_lo, 0, v34, vcc_lo
	global_store_b64 v[0:1], v[31:32], off offset:3072
.LBB54_173:
	s_or_b32 exec_lo, exec_lo, s1
.LBB54_174:
	s_and_saveexec_b32 s0, s15
	s_cbranch_execnz .LBB54_176
; %bb.175:
	s_nop 0
	s_sendmsg sendmsg(MSG_DEALLOC_VGPRS)
	s_endpgm
.LBB54_176:
	v_add_co_u32 v0, vcc_lo, 0x1000, v33
	v_add_co_ci_u32_e32 v1, vcc_lo, 0, v34, vcc_lo
	global_store_b64 v[0:1], v[29:30], off offset:3584
	s_nop 0
	s_sendmsg sendmsg(MSG_DEALLOC_VGPRS)
	s_endpgm
.LBB54_177:
	global_store_b64 v[33:34], v[3:4], off offset:512
	s_or_b32 exec_lo, exec_lo, s14
	s_and_saveexec_b32 s13, s12
	s_cbranch_execz .LBB54_160
.LBB54_178:
	global_store_b64 v[33:34], v[5:6], off offset:1024
	s_or_b32 exec_lo, exec_lo, s13
	s_and_saveexec_b32 s12, s10
	s_cbranch_execz .LBB54_161
.LBB54_179:
	global_store_b64 v[33:34], v[7:8], off offset:1536
	s_or_b32 exec_lo, exec_lo, s12
	s_and_saveexec_b32 s10, s8
	s_cbranch_execz .LBB54_162
.LBB54_180:
	global_store_b64 v[33:34], v[9:10], off offset:2048
	s_or_b32 exec_lo, exec_lo, s10
	s_and_saveexec_b32 s8, s11
	s_cbranch_execz .LBB54_163
.LBB54_181:
	global_store_b64 v[33:34], v[11:12], off offset:2560
	s_or_b32 exec_lo, exec_lo, s8
	s_and_saveexec_b32 s8, s9
	s_cbranch_execz .LBB54_164
.LBB54_182:
	global_store_b64 v[33:34], v[13:14], off offset:3072
	s_or_b32 exec_lo, exec_lo, s8
	s_and_saveexec_b32 s8, s7
	s_cbranch_execz .LBB54_165
.LBB54_183:
	global_store_b64 v[33:34], v[15:16], off offset:3584
	s_or_b32 exec_lo, exec_lo, s8
	s_and_saveexec_b32 s7, s6
	s_cbranch_execz .LBB54_166
.LBB54_184:
	v_add_co_u32 v0, vcc_lo, 0x1000, v33
	v_add_co_ci_u32_e32 v1, vcc_lo, 0, v34, vcc_lo
	global_store_b64 v[0:1], v[17:18], off
	s_or_b32 exec_lo, exec_lo, s7
	s_and_saveexec_b32 s6, s5
	s_cbranch_execz .LBB54_167
.LBB54_185:
	v_add_co_u32 v0, vcc_lo, 0x1000, v33
	v_add_co_ci_u32_e32 v1, vcc_lo, 0, v34, vcc_lo
	global_store_b64 v[0:1], v[19:20], off offset:512
	s_or_b32 exec_lo, exec_lo, s6
	s_and_saveexec_b32 s5, s3
	s_cbranch_execz .LBB54_168
.LBB54_186:
	v_add_co_u32 v0, vcc_lo, 0x1000, v33
	v_add_co_ci_u32_e32 v1, vcc_lo, 0, v34, vcc_lo
	global_store_b64 v[0:1], v[21:22], off offset:1024
	s_or_b32 exec_lo, exec_lo, s5
	s_and_saveexec_b32 s3, s4
	s_cbranch_execz .LBB54_169
.LBB54_187:
	v_add_co_u32 v0, vcc_lo, 0x1000, v33
	v_add_co_ci_u32_e32 v1, vcc_lo, 0, v34, vcc_lo
	global_store_b64 v[0:1], v[23:24], off offset:1536
	s_or_b32 exec_lo, exec_lo, s3
	s_and_saveexec_b32 s3, s2
	s_cbranch_execz .LBB54_170
.LBB54_188:
	v_add_co_u32 v0, vcc_lo, 0x1000, v33
	v_add_co_ci_u32_e32 v1, vcc_lo, 0, v34, vcc_lo
	global_store_b64 v[0:1], v[25:26], off offset:2048
	s_or_b32 exec_lo, exec_lo, s3
	s_and_saveexec_b32 s2, s1
	s_cbranch_execz .LBB54_171
.LBB54_189:
	v_add_co_u32 v0, vcc_lo, 0x1000, v33
	v_add_co_ci_u32_e32 v1, vcc_lo, 0, v34, vcc_lo
	global_store_b64 v[0:1], v[27:28], off offset:2560
	s_or_b32 exec_lo, exec_lo, s2
	s_and_saveexec_b32 s1, s0
	s_cbranch_execnz .LBB54_172
	s_branch .LBB54_173
	.section	.rodata,"a",@progbits
	.p2align	6, 0x0
	.amdhsa_kernel _ZN7rocprim17ROCPRIM_400000_NS6detail17trampoline_kernelINS0_14default_configENS1_27lower_bound_config_selectorItlEEZNS1_14transform_implILb0ES3_S5_N6thrust23THRUST_200600_302600_NS17counting_iteratorItNS8_11use_defaultESA_SA_EEPlZNS1_13binary_searchIS3_S5_PtSB_SC_NS1_21lower_bound_search_opENS8_6detail16wrapped_functionI11custom_lessbEEEE10hipError_tPvRmT1_T2_T3_mmT4_T5_P12ihipStream_tbEUlRKtE_EESK_SO_SP_mSQ_ST_bEUlT_E_NS1_11comp_targetILNS1_3genE9ELNS1_11target_archE1100ELNS1_3gpuE3ELNS1_3repE0EEENS1_30default_config_static_selectorELNS0_4arch9wavefront6targetE0EEEvSN_
		.amdhsa_group_segment_fixed_size 0
		.amdhsa_private_segment_fixed_size 0
		.amdhsa_kernarg_size 312
		.amdhsa_user_sgpr_count 15
		.amdhsa_user_sgpr_dispatch_ptr 0
		.amdhsa_user_sgpr_queue_ptr 0
		.amdhsa_user_sgpr_kernarg_segment_ptr 1
		.amdhsa_user_sgpr_dispatch_id 0
		.amdhsa_user_sgpr_private_segment_size 0
		.amdhsa_wavefront_size32 1
		.amdhsa_uses_dynamic_stack 0
		.amdhsa_enable_private_segment 0
		.amdhsa_system_sgpr_workgroup_id_x 1
		.amdhsa_system_sgpr_workgroup_id_y 0
		.amdhsa_system_sgpr_workgroup_id_z 0
		.amdhsa_system_sgpr_workgroup_info 0
		.amdhsa_system_vgpr_workitem_id 0
		.amdhsa_next_free_vgpr 41
		.amdhsa_next_free_sgpr 27
		.amdhsa_reserve_vcc 1
		.amdhsa_float_round_mode_32 0
		.amdhsa_float_round_mode_16_64 0
		.amdhsa_float_denorm_mode_32 3
		.amdhsa_float_denorm_mode_16_64 3
		.amdhsa_dx10_clamp 1
		.amdhsa_ieee_mode 1
		.amdhsa_fp16_overflow 0
		.amdhsa_workgroup_processor_mode 1
		.amdhsa_memory_ordered 1
		.amdhsa_forward_progress 0
		.amdhsa_shared_vgpr_count 0
		.amdhsa_exception_fp_ieee_invalid_op 0
		.amdhsa_exception_fp_denorm_src 0
		.amdhsa_exception_fp_ieee_div_zero 0
		.amdhsa_exception_fp_ieee_overflow 0
		.amdhsa_exception_fp_ieee_underflow 0
		.amdhsa_exception_fp_ieee_inexact 0
		.amdhsa_exception_int_div_zero 0
	.end_amdhsa_kernel
	.section	.text._ZN7rocprim17ROCPRIM_400000_NS6detail17trampoline_kernelINS0_14default_configENS1_27lower_bound_config_selectorItlEEZNS1_14transform_implILb0ES3_S5_N6thrust23THRUST_200600_302600_NS17counting_iteratorItNS8_11use_defaultESA_SA_EEPlZNS1_13binary_searchIS3_S5_PtSB_SC_NS1_21lower_bound_search_opENS8_6detail16wrapped_functionI11custom_lessbEEEE10hipError_tPvRmT1_T2_T3_mmT4_T5_P12ihipStream_tbEUlRKtE_EESK_SO_SP_mSQ_ST_bEUlT_E_NS1_11comp_targetILNS1_3genE9ELNS1_11target_archE1100ELNS1_3gpuE3ELNS1_3repE0EEENS1_30default_config_static_selectorELNS0_4arch9wavefront6targetE0EEEvSN_,"axG",@progbits,_ZN7rocprim17ROCPRIM_400000_NS6detail17trampoline_kernelINS0_14default_configENS1_27lower_bound_config_selectorItlEEZNS1_14transform_implILb0ES3_S5_N6thrust23THRUST_200600_302600_NS17counting_iteratorItNS8_11use_defaultESA_SA_EEPlZNS1_13binary_searchIS3_S5_PtSB_SC_NS1_21lower_bound_search_opENS8_6detail16wrapped_functionI11custom_lessbEEEE10hipError_tPvRmT1_T2_T3_mmT4_T5_P12ihipStream_tbEUlRKtE_EESK_SO_SP_mSQ_ST_bEUlT_E_NS1_11comp_targetILNS1_3genE9ELNS1_11target_archE1100ELNS1_3gpuE3ELNS1_3repE0EEENS1_30default_config_static_selectorELNS0_4arch9wavefront6targetE0EEEvSN_,comdat
.Lfunc_end54:
	.size	_ZN7rocprim17ROCPRIM_400000_NS6detail17trampoline_kernelINS0_14default_configENS1_27lower_bound_config_selectorItlEEZNS1_14transform_implILb0ES3_S5_N6thrust23THRUST_200600_302600_NS17counting_iteratorItNS8_11use_defaultESA_SA_EEPlZNS1_13binary_searchIS3_S5_PtSB_SC_NS1_21lower_bound_search_opENS8_6detail16wrapped_functionI11custom_lessbEEEE10hipError_tPvRmT1_T2_T3_mmT4_T5_P12ihipStream_tbEUlRKtE_EESK_SO_SP_mSQ_ST_bEUlT_E_NS1_11comp_targetILNS1_3genE9ELNS1_11target_archE1100ELNS1_3gpuE3ELNS1_3repE0EEENS1_30default_config_static_selectorELNS0_4arch9wavefront6targetE0EEEvSN_, .Lfunc_end54-_ZN7rocprim17ROCPRIM_400000_NS6detail17trampoline_kernelINS0_14default_configENS1_27lower_bound_config_selectorItlEEZNS1_14transform_implILb0ES3_S5_N6thrust23THRUST_200600_302600_NS17counting_iteratorItNS8_11use_defaultESA_SA_EEPlZNS1_13binary_searchIS3_S5_PtSB_SC_NS1_21lower_bound_search_opENS8_6detail16wrapped_functionI11custom_lessbEEEE10hipError_tPvRmT1_T2_T3_mmT4_T5_P12ihipStream_tbEUlRKtE_EESK_SO_SP_mSQ_ST_bEUlT_E_NS1_11comp_targetILNS1_3genE9ELNS1_11target_archE1100ELNS1_3gpuE3ELNS1_3repE0EEENS1_30default_config_static_selectorELNS0_4arch9wavefront6targetE0EEEvSN_
                                        ; -- End function
	.section	.AMDGPU.csdata,"",@progbits
; Kernel info:
; codeLenInByte = 8612
; NumSgprs: 29
; NumVgprs: 41
; ScratchSize: 0
; MemoryBound: 0
; FloatMode: 240
; IeeeMode: 1
; LDSByteSize: 0 bytes/workgroup (compile time only)
; SGPRBlocks: 3
; VGPRBlocks: 5
; NumSGPRsForWavesPerEU: 29
; NumVGPRsForWavesPerEU: 41
; Occupancy: 16
; WaveLimiterHint : 1
; COMPUTE_PGM_RSRC2:SCRATCH_EN: 0
; COMPUTE_PGM_RSRC2:USER_SGPR: 15
; COMPUTE_PGM_RSRC2:TRAP_HANDLER: 0
; COMPUTE_PGM_RSRC2:TGID_X_EN: 1
; COMPUTE_PGM_RSRC2:TGID_Y_EN: 0
; COMPUTE_PGM_RSRC2:TGID_Z_EN: 0
; COMPUTE_PGM_RSRC2:TIDIG_COMP_CNT: 0
	.section	.text._ZN7rocprim17ROCPRIM_400000_NS6detail17trampoline_kernelINS0_14default_configENS1_27lower_bound_config_selectorItlEEZNS1_14transform_implILb0ES3_S5_N6thrust23THRUST_200600_302600_NS17counting_iteratorItNS8_11use_defaultESA_SA_EEPlZNS1_13binary_searchIS3_S5_PtSB_SC_NS1_21lower_bound_search_opENS8_6detail16wrapped_functionI11custom_lessbEEEE10hipError_tPvRmT1_T2_T3_mmT4_T5_P12ihipStream_tbEUlRKtE_EESK_SO_SP_mSQ_ST_bEUlT_E_NS1_11comp_targetILNS1_3genE8ELNS1_11target_archE1030ELNS1_3gpuE2ELNS1_3repE0EEENS1_30default_config_static_selectorELNS0_4arch9wavefront6targetE0EEEvSN_,"axG",@progbits,_ZN7rocprim17ROCPRIM_400000_NS6detail17trampoline_kernelINS0_14default_configENS1_27lower_bound_config_selectorItlEEZNS1_14transform_implILb0ES3_S5_N6thrust23THRUST_200600_302600_NS17counting_iteratorItNS8_11use_defaultESA_SA_EEPlZNS1_13binary_searchIS3_S5_PtSB_SC_NS1_21lower_bound_search_opENS8_6detail16wrapped_functionI11custom_lessbEEEE10hipError_tPvRmT1_T2_T3_mmT4_T5_P12ihipStream_tbEUlRKtE_EESK_SO_SP_mSQ_ST_bEUlT_E_NS1_11comp_targetILNS1_3genE8ELNS1_11target_archE1030ELNS1_3gpuE2ELNS1_3repE0EEENS1_30default_config_static_selectorELNS0_4arch9wavefront6targetE0EEEvSN_,comdat
	.protected	_ZN7rocprim17ROCPRIM_400000_NS6detail17trampoline_kernelINS0_14default_configENS1_27lower_bound_config_selectorItlEEZNS1_14transform_implILb0ES3_S5_N6thrust23THRUST_200600_302600_NS17counting_iteratorItNS8_11use_defaultESA_SA_EEPlZNS1_13binary_searchIS3_S5_PtSB_SC_NS1_21lower_bound_search_opENS8_6detail16wrapped_functionI11custom_lessbEEEE10hipError_tPvRmT1_T2_T3_mmT4_T5_P12ihipStream_tbEUlRKtE_EESK_SO_SP_mSQ_ST_bEUlT_E_NS1_11comp_targetILNS1_3genE8ELNS1_11target_archE1030ELNS1_3gpuE2ELNS1_3repE0EEENS1_30default_config_static_selectorELNS0_4arch9wavefront6targetE0EEEvSN_ ; -- Begin function _ZN7rocprim17ROCPRIM_400000_NS6detail17trampoline_kernelINS0_14default_configENS1_27lower_bound_config_selectorItlEEZNS1_14transform_implILb0ES3_S5_N6thrust23THRUST_200600_302600_NS17counting_iteratorItNS8_11use_defaultESA_SA_EEPlZNS1_13binary_searchIS3_S5_PtSB_SC_NS1_21lower_bound_search_opENS8_6detail16wrapped_functionI11custom_lessbEEEE10hipError_tPvRmT1_T2_T3_mmT4_T5_P12ihipStream_tbEUlRKtE_EESK_SO_SP_mSQ_ST_bEUlT_E_NS1_11comp_targetILNS1_3genE8ELNS1_11target_archE1030ELNS1_3gpuE2ELNS1_3repE0EEENS1_30default_config_static_selectorELNS0_4arch9wavefront6targetE0EEEvSN_
	.globl	_ZN7rocprim17ROCPRIM_400000_NS6detail17trampoline_kernelINS0_14default_configENS1_27lower_bound_config_selectorItlEEZNS1_14transform_implILb0ES3_S5_N6thrust23THRUST_200600_302600_NS17counting_iteratorItNS8_11use_defaultESA_SA_EEPlZNS1_13binary_searchIS3_S5_PtSB_SC_NS1_21lower_bound_search_opENS8_6detail16wrapped_functionI11custom_lessbEEEE10hipError_tPvRmT1_T2_T3_mmT4_T5_P12ihipStream_tbEUlRKtE_EESK_SO_SP_mSQ_ST_bEUlT_E_NS1_11comp_targetILNS1_3genE8ELNS1_11target_archE1030ELNS1_3gpuE2ELNS1_3repE0EEENS1_30default_config_static_selectorELNS0_4arch9wavefront6targetE0EEEvSN_
	.p2align	8
	.type	_ZN7rocprim17ROCPRIM_400000_NS6detail17trampoline_kernelINS0_14default_configENS1_27lower_bound_config_selectorItlEEZNS1_14transform_implILb0ES3_S5_N6thrust23THRUST_200600_302600_NS17counting_iteratorItNS8_11use_defaultESA_SA_EEPlZNS1_13binary_searchIS3_S5_PtSB_SC_NS1_21lower_bound_search_opENS8_6detail16wrapped_functionI11custom_lessbEEEE10hipError_tPvRmT1_T2_T3_mmT4_T5_P12ihipStream_tbEUlRKtE_EESK_SO_SP_mSQ_ST_bEUlT_E_NS1_11comp_targetILNS1_3genE8ELNS1_11target_archE1030ELNS1_3gpuE2ELNS1_3repE0EEENS1_30default_config_static_selectorELNS0_4arch9wavefront6targetE0EEEvSN_,@function
_ZN7rocprim17ROCPRIM_400000_NS6detail17trampoline_kernelINS0_14default_configENS1_27lower_bound_config_selectorItlEEZNS1_14transform_implILb0ES3_S5_N6thrust23THRUST_200600_302600_NS17counting_iteratorItNS8_11use_defaultESA_SA_EEPlZNS1_13binary_searchIS3_S5_PtSB_SC_NS1_21lower_bound_search_opENS8_6detail16wrapped_functionI11custom_lessbEEEE10hipError_tPvRmT1_T2_T3_mmT4_T5_P12ihipStream_tbEUlRKtE_EESK_SO_SP_mSQ_ST_bEUlT_E_NS1_11comp_targetILNS1_3genE8ELNS1_11target_archE1030ELNS1_3gpuE2ELNS1_3repE0EEENS1_30default_config_static_selectorELNS0_4arch9wavefront6targetE0EEEvSN_: ; @_ZN7rocprim17ROCPRIM_400000_NS6detail17trampoline_kernelINS0_14default_configENS1_27lower_bound_config_selectorItlEEZNS1_14transform_implILb0ES3_S5_N6thrust23THRUST_200600_302600_NS17counting_iteratorItNS8_11use_defaultESA_SA_EEPlZNS1_13binary_searchIS3_S5_PtSB_SC_NS1_21lower_bound_search_opENS8_6detail16wrapped_functionI11custom_lessbEEEE10hipError_tPvRmT1_T2_T3_mmT4_T5_P12ihipStream_tbEUlRKtE_EESK_SO_SP_mSQ_ST_bEUlT_E_NS1_11comp_targetILNS1_3genE8ELNS1_11target_archE1030ELNS1_3gpuE2ELNS1_3repE0EEENS1_30default_config_static_selectorELNS0_4arch9wavefront6targetE0EEEvSN_
; %bb.0:
	.section	.rodata,"a",@progbits
	.p2align	6, 0x0
	.amdhsa_kernel _ZN7rocprim17ROCPRIM_400000_NS6detail17trampoline_kernelINS0_14default_configENS1_27lower_bound_config_selectorItlEEZNS1_14transform_implILb0ES3_S5_N6thrust23THRUST_200600_302600_NS17counting_iteratorItNS8_11use_defaultESA_SA_EEPlZNS1_13binary_searchIS3_S5_PtSB_SC_NS1_21lower_bound_search_opENS8_6detail16wrapped_functionI11custom_lessbEEEE10hipError_tPvRmT1_T2_T3_mmT4_T5_P12ihipStream_tbEUlRKtE_EESK_SO_SP_mSQ_ST_bEUlT_E_NS1_11comp_targetILNS1_3genE8ELNS1_11target_archE1030ELNS1_3gpuE2ELNS1_3repE0EEENS1_30default_config_static_selectorELNS0_4arch9wavefront6targetE0EEEvSN_
		.amdhsa_group_segment_fixed_size 0
		.amdhsa_private_segment_fixed_size 0
		.amdhsa_kernarg_size 56
		.amdhsa_user_sgpr_count 15
		.amdhsa_user_sgpr_dispatch_ptr 0
		.amdhsa_user_sgpr_queue_ptr 0
		.amdhsa_user_sgpr_kernarg_segment_ptr 1
		.amdhsa_user_sgpr_dispatch_id 0
		.amdhsa_user_sgpr_private_segment_size 0
		.amdhsa_wavefront_size32 1
		.amdhsa_uses_dynamic_stack 0
		.amdhsa_enable_private_segment 0
		.amdhsa_system_sgpr_workgroup_id_x 1
		.amdhsa_system_sgpr_workgroup_id_y 0
		.amdhsa_system_sgpr_workgroup_id_z 0
		.amdhsa_system_sgpr_workgroup_info 0
		.amdhsa_system_vgpr_workitem_id 0
		.amdhsa_next_free_vgpr 1
		.amdhsa_next_free_sgpr 1
		.amdhsa_reserve_vcc 0
		.amdhsa_float_round_mode_32 0
		.amdhsa_float_round_mode_16_64 0
		.amdhsa_float_denorm_mode_32 3
		.amdhsa_float_denorm_mode_16_64 3
		.amdhsa_dx10_clamp 1
		.amdhsa_ieee_mode 1
		.amdhsa_fp16_overflow 0
		.amdhsa_workgroup_processor_mode 1
		.amdhsa_memory_ordered 1
		.amdhsa_forward_progress 0
		.amdhsa_shared_vgpr_count 0
		.amdhsa_exception_fp_ieee_invalid_op 0
		.amdhsa_exception_fp_denorm_src 0
		.amdhsa_exception_fp_ieee_div_zero 0
		.amdhsa_exception_fp_ieee_overflow 0
		.amdhsa_exception_fp_ieee_underflow 0
		.amdhsa_exception_fp_ieee_inexact 0
		.amdhsa_exception_int_div_zero 0
	.end_amdhsa_kernel
	.section	.text._ZN7rocprim17ROCPRIM_400000_NS6detail17trampoline_kernelINS0_14default_configENS1_27lower_bound_config_selectorItlEEZNS1_14transform_implILb0ES3_S5_N6thrust23THRUST_200600_302600_NS17counting_iteratorItNS8_11use_defaultESA_SA_EEPlZNS1_13binary_searchIS3_S5_PtSB_SC_NS1_21lower_bound_search_opENS8_6detail16wrapped_functionI11custom_lessbEEEE10hipError_tPvRmT1_T2_T3_mmT4_T5_P12ihipStream_tbEUlRKtE_EESK_SO_SP_mSQ_ST_bEUlT_E_NS1_11comp_targetILNS1_3genE8ELNS1_11target_archE1030ELNS1_3gpuE2ELNS1_3repE0EEENS1_30default_config_static_selectorELNS0_4arch9wavefront6targetE0EEEvSN_,"axG",@progbits,_ZN7rocprim17ROCPRIM_400000_NS6detail17trampoline_kernelINS0_14default_configENS1_27lower_bound_config_selectorItlEEZNS1_14transform_implILb0ES3_S5_N6thrust23THRUST_200600_302600_NS17counting_iteratorItNS8_11use_defaultESA_SA_EEPlZNS1_13binary_searchIS3_S5_PtSB_SC_NS1_21lower_bound_search_opENS8_6detail16wrapped_functionI11custom_lessbEEEE10hipError_tPvRmT1_T2_T3_mmT4_T5_P12ihipStream_tbEUlRKtE_EESK_SO_SP_mSQ_ST_bEUlT_E_NS1_11comp_targetILNS1_3genE8ELNS1_11target_archE1030ELNS1_3gpuE2ELNS1_3repE0EEENS1_30default_config_static_selectorELNS0_4arch9wavefront6targetE0EEEvSN_,comdat
.Lfunc_end55:
	.size	_ZN7rocprim17ROCPRIM_400000_NS6detail17trampoline_kernelINS0_14default_configENS1_27lower_bound_config_selectorItlEEZNS1_14transform_implILb0ES3_S5_N6thrust23THRUST_200600_302600_NS17counting_iteratorItNS8_11use_defaultESA_SA_EEPlZNS1_13binary_searchIS3_S5_PtSB_SC_NS1_21lower_bound_search_opENS8_6detail16wrapped_functionI11custom_lessbEEEE10hipError_tPvRmT1_T2_T3_mmT4_T5_P12ihipStream_tbEUlRKtE_EESK_SO_SP_mSQ_ST_bEUlT_E_NS1_11comp_targetILNS1_3genE8ELNS1_11target_archE1030ELNS1_3gpuE2ELNS1_3repE0EEENS1_30default_config_static_selectorELNS0_4arch9wavefront6targetE0EEEvSN_, .Lfunc_end55-_ZN7rocprim17ROCPRIM_400000_NS6detail17trampoline_kernelINS0_14default_configENS1_27lower_bound_config_selectorItlEEZNS1_14transform_implILb0ES3_S5_N6thrust23THRUST_200600_302600_NS17counting_iteratorItNS8_11use_defaultESA_SA_EEPlZNS1_13binary_searchIS3_S5_PtSB_SC_NS1_21lower_bound_search_opENS8_6detail16wrapped_functionI11custom_lessbEEEE10hipError_tPvRmT1_T2_T3_mmT4_T5_P12ihipStream_tbEUlRKtE_EESK_SO_SP_mSQ_ST_bEUlT_E_NS1_11comp_targetILNS1_3genE8ELNS1_11target_archE1030ELNS1_3gpuE2ELNS1_3repE0EEENS1_30default_config_static_selectorELNS0_4arch9wavefront6targetE0EEEvSN_
                                        ; -- End function
	.section	.AMDGPU.csdata,"",@progbits
; Kernel info:
; codeLenInByte = 0
; NumSgprs: 0
; NumVgprs: 0
; ScratchSize: 0
; MemoryBound: 0
; FloatMode: 240
; IeeeMode: 1
; LDSByteSize: 0 bytes/workgroup (compile time only)
; SGPRBlocks: 0
; VGPRBlocks: 0
; NumSGPRsForWavesPerEU: 1
; NumVGPRsForWavesPerEU: 1
; Occupancy: 16
; WaveLimiterHint : 0
; COMPUTE_PGM_RSRC2:SCRATCH_EN: 0
; COMPUTE_PGM_RSRC2:USER_SGPR: 15
; COMPUTE_PGM_RSRC2:TRAP_HANDLER: 0
; COMPUTE_PGM_RSRC2:TGID_X_EN: 1
; COMPUTE_PGM_RSRC2:TGID_Y_EN: 0
; COMPUTE_PGM_RSRC2:TGID_Z_EN: 0
; COMPUTE_PGM_RSRC2:TIDIG_COMP_CNT: 0
	.section	.text._ZN6thrust23THRUST_200600_302600_NS11hip_rocprim14__parallel_for6kernelILj256ENS1_20__uninitialized_fill7functorINS0_10device_ptrIxEExEEmLj1EEEvT0_T1_SA_,"axG",@progbits,_ZN6thrust23THRUST_200600_302600_NS11hip_rocprim14__parallel_for6kernelILj256ENS1_20__uninitialized_fill7functorINS0_10device_ptrIxEExEEmLj1EEEvT0_T1_SA_,comdat
	.protected	_ZN6thrust23THRUST_200600_302600_NS11hip_rocprim14__parallel_for6kernelILj256ENS1_20__uninitialized_fill7functorINS0_10device_ptrIxEExEEmLj1EEEvT0_T1_SA_ ; -- Begin function _ZN6thrust23THRUST_200600_302600_NS11hip_rocprim14__parallel_for6kernelILj256ENS1_20__uninitialized_fill7functorINS0_10device_ptrIxEExEEmLj1EEEvT0_T1_SA_
	.globl	_ZN6thrust23THRUST_200600_302600_NS11hip_rocprim14__parallel_for6kernelILj256ENS1_20__uninitialized_fill7functorINS0_10device_ptrIxEExEEmLj1EEEvT0_T1_SA_
	.p2align	8
	.type	_ZN6thrust23THRUST_200600_302600_NS11hip_rocprim14__parallel_for6kernelILj256ENS1_20__uninitialized_fill7functorINS0_10device_ptrIxEExEEmLj1EEEvT0_T1_SA_,@function
_ZN6thrust23THRUST_200600_302600_NS11hip_rocprim14__parallel_for6kernelILj256ENS1_20__uninitialized_fill7functorINS0_10device_ptrIxEExEEmLj1EEEvT0_T1_SA_: ; @_ZN6thrust23THRUST_200600_302600_NS11hip_rocprim14__parallel_for6kernelILj256ENS1_20__uninitialized_fill7functorINS0_10device_ptrIxEExEEmLj1EEEvT0_T1_SA_
; %bb.0:
	s_load_b256 s[0:7], s[0:1], 0x0
	s_lshl_b32 s8, s15, 8
	s_waitcnt lgkmcnt(0)
	s_add_u32 s6, s8, s6
	s_addc_u32 s7, 0, s7
	s_sub_u32 s4, s4, s6
	s_subb_u32 s5, s5, s7
	s_delay_alu instid0(SALU_CYCLE_1) | instskip(NEXT) | instid1(VALU_DEP_1)
	v_cmp_gt_u64_e64 s5, 0x100, s[4:5]
	s_and_b32 vcc_lo, exec_lo, s5
	s_mov_b32 s5, 0
	s_cbranch_vccz .LBB56_2
; %bb.1:
	v_cmp_gt_u32_e32 vcc_lo, s4, v0
	s_and_b32 s5, vcc_lo, exec_lo
	s_cbranch_execz .LBB56_3
	s_branch .LBB56_4
.LBB56_2:
.LBB56_3:
	s_or_b32 s5, s5, exec_lo
.LBB56_4:
	s_delay_alu instid0(SALU_CYCLE_1)
	s_and_saveexec_b32 s4, s5
	s_cbranch_execnz .LBB56_6
; %bb.5:
	s_endpgm
.LBB56_6:
	v_dual_mov_b32 v1, 0 :: v_dual_mov_b32 v2, s2
	s_lshl_b64 s[4:5], s[6:7], 3
	v_mov_b32_e32 v3, s3
	s_add_u32 s0, s0, s4
	s_delay_alu instid0(VALU_DEP_2) | instskip(SKIP_1) | instid1(VALU_DEP_1)
	v_lshlrev_b64 v[0:1], 3, v[0:1]
	s_addc_u32 s1, s1, s5
	v_add_co_u32 v0, vcc_lo, s0, v0
	s_delay_alu instid0(VALU_DEP_2)
	v_add_co_ci_u32_e32 v1, vcc_lo, s1, v1, vcc_lo
	flat_store_b64 v[0:1], v[2:3]
	s_endpgm
	.section	.rodata,"a",@progbits
	.p2align	6, 0x0
	.amdhsa_kernel _ZN6thrust23THRUST_200600_302600_NS11hip_rocprim14__parallel_for6kernelILj256ENS1_20__uninitialized_fill7functorINS0_10device_ptrIxEExEEmLj1EEEvT0_T1_SA_
		.amdhsa_group_segment_fixed_size 0
		.amdhsa_private_segment_fixed_size 0
		.amdhsa_kernarg_size 32
		.amdhsa_user_sgpr_count 15
		.amdhsa_user_sgpr_dispatch_ptr 0
		.amdhsa_user_sgpr_queue_ptr 0
		.amdhsa_user_sgpr_kernarg_segment_ptr 1
		.amdhsa_user_sgpr_dispatch_id 0
		.amdhsa_user_sgpr_private_segment_size 0
		.amdhsa_wavefront_size32 1
		.amdhsa_uses_dynamic_stack 0
		.amdhsa_enable_private_segment 0
		.amdhsa_system_sgpr_workgroup_id_x 1
		.amdhsa_system_sgpr_workgroup_id_y 0
		.amdhsa_system_sgpr_workgroup_id_z 0
		.amdhsa_system_sgpr_workgroup_info 0
		.amdhsa_system_vgpr_workitem_id 0
		.amdhsa_next_free_vgpr 4
		.amdhsa_next_free_sgpr 16
		.amdhsa_reserve_vcc 1
		.amdhsa_float_round_mode_32 0
		.amdhsa_float_round_mode_16_64 0
		.amdhsa_float_denorm_mode_32 3
		.amdhsa_float_denorm_mode_16_64 3
		.amdhsa_dx10_clamp 1
		.amdhsa_ieee_mode 1
		.amdhsa_fp16_overflow 0
		.amdhsa_workgroup_processor_mode 1
		.amdhsa_memory_ordered 1
		.amdhsa_forward_progress 0
		.amdhsa_shared_vgpr_count 0
		.amdhsa_exception_fp_ieee_invalid_op 0
		.amdhsa_exception_fp_denorm_src 0
		.amdhsa_exception_fp_ieee_div_zero 0
		.amdhsa_exception_fp_ieee_overflow 0
		.amdhsa_exception_fp_ieee_underflow 0
		.amdhsa_exception_fp_ieee_inexact 0
		.amdhsa_exception_int_div_zero 0
	.end_amdhsa_kernel
	.section	.text._ZN6thrust23THRUST_200600_302600_NS11hip_rocprim14__parallel_for6kernelILj256ENS1_20__uninitialized_fill7functorINS0_10device_ptrIxEExEEmLj1EEEvT0_T1_SA_,"axG",@progbits,_ZN6thrust23THRUST_200600_302600_NS11hip_rocprim14__parallel_for6kernelILj256ENS1_20__uninitialized_fill7functorINS0_10device_ptrIxEExEEmLj1EEEvT0_T1_SA_,comdat
.Lfunc_end56:
	.size	_ZN6thrust23THRUST_200600_302600_NS11hip_rocprim14__parallel_for6kernelILj256ENS1_20__uninitialized_fill7functorINS0_10device_ptrIxEExEEmLj1EEEvT0_T1_SA_, .Lfunc_end56-_ZN6thrust23THRUST_200600_302600_NS11hip_rocprim14__parallel_for6kernelILj256ENS1_20__uninitialized_fill7functorINS0_10device_ptrIxEExEEmLj1EEEvT0_T1_SA_
                                        ; -- End function
	.section	.AMDGPU.csdata,"",@progbits
; Kernel info:
; codeLenInByte = 160
; NumSgprs: 18
; NumVgprs: 4
; ScratchSize: 0
; MemoryBound: 0
; FloatMode: 240
; IeeeMode: 1
; LDSByteSize: 0 bytes/workgroup (compile time only)
; SGPRBlocks: 2
; VGPRBlocks: 0
; NumSGPRsForWavesPerEU: 18
; NumVGPRsForWavesPerEU: 4
; Occupancy: 16
; WaveLimiterHint : 0
; COMPUTE_PGM_RSRC2:SCRATCH_EN: 0
; COMPUTE_PGM_RSRC2:USER_SGPR: 15
; COMPUTE_PGM_RSRC2:TRAP_HANDLER: 0
; COMPUTE_PGM_RSRC2:TGID_X_EN: 1
; COMPUTE_PGM_RSRC2:TGID_Y_EN: 0
; COMPUTE_PGM_RSRC2:TGID_Z_EN: 0
; COMPUTE_PGM_RSRC2:TIDIG_COMP_CNT: 0
	.section	.text._Z18lower_bound_kernelIxEvmPT_Pl,"axG",@progbits,_Z18lower_bound_kernelIxEvmPT_Pl,comdat
	.protected	_Z18lower_bound_kernelIxEvmPT_Pl ; -- Begin function _Z18lower_bound_kernelIxEvmPT_Pl
	.globl	_Z18lower_bound_kernelIxEvmPT_Pl
	.p2align	8
	.type	_Z18lower_bound_kernelIxEvmPT_Pl,@function
_Z18lower_bound_kernelIxEvmPT_Pl:       ; @_Z18lower_bound_kernelIxEvmPT_Pl
; %bb.0:
	s_clause 0x1
	s_load_b128 s[4:7], s[0:1], 0x0
	s_load_b64 s[2:3], s[0:1], 0x10
	s_mov_b64 s[8:9], 0
	s_waitcnt lgkmcnt(0)
	v_cmp_lt_i64_e64 s0, s[4:5], 1
	s_delay_alu instid0(VALU_DEP_1) | instskip(NEXT) | instid1(SALU_CYCLE_1)
	s_and_b32 s0, exec_lo, s0
	s_mov_b32 vcc_lo, s0
	s_cbranch_vccnz .LBB57_3
; %bb.1:
	s_mov_b64 s[10:11], s[4:5]
	.p2align	6
.LBB57_2:                               ; =>This Inner Loop Header: Depth=1
	s_delay_alu instid0(SALU_CYCLE_1) | instskip(SKIP_1) | instid1(SALU_CYCLE_1)
	s_sub_u32 s1, s10, s8
	s_subb_u32 s13, s11, s9
	s_lshr_b32 s12, s13, 31
	s_delay_alu instid0(SALU_CYCLE_1) | instskip(SKIP_1) | instid1(SALU_CYCLE_1)
	s_add_u32 s12, s1, s12
	s_addc_u32 s13, s13, 0
	s_ashr_i64 s[12:13], s[12:13], 1
	s_delay_alu instid0(SALU_CYCLE_1) | instskip(SKIP_1) | instid1(SALU_CYCLE_1)
	s_add_u32 s12, s12, s8
	s_addc_u32 s13, s13, s9
	s_lshl_b64 s[14:15], s[12:13], 3
	s_delay_alu instid0(SALU_CYCLE_1)
	s_add_u32 s14, s6, s14
	s_addc_u32 s15, s7, s15
	s_load_b64 s[14:15], s[14:15], 0x0
	s_waitcnt lgkmcnt(0)
	v_cmp_lt_i64_e64 s1, s[14:15], 0
	s_add_u32 s14, s12, 1
	s_addc_u32 s15, s13, 0
	s_delay_alu instid0(VALU_DEP_1) | instskip(SKIP_4) | instid1(SALU_CYCLE_1)
	s_and_b32 s1, s1, exec_lo
	s_cselect_b32 s9, s15, s9
	s_cselect_b32 s8, s14, s8
	;; [unrolled: 1-line block ×4, first 2 shown]
	v_cmp_lt_i64_e64 s1, s[8:9], s[10:11]
	s_delay_alu instid0(VALU_DEP_1)
	s_and_b32 vcc_lo, exec_lo, s1
	s_cbranch_vccnz .LBB57_2
.LBB57_3:
	v_cmp_gt_i64_e64 s10, s[4:5], 0
	v_mov_b32_e32 v2, 0
	s_delay_alu instid0(VALU_DEP_2) | instskip(SKIP_1) | instid1(VALU_DEP_1)
	v_cndmask_b32_e64 v0, 0, 1, s10
	s_and_not1_b32 vcc_lo, exec_lo, s10
	v_cmp_ne_u32_e64 s1, 1, v0
	v_dual_mov_b32 v0, s8 :: v_dual_mov_b32 v1, s9
	s_mov_b64 s[8:9], 0
	global_store_b64 v2, v[0:1], s[2:3]
	s_cbranch_vccnz .LBB57_6
; %bb.4:
	s_mov_b64 s[10:11], s[4:5]
	.p2align	6
.LBB57_5:                               ; =>This Inner Loop Header: Depth=1
	s_delay_alu instid0(SALU_CYCLE_1) | instskip(SKIP_1) | instid1(SALU_CYCLE_1)
	s_sub_u32 s12, s10, s8
	s_subb_u32 s13, s11, s9
	s_lshr_b32 s14, s13, 31
	s_delay_alu instid0(SALU_CYCLE_1) | instskip(SKIP_1) | instid1(SALU_CYCLE_1)
	s_add_u32 s12, s12, s14
	s_addc_u32 s13, s13, 0
	s_ashr_i64 s[12:13], s[12:13], 1
	s_delay_alu instid0(SALU_CYCLE_1) | instskip(SKIP_1) | instid1(SALU_CYCLE_1)
	s_add_u32 s12, s12, s8
	s_addc_u32 s13, s13, s9
	s_lshl_b64 s[14:15], s[12:13], 3
	s_delay_alu instid0(SALU_CYCLE_1)
	s_add_u32 s14, s6, s14
	s_addc_u32 s15, s7, s15
	s_load_b64 s[14:15], s[14:15], 0x0
	s_waitcnt lgkmcnt(0)
	v_cmp_lt_i64_e64 s14, s[14:15], 1
	s_add_u32 s15, s12, 1
	s_addc_u32 s16, s13, 0
	s_delay_alu instid0(VALU_DEP_1) | instskip(SKIP_4) | instid1(SALU_CYCLE_1)
	s_and_b32 s14, s14, exec_lo
	s_cselect_b32 s9, s16, s9
	s_cselect_b32 s8, s15, s8
	;; [unrolled: 1-line block ×4, first 2 shown]
	v_cmp_lt_i64_e64 s12, s[8:9], s[10:11]
	s_delay_alu instid0(VALU_DEP_1)
	s_and_b32 vcc_lo, exec_lo, s12
	s_cbranch_vccnz .LBB57_5
.LBB57_6:
	v_mov_b32_e32 v0, s8
	v_dual_mov_b32 v2, 0 :: v_dual_mov_b32 v1, s9
	s_and_b32 vcc_lo, exec_lo, s1
	s_mov_b64 s[8:9], 0
	global_store_b64 v2, v[0:1], s[2:3] offset:8
	s_cbranch_vccnz .LBB57_9
; %bb.7:
	s_mov_b64 s[10:11], s[4:5]
	.p2align	6
.LBB57_8:                               ; =>This Inner Loop Header: Depth=1
	s_delay_alu instid0(SALU_CYCLE_1) | instskip(SKIP_1) | instid1(SALU_CYCLE_1)
	s_sub_u32 s12, s10, s8
	s_subb_u32 s13, s11, s9
	s_lshr_b32 s14, s13, 31
	s_delay_alu instid0(SALU_CYCLE_1) | instskip(SKIP_1) | instid1(SALU_CYCLE_1)
	s_add_u32 s12, s12, s14
	s_addc_u32 s13, s13, 0
	s_ashr_i64 s[12:13], s[12:13], 1
	s_delay_alu instid0(SALU_CYCLE_1) | instskip(SKIP_1) | instid1(SALU_CYCLE_1)
	s_add_u32 s12, s12, s8
	s_addc_u32 s13, s13, s9
	s_lshl_b64 s[14:15], s[12:13], 3
	s_delay_alu instid0(SALU_CYCLE_1)
	s_add_u32 s14, s6, s14
	s_addc_u32 s15, s7, s15
	s_load_b64 s[14:15], s[14:15], 0x0
	s_waitcnt lgkmcnt(0)
	v_cmp_lt_i64_e64 s14, s[14:15], 2
	s_add_u32 s15, s12, 1
	s_addc_u32 s16, s13, 0
	s_delay_alu instid0(VALU_DEP_1) | instskip(SKIP_4) | instid1(SALU_CYCLE_1)
	s_and_b32 s14, s14, exec_lo
	s_cselect_b32 s9, s16, s9
	s_cselect_b32 s8, s15, s8
	;; [unrolled: 1-line block ×4, first 2 shown]
	v_cmp_lt_i64_e64 s12, s[8:9], s[10:11]
	s_delay_alu instid0(VALU_DEP_1)
	s_and_b32 vcc_lo, exec_lo, s12
	s_cbranch_vccnz .LBB57_8
.LBB57_9:
	v_mov_b32_e32 v0, s8
	v_dual_mov_b32 v2, 0 :: v_dual_mov_b32 v1, s9
	s_and_b32 vcc_lo, exec_lo, s1
	s_mov_b64 s[8:9], 0
	global_store_b64 v2, v[0:1], s[2:3] offset:16
	s_cbranch_vccnz .LBB57_12
; %bb.10:
	s_mov_b64 s[10:11], s[4:5]
	.p2align	6
.LBB57_11:                              ; =>This Inner Loop Header: Depth=1
	s_delay_alu instid0(SALU_CYCLE_1) | instskip(SKIP_1) | instid1(SALU_CYCLE_1)
	s_sub_u32 s12, s10, s8
	s_subb_u32 s13, s11, s9
	s_lshr_b32 s14, s13, 31
	s_delay_alu instid0(SALU_CYCLE_1) | instskip(SKIP_1) | instid1(SALU_CYCLE_1)
	s_add_u32 s12, s12, s14
	s_addc_u32 s13, s13, 0
	s_ashr_i64 s[12:13], s[12:13], 1
	s_delay_alu instid0(SALU_CYCLE_1) | instskip(SKIP_1) | instid1(SALU_CYCLE_1)
	s_add_u32 s12, s12, s8
	s_addc_u32 s13, s13, s9
	s_lshl_b64 s[14:15], s[12:13], 3
	s_delay_alu instid0(SALU_CYCLE_1)
	s_add_u32 s14, s6, s14
	s_addc_u32 s15, s7, s15
	s_load_b64 s[14:15], s[14:15], 0x0
	s_waitcnt lgkmcnt(0)
	v_cmp_lt_i64_e64 s14, s[14:15], 3
	s_add_u32 s15, s12, 1
	s_addc_u32 s16, s13, 0
	s_delay_alu instid0(VALU_DEP_1) | instskip(SKIP_4) | instid1(SALU_CYCLE_1)
	s_and_b32 s14, s14, exec_lo
	s_cselect_b32 s9, s16, s9
	s_cselect_b32 s8, s15, s8
	;; [unrolled: 1-line block ×4, first 2 shown]
	v_cmp_lt_i64_e64 s12, s[8:9], s[10:11]
	s_delay_alu instid0(VALU_DEP_1)
	s_and_b32 vcc_lo, exec_lo, s12
	s_cbranch_vccnz .LBB57_11
.LBB57_12:
	v_mov_b32_e32 v0, s8
	v_dual_mov_b32 v2, 0 :: v_dual_mov_b32 v1, s9
	s_and_b32 vcc_lo, exec_lo, s1
	s_mov_b64 s[8:9], 0
	global_store_b64 v2, v[0:1], s[2:3] offset:24
	s_cbranch_vccnz .LBB57_15
; %bb.13:
	s_mov_b64 s[10:11], s[4:5]
	.p2align	6
.LBB57_14:                              ; =>This Inner Loop Header: Depth=1
	s_delay_alu instid0(SALU_CYCLE_1) | instskip(SKIP_1) | instid1(SALU_CYCLE_1)
	s_sub_u32 s12, s10, s8
	s_subb_u32 s13, s11, s9
	s_lshr_b32 s14, s13, 31
	s_delay_alu instid0(SALU_CYCLE_1) | instskip(SKIP_1) | instid1(SALU_CYCLE_1)
	s_add_u32 s12, s12, s14
	s_addc_u32 s13, s13, 0
	s_ashr_i64 s[12:13], s[12:13], 1
	s_delay_alu instid0(SALU_CYCLE_1) | instskip(SKIP_1) | instid1(SALU_CYCLE_1)
	s_add_u32 s12, s12, s8
	s_addc_u32 s13, s13, s9
	s_lshl_b64 s[14:15], s[12:13], 3
	s_delay_alu instid0(SALU_CYCLE_1)
	s_add_u32 s14, s6, s14
	s_addc_u32 s15, s7, s15
	s_load_b64 s[14:15], s[14:15], 0x0
	s_waitcnt lgkmcnt(0)
	v_cmp_lt_i64_e64 s14, s[14:15], 4
	s_add_u32 s15, s12, 1
	s_addc_u32 s16, s13, 0
	s_delay_alu instid0(VALU_DEP_1) | instskip(SKIP_4) | instid1(SALU_CYCLE_1)
	s_and_b32 s14, s14, exec_lo
	s_cselect_b32 s9, s16, s9
	s_cselect_b32 s8, s15, s8
	;; [unrolled: 1-line block ×4, first 2 shown]
	v_cmp_lt_i64_e64 s12, s[8:9], s[10:11]
	s_delay_alu instid0(VALU_DEP_1)
	s_and_b32 vcc_lo, exec_lo, s12
	s_cbranch_vccnz .LBB57_14
.LBB57_15:
	v_mov_b32_e32 v0, s8
	v_dual_mov_b32 v2, 0 :: v_dual_mov_b32 v1, s9
	s_and_b32 vcc_lo, exec_lo, s1
	s_mov_b64 s[8:9], 0
	global_store_b64 v2, v[0:1], s[2:3] offset:32
	s_cbranch_vccnz .LBB57_18
; %bb.16:
	s_mov_b64 s[10:11], s[4:5]
	.p2align	6
.LBB57_17:                              ; =>This Inner Loop Header: Depth=1
	s_delay_alu instid0(SALU_CYCLE_1) | instskip(SKIP_1) | instid1(SALU_CYCLE_1)
	s_sub_u32 s12, s10, s8
	s_subb_u32 s13, s11, s9
	s_lshr_b32 s14, s13, 31
	s_delay_alu instid0(SALU_CYCLE_1) | instskip(SKIP_1) | instid1(SALU_CYCLE_1)
	s_add_u32 s12, s12, s14
	s_addc_u32 s13, s13, 0
	s_ashr_i64 s[12:13], s[12:13], 1
	s_delay_alu instid0(SALU_CYCLE_1) | instskip(SKIP_1) | instid1(SALU_CYCLE_1)
	s_add_u32 s12, s12, s8
	s_addc_u32 s13, s13, s9
	s_lshl_b64 s[14:15], s[12:13], 3
	s_delay_alu instid0(SALU_CYCLE_1)
	s_add_u32 s14, s6, s14
	s_addc_u32 s15, s7, s15
	s_load_b64 s[14:15], s[14:15], 0x0
	s_waitcnt lgkmcnt(0)
	v_cmp_lt_i64_e64 s14, s[14:15], 5
	s_add_u32 s15, s12, 1
	s_addc_u32 s16, s13, 0
	s_delay_alu instid0(VALU_DEP_1) | instskip(SKIP_4) | instid1(SALU_CYCLE_1)
	s_and_b32 s14, s14, exec_lo
	s_cselect_b32 s9, s16, s9
	s_cselect_b32 s8, s15, s8
	;; [unrolled: 1-line block ×4, first 2 shown]
	v_cmp_lt_i64_e64 s12, s[8:9], s[10:11]
	s_delay_alu instid0(VALU_DEP_1)
	s_and_b32 vcc_lo, exec_lo, s12
	s_cbranch_vccnz .LBB57_17
.LBB57_18:
	v_mov_b32_e32 v0, s8
	v_dual_mov_b32 v2, 0 :: v_dual_mov_b32 v1, s9
	s_and_b32 vcc_lo, exec_lo, s1
	s_mov_b64 s[8:9], 0
	global_store_b64 v2, v[0:1], s[2:3] offset:40
	s_cbranch_vccnz .LBB57_21
; %bb.19:
	s_mov_b64 s[10:11], s[4:5]
	.p2align	6
.LBB57_20:                              ; =>This Inner Loop Header: Depth=1
	s_delay_alu instid0(SALU_CYCLE_1) | instskip(SKIP_1) | instid1(SALU_CYCLE_1)
	s_sub_u32 s12, s10, s8
	s_subb_u32 s13, s11, s9
	s_lshr_b32 s14, s13, 31
	s_delay_alu instid0(SALU_CYCLE_1) | instskip(SKIP_1) | instid1(SALU_CYCLE_1)
	s_add_u32 s12, s12, s14
	s_addc_u32 s13, s13, 0
	s_ashr_i64 s[12:13], s[12:13], 1
	s_delay_alu instid0(SALU_CYCLE_1) | instskip(SKIP_1) | instid1(SALU_CYCLE_1)
	s_add_u32 s12, s12, s8
	s_addc_u32 s13, s13, s9
	s_lshl_b64 s[14:15], s[12:13], 3
	s_delay_alu instid0(SALU_CYCLE_1)
	s_add_u32 s14, s6, s14
	s_addc_u32 s15, s7, s15
	s_load_b64 s[14:15], s[14:15], 0x0
	s_waitcnt lgkmcnt(0)
	v_cmp_lt_i64_e64 s14, s[14:15], 6
	s_add_u32 s15, s12, 1
	s_addc_u32 s16, s13, 0
	s_delay_alu instid0(VALU_DEP_1) | instskip(SKIP_4) | instid1(SALU_CYCLE_1)
	s_and_b32 s14, s14, exec_lo
	s_cselect_b32 s9, s16, s9
	s_cselect_b32 s8, s15, s8
	;; [unrolled: 1-line block ×4, first 2 shown]
	v_cmp_lt_i64_e64 s12, s[8:9], s[10:11]
	s_delay_alu instid0(VALU_DEP_1)
	s_and_b32 vcc_lo, exec_lo, s12
	s_cbranch_vccnz .LBB57_20
.LBB57_21:
	v_mov_b32_e32 v0, s8
	v_dual_mov_b32 v2, 0 :: v_dual_mov_b32 v1, s9
	s_and_b32 vcc_lo, exec_lo, s1
	s_mov_b64 s[8:9], 0
	global_store_b64 v2, v[0:1], s[2:3] offset:48
	s_cbranch_vccnz .LBB57_24
; %bb.22:
	s_mov_b64 s[10:11], s[4:5]
	.p2align	6
.LBB57_23:                              ; =>This Inner Loop Header: Depth=1
	s_delay_alu instid0(SALU_CYCLE_1) | instskip(SKIP_1) | instid1(SALU_CYCLE_1)
	s_sub_u32 s1, s10, s8
	s_subb_u32 s13, s11, s9
	s_lshr_b32 s12, s13, 31
	s_delay_alu instid0(SALU_CYCLE_1) | instskip(SKIP_1) | instid1(SALU_CYCLE_1)
	s_add_u32 s12, s1, s12
	s_addc_u32 s13, s13, 0
	s_ashr_i64 s[12:13], s[12:13], 1
	s_delay_alu instid0(SALU_CYCLE_1) | instskip(SKIP_1) | instid1(SALU_CYCLE_1)
	s_add_u32 s12, s12, s8
	s_addc_u32 s13, s13, s9
	s_lshl_b64 s[14:15], s[12:13], 3
	s_delay_alu instid0(SALU_CYCLE_1)
	s_add_u32 s14, s6, s14
	s_addc_u32 s15, s7, s15
	s_load_b64 s[14:15], s[14:15], 0x0
	s_waitcnt lgkmcnt(0)
	v_cmp_lt_i64_e64 s1, s[14:15], 7
	s_add_u32 s14, s12, 1
	s_addc_u32 s15, s13, 0
	s_delay_alu instid0(VALU_DEP_1) | instskip(SKIP_4) | instid1(SALU_CYCLE_1)
	s_and_b32 s1, s1, exec_lo
	s_cselect_b32 s9, s15, s9
	s_cselect_b32 s8, s14, s8
	;; [unrolled: 1-line block ×4, first 2 shown]
	v_cmp_lt_i64_e64 s1, s[8:9], s[10:11]
	s_delay_alu instid0(VALU_DEP_1)
	s_and_b32 vcc_lo, exec_lo, s1
	s_cbranch_vccnz .LBB57_23
.LBB57_24:
	v_dual_mov_b32 v0, 0 :: v_dual_mov_b32 v1, s8
	v_mov_b32_e32 v2, s9
	s_mov_b32 vcc_lo, s0
	global_store_b64 v0, v[1:2], s[2:3] offset:56
	s_cbranch_vccz .LBB57_26
; %bb.25:
	v_mov_b32_e32 v1, v0
	s_mov_b64 s[0:1], 0
	global_store_b64 v0, v[0:1], s[2:3] offset:64
	s_cbranch_execz .LBB57_27
	s_branch .LBB57_31
.LBB57_26:
                                        ; implicit-def: $sgpr0_sgpr1
.LBB57_27:
	s_mov_b64 s[0:1], 0
	s_mov_b64 s[8:9], s[4:5]
	.p2align	6
.LBB57_28:                              ; =>This Inner Loop Header: Depth=1
	s_delay_alu instid0(SALU_CYCLE_1) | instskip(SKIP_1) | instid1(SALU_CYCLE_1)
	s_sub_u32 s10, s8, s0
	s_subb_u32 s11, s9, s1
	s_lshr_b32 s12, s11, 31
	s_delay_alu instid0(SALU_CYCLE_1) | instskip(SKIP_1) | instid1(SALU_CYCLE_1)
	s_add_u32 s10, s10, s12
	s_addc_u32 s11, s11, 0
	s_ashr_i64 s[10:11], s[10:11], 1
	s_delay_alu instid0(SALU_CYCLE_1) | instskip(SKIP_1) | instid1(SALU_CYCLE_1)
	s_add_u32 s10, s10, s0
	s_addc_u32 s11, s11, s1
	s_lshl_b64 s[12:13], s[10:11], 3
	s_delay_alu instid0(SALU_CYCLE_1)
	s_add_u32 s12, s6, s12
	s_addc_u32 s13, s7, s13
	s_load_b64 s[12:13], s[12:13], 0x0
	s_waitcnt lgkmcnt(0)
	v_cmp_lt_i64_e64 s12, s[12:13], 8
	s_add_u32 s13, s10, 1
	s_addc_u32 s14, s11, 0
	s_delay_alu instid0(VALU_DEP_1) | instskip(SKIP_4) | instid1(SALU_CYCLE_1)
	s_and_b32 s12, s12, exec_lo
	s_cselect_b32 s1, s14, s1
	s_cselect_b32 s0, s13, s0
	;; [unrolled: 1-line block ×4, first 2 shown]
	v_cmp_lt_i64_e64 s10, s[0:1], s[8:9]
	s_delay_alu instid0(VALU_DEP_1)
	s_and_b32 vcc_lo, exec_lo, s10
	s_cbranch_vccnz .LBB57_28
; %bb.29:
	v_mov_b32_e32 v0, s0
	v_dual_mov_b32 v2, 0 :: v_dual_mov_b32 v1, s1
	s_mov_b64 s[0:1], 0
	global_store_b64 v2, v[0:1], s[2:3] offset:64
	.p2align	6
.LBB57_30:                              ; =>This Inner Loop Header: Depth=1
	s_sub_u32 s8, s4, s0
	s_subb_u32 s9, s5, s1
	s_delay_alu instid0(SALU_CYCLE_1) | instskip(NEXT) | instid1(SALU_CYCLE_1)
	s_lshr_b32 s10, s9, 31
	s_add_u32 s8, s8, s10
	s_addc_u32 s9, s9, 0
	s_delay_alu instid0(SALU_CYCLE_1) | instskip(NEXT) | instid1(SALU_CYCLE_1)
	s_ashr_i64 s[8:9], s[8:9], 1
	s_add_u32 s8, s8, s0
	s_addc_u32 s9, s9, s1
	s_delay_alu instid0(SALU_CYCLE_1) | instskip(NEXT) | instid1(SALU_CYCLE_1)
	s_lshl_b64 s[10:11], s[8:9], 3
	s_add_u32 s10, s6, s10
	s_addc_u32 s11, s7, s11
	s_load_b64 s[10:11], s[10:11], 0x0
	s_waitcnt lgkmcnt(0)
	v_cmp_lt_i64_e64 s10, s[10:11], 9
	s_add_u32 s11, s8, 1
	s_addc_u32 s12, s9, 0
	s_delay_alu instid0(VALU_DEP_1) | instskip(SKIP_4) | instid1(SALU_CYCLE_1)
	s_and_b32 s10, s10, exec_lo
	s_cselect_b32 s1, s12, s1
	s_cselect_b32 s0, s11, s0
	;; [unrolled: 1-line block ×4, first 2 shown]
	v_cmp_ge_i64_e64 s8, s[0:1], s[4:5]
	s_delay_alu instid0(VALU_DEP_1)
	s_and_b32 vcc_lo, exec_lo, s8
	s_cbranch_vccz .LBB57_30
.LBB57_31:
	v_mov_b32_e32 v0, s0
	v_dual_mov_b32 v2, 0 :: v_dual_mov_b32 v1, s1
	global_store_b64 v2, v[0:1], s[2:3] offset:72
	s_nop 0
	s_sendmsg sendmsg(MSG_DEALLOC_VGPRS)
	s_endpgm
	.section	.rodata,"a",@progbits
	.p2align	6, 0x0
	.amdhsa_kernel _Z18lower_bound_kernelIxEvmPT_Pl
		.amdhsa_group_segment_fixed_size 0
		.amdhsa_private_segment_fixed_size 0
		.amdhsa_kernarg_size 24
		.amdhsa_user_sgpr_count 15
		.amdhsa_user_sgpr_dispatch_ptr 0
		.amdhsa_user_sgpr_queue_ptr 0
		.amdhsa_user_sgpr_kernarg_segment_ptr 1
		.amdhsa_user_sgpr_dispatch_id 0
		.amdhsa_user_sgpr_private_segment_size 0
		.amdhsa_wavefront_size32 1
		.amdhsa_uses_dynamic_stack 0
		.amdhsa_enable_private_segment 0
		.amdhsa_system_sgpr_workgroup_id_x 1
		.amdhsa_system_sgpr_workgroup_id_y 0
		.amdhsa_system_sgpr_workgroup_id_z 0
		.amdhsa_system_sgpr_workgroup_info 0
		.amdhsa_system_vgpr_workitem_id 0
		.amdhsa_next_free_vgpr 3
		.amdhsa_next_free_sgpr 17
		.amdhsa_reserve_vcc 1
		.amdhsa_float_round_mode_32 0
		.amdhsa_float_round_mode_16_64 0
		.amdhsa_float_denorm_mode_32 3
		.amdhsa_float_denorm_mode_16_64 3
		.amdhsa_dx10_clamp 1
		.amdhsa_ieee_mode 1
		.amdhsa_fp16_overflow 0
		.amdhsa_workgroup_processor_mode 1
		.amdhsa_memory_ordered 1
		.amdhsa_forward_progress 0
		.amdhsa_shared_vgpr_count 0
		.amdhsa_exception_fp_ieee_invalid_op 0
		.amdhsa_exception_fp_denorm_src 0
		.amdhsa_exception_fp_ieee_div_zero 0
		.amdhsa_exception_fp_ieee_overflow 0
		.amdhsa_exception_fp_ieee_underflow 0
		.amdhsa_exception_fp_ieee_inexact 0
		.amdhsa_exception_int_div_zero 0
	.end_amdhsa_kernel
	.section	.text._Z18lower_bound_kernelIxEvmPT_Pl,"axG",@progbits,_Z18lower_bound_kernelIxEvmPT_Pl,comdat
.Lfunc_end57:
	.size	_Z18lower_bound_kernelIxEvmPT_Pl, .Lfunc_end57-_Z18lower_bound_kernelIxEvmPT_Pl
                                        ; -- End function
	.section	.AMDGPU.csdata,"",@progbits
; Kernel info:
; codeLenInByte = 1768
; NumSgprs: 19
; NumVgprs: 3
; ScratchSize: 0
; MemoryBound: 0
; FloatMode: 240
; IeeeMode: 1
; LDSByteSize: 0 bytes/workgroup (compile time only)
; SGPRBlocks: 2
; VGPRBlocks: 0
; NumSGPRsForWavesPerEU: 19
; NumVGPRsForWavesPerEU: 3
; Occupancy: 16
; WaveLimiterHint : 0
; COMPUTE_PGM_RSRC2:SCRATCH_EN: 0
; COMPUTE_PGM_RSRC2:USER_SGPR: 15
; COMPUTE_PGM_RSRC2:TRAP_HANDLER: 0
; COMPUTE_PGM_RSRC2:TGID_X_EN: 1
; COMPUTE_PGM_RSRC2:TGID_Y_EN: 0
; COMPUTE_PGM_RSRC2:TGID_Z_EN: 0
; COMPUTE_PGM_RSRC2:TIDIG_COMP_CNT: 0
	.section	.text._ZN7rocprim17ROCPRIM_400000_NS6detail17trampoline_kernelINS0_14default_configENS1_27lower_bound_config_selectorIxlEEZNS1_14transform_implILb0ES3_S5_N6thrust23THRUST_200600_302600_NS17counting_iteratorIxNS8_11use_defaultESA_SA_EEPlZNS1_13binary_searchIS3_S5_PxSB_SC_NS1_21lower_bound_search_opENS8_6detail16wrapped_functionI11custom_lessbEEEE10hipError_tPvRmT1_T2_T3_mmT4_T5_P12ihipStream_tbEUlRKxE_EESK_SO_SP_mSQ_ST_bEUlT_E_NS1_11comp_targetILNS1_3genE0ELNS1_11target_archE4294967295ELNS1_3gpuE0ELNS1_3repE0EEENS1_30default_config_static_selectorELNS0_4arch9wavefront6targetE0EEEvSN_,"axG",@progbits,_ZN7rocprim17ROCPRIM_400000_NS6detail17trampoline_kernelINS0_14default_configENS1_27lower_bound_config_selectorIxlEEZNS1_14transform_implILb0ES3_S5_N6thrust23THRUST_200600_302600_NS17counting_iteratorIxNS8_11use_defaultESA_SA_EEPlZNS1_13binary_searchIS3_S5_PxSB_SC_NS1_21lower_bound_search_opENS8_6detail16wrapped_functionI11custom_lessbEEEE10hipError_tPvRmT1_T2_T3_mmT4_T5_P12ihipStream_tbEUlRKxE_EESK_SO_SP_mSQ_ST_bEUlT_E_NS1_11comp_targetILNS1_3genE0ELNS1_11target_archE4294967295ELNS1_3gpuE0ELNS1_3repE0EEENS1_30default_config_static_selectorELNS0_4arch9wavefront6targetE0EEEvSN_,comdat
	.protected	_ZN7rocprim17ROCPRIM_400000_NS6detail17trampoline_kernelINS0_14default_configENS1_27lower_bound_config_selectorIxlEEZNS1_14transform_implILb0ES3_S5_N6thrust23THRUST_200600_302600_NS17counting_iteratorIxNS8_11use_defaultESA_SA_EEPlZNS1_13binary_searchIS3_S5_PxSB_SC_NS1_21lower_bound_search_opENS8_6detail16wrapped_functionI11custom_lessbEEEE10hipError_tPvRmT1_T2_T3_mmT4_T5_P12ihipStream_tbEUlRKxE_EESK_SO_SP_mSQ_ST_bEUlT_E_NS1_11comp_targetILNS1_3genE0ELNS1_11target_archE4294967295ELNS1_3gpuE0ELNS1_3repE0EEENS1_30default_config_static_selectorELNS0_4arch9wavefront6targetE0EEEvSN_ ; -- Begin function _ZN7rocprim17ROCPRIM_400000_NS6detail17trampoline_kernelINS0_14default_configENS1_27lower_bound_config_selectorIxlEEZNS1_14transform_implILb0ES3_S5_N6thrust23THRUST_200600_302600_NS17counting_iteratorIxNS8_11use_defaultESA_SA_EEPlZNS1_13binary_searchIS3_S5_PxSB_SC_NS1_21lower_bound_search_opENS8_6detail16wrapped_functionI11custom_lessbEEEE10hipError_tPvRmT1_T2_T3_mmT4_T5_P12ihipStream_tbEUlRKxE_EESK_SO_SP_mSQ_ST_bEUlT_E_NS1_11comp_targetILNS1_3genE0ELNS1_11target_archE4294967295ELNS1_3gpuE0ELNS1_3repE0EEENS1_30default_config_static_selectorELNS0_4arch9wavefront6targetE0EEEvSN_
	.globl	_ZN7rocprim17ROCPRIM_400000_NS6detail17trampoline_kernelINS0_14default_configENS1_27lower_bound_config_selectorIxlEEZNS1_14transform_implILb0ES3_S5_N6thrust23THRUST_200600_302600_NS17counting_iteratorIxNS8_11use_defaultESA_SA_EEPlZNS1_13binary_searchIS3_S5_PxSB_SC_NS1_21lower_bound_search_opENS8_6detail16wrapped_functionI11custom_lessbEEEE10hipError_tPvRmT1_T2_T3_mmT4_T5_P12ihipStream_tbEUlRKxE_EESK_SO_SP_mSQ_ST_bEUlT_E_NS1_11comp_targetILNS1_3genE0ELNS1_11target_archE4294967295ELNS1_3gpuE0ELNS1_3repE0EEENS1_30default_config_static_selectorELNS0_4arch9wavefront6targetE0EEEvSN_
	.p2align	8
	.type	_ZN7rocprim17ROCPRIM_400000_NS6detail17trampoline_kernelINS0_14default_configENS1_27lower_bound_config_selectorIxlEEZNS1_14transform_implILb0ES3_S5_N6thrust23THRUST_200600_302600_NS17counting_iteratorIxNS8_11use_defaultESA_SA_EEPlZNS1_13binary_searchIS3_S5_PxSB_SC_NS1_21lower_bound_search_opENS8_6detail16wrapped_functionI11custom_lessbEEEE10hipError_tPvRmT1_T2_T3_mmT4_T5_P12ihipStream_tbEUlRKxE_EESK_SO_SP_mSQ_ST_bEUlT_E_NS1_11comp_targetILNS1_3genE0ELNS1_11target_archE4294967295ELNS1_3gpuE0ELNS1_3repE0EEENS1_30default_config_static_selectorELNS0_4arch9wavefront6targetE0EEEvSN_,@function
_ZN7rocprim17ROCPRIM_400000_NS6detail17trampoline_kernelINS0_14default_configENS1_27lower_bound_config_selectorIxlEEZNS1_14transform_implILb0ES3_S5_N6thrust23THRUST_200600_302600_NS17counting_iteratorIxNS8_11use_defaultESA_SA_EEPlZNS1_13binary_searchIS3_S5_PxSB_SC_NS1_21lower_bound_search_opENS8_6detail16wrapped_functionI11custom_lessbEEEE10hipError_tPvRmT1_T2_T3_mmT4_T5_P12ihipStream_tbEUlRKxE_EESK_SO_SP_mSQ_ST_bEUlT_E_NS1_11comp_targetILNS1_3genE0ELNS1_11target_archE4294967295ELNS1_3gpuE0ELNS1_3repE0EEENS1_30default_config_static_selectorELNS0_4arch9wavefront6targetE0EEEvSN_: ; @_ZN7rocprim17ROCPRIM_400000_NS6detail17trampoline_kernelINS0_14default_configENS1_27lower_bound_config_selectorIxlEEZNS1_14transform_implILb0ES3_S5_N6thrust23THRUST_200600_302600_NS17counting_iteratorIxNS8_11use_defaultESA_SA_EEPlZNS1_13binary_searchIS3_S5_PxSB_SC_NS1_21lower_bound_search_opENS8_6detail16wrapped_functionI11custom_lessbEEEE10hipError_tPvRmT1_T2_T3_mmT4_T5_P12ihipStream_tbEUlRKxE_EESK_SO_SP_mSQ_ST_bEUlT_E_NS1_11comp_targetILNS1_3genE0ELNS1_11target_archE4294967295ELNS1_3gpuE0ELNS1_3repE0EEENS1_30default_config_static_selectorELNS0_4arch9wavefront6targetE0EEEvSN_
; %bb.0:
	.section	.rodata,"a",@progbits
	.p2align	6, 0x0
	.amdhsa_kernel _ZN7rocprim17ROCPRIM_400000_NS6detail17trampoline_kernelINS0_14default_configENS1_27lower_bound_config_selectorIxlEEZNS1_14transform_implILb0ES3_S5_N6thrust23THRUST_200600_302600_NS17counting_iteratorIxNS8_11use_defaultESA_SA_EEPlZNS1_13binary_searchIS3_S5_PxSB_SC_NS1_21lower_bound_search_opENS8_6detail16wrapped_functionI11custom_lessbEEEE10hipError_tPvRmT1_T2_T3_mmT4_T5_P12ihipStream_tbEUlRKxE_EESK_SO_SP_mSQ_ST_bEUlT_E_NS1_11comp_targetILNS1_3genE0ELNS1_11target_archE4294967295ELNS1_3gpuE0ELNS1_3repE0EEENS1_30default_config_static_selectorELNS0_4arch9wavefront6targetE0EEEvSN_
		.amdhsa_group_segment_fixed_size 0
		.amdhsa_private_segment_fixed_size 0
		.amdhsa_kernarg_size 56
		.amdhsa_user_sgpr_count 15
		.amdhsa_user_sgpr_dispatch_ptr 0
		.amdhsa_user_sgpr_queue_ptr 0
		.amdhsa_user_sgpr_kernarg_segment_ptr 1
		.amdhsa_user_sgpr_dispatch_id 0
		.amdhsa_user_sgpr_private_segment_size 0
		.amdhsa_wavefront_size32 1
		.amdhsa_uses_dynamic_stack 0
		.amdhsa_enable_private_segment 0
		.amdhsa_system_sgpr_workgroup_id_x 1
		.amdhsa_system_sgpr_workgroup_id_y 0
		.amdhsa_system_sgpr_workgroup_id_z 0
		.amdhsa_system_sgpr_workgroup_info 0
		.amdhsa_system_vgpr_workitem_id 0
		.amdhsa_next_free_vgpr 1
		.amdhsa_next_free_sgpr 1
		.amdhsa_reserve_vcc 0
		.amdhsa_float_round_mode_32 0
		.amdhsa_float_round_mode_16_64 0
		.amdhsa_float_denorm_mode_32 3
		.amdhsa_float_denorm_mode_16_64 3
		.amdhsa_dx10_clamp 1
		.amdhsa_ieee_mode 1
		.amdhsa_fp16_overflow 0
		.amdhsa_workgroup_processor_mode 1
		.amdhsa_memory_ordered 1
		.amdhsa_forward_progress 0
		.amdhsa_shared_vgpr_count 0
		.amdhsa_exception_fp_ieee_invalid_op 0
		.amdhsa_exception_fp_denorm_src 0
		.amdhsa_exception_fp_ieee_div_zero 0
		.amdhsa_exception_fp_ieee_overflow 0
		.amdhsa_exception_fp_ieee_underflow 0
		.amdhsa_exception_fp_ieee_inexact 0
		.amdhsa_exception_int_div_zero 0
	.end_amdhsa_kernel
	.section	.text._ZN7rocprim17ROCPRIM_400000_NS6detail17trampoline_kernelINS0_14default_configENS1_27lower_bound_config_selectorIxlEEZNS1_14transform_implILb0ES3_S5_N6thrust23THRUST_200600_302600_NS17counting_iteratorIxNS8_11use_defaultESA_SA_EEPlZNS1_13binary_searchIS3_S5_PxSB_SC_NS1_21lower_bound_search_opENS8_6detail16wrapped_functionI11custom_lessbEEEE10hipError_tPvRmT1_T2_T3_mmT4_T5_P12ihipStream_tbEUlRKxE_EESK_SO_SP_mSQ_ST_bEUlT_E_NS1_11comp_targetILNS1_3genE0ELNS1_11target_archE4294967295ELNS1_3gpuE0ELNS1_3repE0EEENS1_30default_config_static_selectorELNS0_4arch9wavefront6targetE0EEEvSN_,"axG",@progbits,_ZN7rocprim17ROCPRIM_400000_NS6detail17trampoline_kernelINS0_14default_configENS1_27lower_bound_config_selectorIxlEEZNS1_14transform_implILb0ES3_S5_N6thrust23THRUST_200600_302600_NS17counting_iteratorIxNS8_11use_defaultESA_SA_EEPlZNS1_13binary_searchIS3_S5_PxSB_SC_NS1_21lower_bound_search_opENS8_6detail16wrapped_functionI11custom_lessbEEEE10hipError_tPvRmT1_T2_T3_mmT4_T5_P12ihipStream_tbEUlRKxE_EESK_SO_SP_mSQ_ST_bEUlT_E_NS1_11comp_targetILNS1_3genE0ELNS1_11target_archE4294967295ELNS1_3gpuE0ELNS1_3repE0EEENS1_30default_config_static_selectorELNS0_4arch9wavefront6targetE0EEEvSN_,comdat
.Lfunc_end58:
	.size	_ZN7rocprim17ROCPRIM_400000_NS6detail17trampoline_kernelINS0_14default_configENS1_27lower_bound_config_selectorIxlEEZNS1_14transform_implILb0ES3_S5_N6thrust23THRUST_200600_302600_NS17counting_iteratorIxNS8_11use_defaultESA_SA_EEPlZNS1_13binary_searchIS3_S5_PxSB_SC_NS1_21lower_bound_search_opENS8_6detail16wrapped_functionI11custom_lessbEEEE10hipError_tPvRmT1_T2_T3_mmT4_T5_P12ihipStream_tbEUlRKxE_EESK_SO_SP_mSQ_ST_bEUlT_E_NS1_11comp_targetILNS1_3genE0ELNS1_11target_archE4294967295ELNS1_3gpuE0ELNS1_3repE0EEENS1_30default_config_static_selectorELNS0_4arch9wavefront6targetE0EEEvSN_, .Lfunc_end58-_ZN7rocprim17ROCPRIM_400000_NS6detail17trampoline_kernelINS0_14default_configENS1_27lower_bound_config_selectorIxlEEZNS1_14transform_implILb0ES3_S5_N6thrust23THRUST_200600_302600_NS17counting_iteratorIxNS8_11use_defaultESA_SA_EEPlZNS1_13binary_searchIS3_S5_PxSB_SC_NS1_21lower_bound_search_opENS8_6detail16wrapped_functionI11custom_lessbEEEE10hipError_tPvRmT1_T2_T3_mmT4_T5_P12ihipStream_tbEUlRKxE_EESK_SO_SP_mSQ_ST_bEUlT_E_NS1_11comp_targetILNS1_3genE0ELNS1_11target_archE4294967295ELNS1_3gpuE0ELNS1_3repE0EEENS1_30default_config_static_selectorELNS0_4arch9wavefront6targetE0EEEvSN_
                                        ; -- End function
	.section	.AMDGPU.csdata,"",@progbits
; Kernel info:
; codeLenInByte = 0
; NumSgprs: 0
; NumVgprs: 0
; ScratchSize: 0
; MemoryBound: 0
; FloatMode: 240
; IeeeMode: 1
; LDSByteSize: 0 bytes/workgroup (compile time only)
; SGPRBlocks: 0
; VGPRBlocks: 0
; NumSGPRsForWavesPerEU: 1
; NumVGPRsForWavesPerEU: 1
; Occupancy: 16
; WaveLimiterHint : 0
; COMPUTE_PGM_RSRC2:SCRATCH_EN: 0
; COMPUTE_PGM_RSRC2:USER_SGPR: 15
; COMPUTE_PGM_RSRC2:TRAP_HANDLER: 0
; COMPUTE_PGM_RSRC2:TGID_X_EN: 1
; COMPUTE_PGM_RSRC2:TGID_Y_EN: 0
; COMPUTE_PGM_RSRC2:TGID_Z_EN: 0
; COMPUTE_PGM_RSRC2:TIDIG_COMP_CNT: 0
	.section	.text._ZN7rocprim17ROCPRIM_400000_NS6detail17trampoline_kernelINS0_14default_configENS1_27lower_bound_config_selectorIxlEEZNS1_14transform_implILb0ES3_S5_N6thrust23THRUST_200600_302600_NS17counting_iteratorIxNS8_11use_defaultESA_SA_EEPlZNS1_13binary_searchIS3_S5_PxSB_SC_NS1_21lower_bound_search_opENS8_6detail16wrapped_functionI11custom_lessbEEEE10hipError_tPvRmT1_T2_T3_mmT4_T5_P12ihipStream_tbEUlRKxE_EESK_SO_SP_mSQ_ST_bEUlT_E_NS1_11comp_targetILNS1_3genE5ELNS1_11target_archE942ELNS1_3gpuE9ELNS1_3repE0EEENS1_30default_config_static_selectorELNS0_4arch9wavefront6targetE0EEEvSN_,"axG",@progbits,_ZN7rocprim17ROCPRIM_400000_NS6detail17trampoline_kernelINS0_14default_configENS1_27lower_bound_config_selectorIxlEEZNS1_14transform_implILb0ES3_S5_N6thrust23THRUST_200600_302600_NS17counting_iteratorIxNS8_11use_defaultESA_SA_EEPlZNS1_13binary_searchIS3_S5_PxSB_SC_NS1_21lower_bound_search_opENS8_6detail16wrapped_functionI11custom_lessbEEEE10hipError_tPvRmT1_T2_T3_mmT4_T5_P12ihipStream_tbEUlRKxE_EESK_SO_SP_mSQ_ST_bEUlT_E_NS1_11comp_targetILNS1_3genE5ELNS1_11target_archE942ELNS1_3gpuE9ELNS1_3repE0EEENS1_30default_config_static_selectorELNS0_4arch9wavefront6targetE0EEEvSN_,comdat
	.protected	_ZN7rocprim17ROCPRIM_400000_NS6detail17trampoline_kernelINS0_14default_configENS1_27lower_bound_config_selectorIxlEEZNS1_14transform_implILb0ES3_S5_N6thrust23THRUST_200600_302600_NS17counting_iteratorIxNS8_11use_defaultESA_SA_EEPlZNS1_13binary_searchIS3_S5_PxSB_SC_NS1_21lower_bound_search_opENS8_6detail16wrapped_functionI11custom_lessbEEEE10hipError_tPvRmT1_T2_T3_mmT4_T5_P12ihipStream_tbEUlRKxE_EESK_SO_SP_mSQ_ST_bEUlT_E_NS1_11comp_targetILNS1_3genE5ELNS1_11target_archE942ELNS1_3gpuE9ELNS1_3repE0EEENS1_30default_config_static_selectorELNS0_4arch9wavefront6targetE0EEEvSN_ ; -- Begin function _ZN7rocprim17ROCPRIM_400000_NS6detail17trampoline_kernelINS0_14default_configENS1_27lower_bound_config_selectorIxlEEZNS1_14transform_implILb0ES3_S5_N6thrust23THRUST_200600_302600_NS17counting_iteratorIxNS8_11use_defaultESA_SA_EEPlZNS1_13binary_searchIS3_S5_PxSB_SC_NS1_21lower_bound_search_opENS8_6detail16wrapped_functionI11custom_lessbEEEE10hipError_tPvRmT1_T2_T3_mmT4_T5_P12ihipStream_tbEUlRKxE_EESK_SO_SP_mSQ_ST_bEUlT_E_NS1_11comp_targetILNS1_3genE5ELNS1_11target_archE942ELNS1_3gpuE9ELNS1_3repE0EEENS1_30default_config_static_selectorELNS0_4arch9wavefront6targetE0EEEvSN_
	.globl	_ZN7rocprim17ROCPRIM_400000_NS6detail17trampoline_kernelINS0_14default_configENS1_27lower_bound_config_selectorIxlEEZNS1_14transform_implILb0ES3_S5_N6thrust23THRUST_200600_302600_NS17counting_iteratorIxNS8_11use_defaultESA_SA_EEPlZNS1_13binary_searchIS3_S5_PxSB_SC_NS1_21lower_bound_search_opENS8_6detail16wrapped_functionI11custom_lessbEEEE10hipError_tPvRmT1_T2_T3_mmT4_T5_P12ihipStream_tbEUlRKxE_EESK_SO_SP_mSQ_ST_bEUlT_E_NS1_11comp_targetILNS1_3genE5ELNS1_11target_archE942ELNS1_3gpuE9ELNS1_3repE0EEENS1_30default_config_static_selectorELNS0_4arch9wavefront6targetE0EEEvSN_
	.p2align	8
	.type	_ZN7rocprim17ROCPRIM_400000_NS6detail17trampoline_kernelINS0_14default_configENS1_27lower_bound_config_selectorIxlEEZNS1_14transform_implILb0ES3_S5_N6thrust23THRUST_200600_302600_NS17counting_iteratorIxNS8_11use_defaultESA_SA_EEPlZNS1_13binary_searchIS3_S5_PxSB_SC_NS1_21lower_bound_search_opENS8_6detail16wrapped_functionI11custom_lessbEEEE10hipError_tPvRmT1_T2_T3_mmT4_T5_P12ihipStream_tbEUlRKxE_EESK_SO_SP_mSQ_ST_bEUlT_E_NS1_11comp_targetILNS1_3genE5ELNS1_11target_archE942ELNS1_3gpuE9ELNS1_3repE0EEENS1_30default_config_static_selectorELNS0_4arch9wavefront6targetE0EEEvSN_,@function
_ZN7rocprim17ROCPRIM_400000_NS6detail17trampoline_kernelINS0_14default_configENS1_27lower_bound_config_selectorIxlEEZNS1_14transform_implILb0ES3_S5_N6thrust23THRUST_200600_302600_NS17counting_iteratorIxNS8_11use_defaultESA_SA_EEPlZNS1_13binary_searchIS3_S5_PxSB_SC_NS1_21lower_bound_search_opENS8_6detail16wrapped_functionI11custom_lessbEEEE10hipError_tPvRmT1_T2_T3_mmT4_T5_P12ihipStream_tbEUlRKxE_EESK_SO_SP_mSQ_ST_bEUlT_E_NS1_11comp_targetILNS1_3genE5ELNS1_11target_archE942ELNS1_3gpuE9ELNS1_3repE0EEENS1_30default_config_static_selectorELNS0_4arch9wavefront6targetE0EEEvSN_: ; @_ZN7rocprim17ROCPRIM_400000_NS6detail17trampoline_kernelINS0_14default_configENS1_27lower_bound_config_selectorIxlEEZNS1_14transform_implILb0ES3_S5_N6thrust23THRUST_200600_302600_NS17counting_iteratorIxNS8_11use_defaultESA_SA_EEPlZNS1_13binary_searchIS3_S5_PxSB_SC_NS1_21lower_bound_search_opENS8_6detail16wrapped_functionI11custom_lessbEEEE10hipError_tPvRmT1_T2_T3_mmT4_T5_P12ihipStream_tbEUlRKxE_EESK_SO_SP_mSQ_ST_bEUlT_E_NS1_11comp_targetILNS1_3genE5ELNS1_11target_archE942ELNS1_3gpuE9ELNS1_3repE0EEENS1_30default_config_static_selectorELNS0_4arch9wavefront6targetE0EEEvSN_
; %bb.0:
	.section	.rodata,"a",@progbits
	.p2align	6, 0x0
	.amdhsa_kernel _ZN7rocprim17ROCPRIM_400000_NS6detail17trampoline_kernelINS0_14default_configENS1_27lower_bound_config_selectorIxlEEZNS1_14transform_implILb0ES3_S5_N6thrust23THRUST_200600_302600_NS17counting_iteratorIxNS8_11use_defaultESA_SA_EEPlZNS1_13binary_searchIS3_S5_PxSB_SC_NS1_21lower_bound_search_opENS8_6detail16wrapped_functionI11custom_lessbEEEE10hipError_tPvRmT1_T2_T3_mmT4_T5_P12ihipStream_tbEUlRKxE_EESK_SO_SP_mSQ_ST_bEUlT_E_NS1_11comp_targetILNS1_3genE5ELNS1_11target_archE942ELNS1_3gpuE9ELNS1_3repE0EEENS1_30default_config_static_selectorELNS0_4arch9wavefront6targetE0EEEvSN_
		.amdhsa_group_segment_fixed_size 0
		.amdhsa_private_segment_fixed_size 0
		.amdhsa_kernarg_size 56
		.amdhsa_user_sgpr_count 15
		.amdhsa_user_sgpr_dispatch_ptr 0
		.amdhsa_user_sgpr_queue_ptr 0
		.amdhsa_user_sgpr_kernarg_segment_ptr 1
		.amdhsa_user_sgpr_dispatch_id 0
		.amdhsa_user_sgpr_private_segment_size 0
		.amdhsa_wavefront_size32 1
		.amdhsa_uses_dynamic_stack 0
		.amdhsa_enable_private_segment 0
		.amdhsa_system_sgpr_workgroup_id_x 1
		.amdhsa_system_sgpr_workgroup_id_y 0
		.amdhsa_system_sgpr_workgroup_id_z 0
		.amdhsa_system_sgpr_workgroup_info 0
		.amdhsa_system_vgpr_workitem_id 0
		.amdhsa_next_free_vgpr 1
		.amdhsa_next_free_sgpr 1
		.amdhsa_reserve_vcc 0
		.amdhsa_float_round_mode_32 0
		.amdhsa_float_round_mode_16_64 0
		.amdhsa_float_denorm_mode_32 3
		.amdhsa_float_denorm_mode_16_64 3
		.amdhsa_dx10_clamp 1
		.amdhsa_ieee_mode 1
		.amdhsa_fp16_overflow 0
		.amdhsa_workgroup_processor_mode 1
		.amdhsa_memory_ordered 1
		.amdhsa_forward_progress 0
		.amdhsa_shared_vgpr_count 0
		.amdhsa_exception_fp_ieee_invalid_op 0
		.amdhsa_exception_fp_denorm_src 0
		.amdhsa_exception_fp_ieee_div_zero 0
		.amdhsa_exception_fp_ieee_overflow 0
		.amdhsa_exception_fp_ieee_underflow 0
		.amdhsa_exception_fp_ieee_inexact 0
		.amdhsa_exception_int_div_zero 0
	.end_amdhsa_kernel
	.section	.text._ZN7rocprim17ROCPRIM_400000_NS6detail17trampoline_kernelINS0_14default_configENS1_27lower_bound_config_selectorIxlEEZNS1_14transform_implILb0ES3_S5_N6thrust23THRUST_200600_302600_NS17counting_iteratorIxNS8_11use_defaultESA_SA_EEPlZNS1_13binary_searchIS3_S5_PxSB_SC_NS1_21lower_bound_search_opENS8_6detail16wrapped_functionI11custom_lessbEEEE10hipError_tPvRmT1_T2_T3_mmT4_T5_P12ihipStream_tbEUlRKxE_EESK_SO_SP_mSQ_ST_bEUlT_E_NS1_11comp_targetILNS1_3genE5ELNS1_11target_archE942ELNS1_3gpuE9ELNS1_3repE0EEENS1_30default_config_static_selectorELNS0_4arch9wavefront6targetE0EEEvSN_,"axG",@progbits,_ZN7rocprim17ROCPRIM_400000_NS6detail17trampoline_kernelINS0_14default_configENS1_27lower_bound_config_selectorIxlEEZNS1_14transform_implILb0ES3_S5_N6thrust23THRUST_200600_302600_NS17counting_iteratorIxNS8_11use_defaultESA_SA_EEPlZNS1_13binary_searchIS3_S5_PxSB_SC_NS1_21lower_bound_search_opENS8_6detail16wrapped_functionI11custom_lessbEEEE10hipError_tPvRmT1_T2_T3_mmT4_T5_P12ihipStream_tbEUlRKxE_EESK_SO_SP_mSQ_ST_bEUlT_E_NS1_11comp_targetILNS1_3genE5ELNS1_11target_archE942ELNS1_3gpuE9ELNS1_3repE0EEENS1_30default_config_static_selectorELNS0_4arch9wavefront6targetE0EEEvSN_,comdat
.Lfunc_end59:
	.size	_ZN7rocprim17ROCPRIM_400000_NS6detail17trampoline_kernelINS0_14default_configENS1_27lower_bound_config_selectorIxlEEZNS1_14transform_implILb0ES3_S5_N6thrust23THRUST_200600_302600_NS17counting_iteratorIxNS8_11use_defaultESA_SA_EEPlZNS1_13binary_searchIS3_S5_PxSB_SC_NS1_21lower_bound_search_opENS8_6detail16wrapped_functionI11custom_lessbEEEE10hipError_tPvRmT1_T2_T3_mmT4_T5_P12ihipStream_tbEUlRKxE_EESK_SO_SP_mSQ_ST_bEUlT_E_NS1_11comp_targetILNS1_3genE5ELNS1_11target_archE942ELNS1_3gpuE9ELNS1_3repE0EEENS1_30default_config_static_selectorELNS0_4arch9wavefront6targetE0EEEvSN_, .Lfunc_end59-_ZN7rocprim17ROCPRIM_400000_NS6detail17trampoline_kernelINS0_14default_configENS1_27lower_bound_config_selectorIxlEEZNS1_14transform_implILb0ES3_S5_N6thrust23THRUST_200600_302600_NS17counting_iteratorIxNS8_11use_defaultESA_SA_EEPlZNS1_13binary_searchIS3_S5_PxSB_SC_NS1_21lower_bound_search_opENS8_6detail16wrapped_functionI11custom_lessbEEEE10hipError_tPvRmT1_T2_T3_mmT4_T5_P12ihipStream_tbEUlRKxE_EESK_SO_SP_mSQ_ST_bEUlT_E_NS1_11comp_targetILNS1_3genE5ELNS1_11target_archE942ELNS1_3gpuE9ELNS1_3repE0EEENS1_30default_config_static_selectorELNS0_4arch9wavefront6targetE0EEEvSN_
                                        ; -- End function
	.section	.AMDGPU.csdata,"",@progbits
; Kernel info:
; codeLenInByte = 0
; NumSgprs: 0
; NumVgprs: 0
; ScratchSize: 0
; MemoryBound: 0
; FloatMode: 240
; IeeeMode: 1
; LDSByteSize: 0 bytes/workgroup (compile time only)
; SGPRBlocks: 0
; VGPRBlocks: 0
; NumSGPRsForWavesPerEU: 1
; NumVGPRsForWavesPerEU: 1
; Occupancy: 16
; WaveLimiterHint : 0
; COMPUTE_PGM_RSRC2:SCRATCH_EN: 0
; COMPUTE_PGM_RSRC2:USER_SGPR: 15
; COMPUTE_PGM_RSRC2:TRAP_HANDLER: 0
; COMPUTE_PGM_RSRC2:TGID_X_EN: 1
; COMPUTE_PGM_RSRC2:TGID_Y_EN: 0
; COMPUTE_PGM_RSRC2:TGID_Z_EN: 0
; COMPUTE_PGM_RSRC2:TIDIG_COMP_CNT: 0
	.section	.text._ZN7rocprim17ROCPRIM_400000_NS6detail17trampoline_kernelINS0_14default_configENS1_27lower_bound_config_selectorIxlEEZNS1_14transform_implILb0ES3_S5_N6thrust23THRUST_200600_302600_NS17counting_iteratorIxNS8_11use_defaultESA_SA_EEPlZNS1_13binary_searchIS3_S5_PxSB_SC_NS1_21lower_bound_search_opENS8_6detail16wrapped_functionI11custom_lessbEEEE10hipError_tPvRmT1_T2_T3_mmT4_T5_P12ihipStream_tbEUlRKxE_EESK_SO_SP_mSQ_ST_bEUlT_E_NS1_11comp_targetILNS1_3genE4ELNS1_11target_archE910ELNS1_3gpuE8ELNS1_3repE0EEENS1_30default_config_static_selectorELNS0_4arch9wavefront6targetE0EEEvSN_,"axG",@progbits,_ZN7rocprim17ROCPRIM_400000_NS6detail17trampoline_kernelINS0_14default_configENS1_27lower_bound_config_selectorIxlEEZNS1_14transform_implILb0ES3_S5_N6thrust23THRUST_200600_302600_NS17counting_iteratorIxNS8_11use_defaultESA_SA_EEPlZNS1_13binary_searchIS3_S5_PxSB_SC_NS1_21lower_bound_search_opENS8_6detail16wrapped_functionI11custom_lessbEEEE10hipError_tPvRmT1_T2_T3_mmT4_T5_P12ihipStream_tbEUlRKxE_EESK_SO_SP_mSQ_ST_bEUlT_E_NS1_11comp_targetILNS1_3genE4ELNS1_11target_archE910ELNS1_3gpuE8ELNS1_3repE0EEENS1_30default_config_static_selectorELNS0_4arch9wavefront6targetE0EEEvSN_,comdat
	.protected	_ZN7rocprim17ROCPRIM_400000_NS6detail17trampoline_kernelINS0_14default_configENS1_27lower_bound_config_selectorIxlEEZNS1_14transform_implILb0ES3_S5_N6thrust23THRUST_200600_302600_NS17counting_iteratorIxNS8_11use_defaultESA_SA_EEPlZNS1_13binary_searchIS3_S5_PxSB_SC_NS1_21lower_bound_search_opENS8_6detail16wrapped_functionI11custom_lessbEEEE10hipError_tPvRmT1_T2_T3_mmT4_T5_P12ihipStream_tbEUlRKxE_EESK_SO_SP_mSQ_ST_bEUlT_E_NS1_11comp_targetILNS1_3genE4ELNS1_11target_archE910ELNS1_3gpuE8ELNS1_3repE0EEENS1_30default_config_static_selectorELNS0_4arch9wavefront6targetE0EEEvSN_ ; -- Begin function _ZN7rocprim17ROCPRIM_400000_NS6detail17trampoline_kernelINS0_14default_configENS1_27lower_bound_config_selectorIxlEEZNS1_14transform_implILb0ES3_S5_N6thrust23THRUST_200600_302600_NS17counting_iteratorIxNS8_11use_defaultESA_SA_EEPlZNS1_13binary_searchIS3_S5_PxSB_SC_NS1_21lower_bound_search_opENS8_6detail16wrapped_functionI11custom_lessbEEEE10hipError_tPvRmT1_T2_T3_mmT4_T5_P12ihipStream_tbEUlRKxE_EESK_SO_SP_mSQ_ST_bEUlT_E_NS1_11comp_targetILNS1_3genE4ELNS1_11target_archE910ELNS1_3gpuE8ELNS1_3repE0EEENS1_30default_config_static_selectorELNS0_4arch9wavefront6targetE0EEEvSN_
	.globl	_ZN7rocprim17ROCPRIM_400000_NS6detail17trampoline_kernelINS0_14default_configENS1_27lower_bound_config_selectorIxlEEZNS1_14transform_implILb0ES3_S5_N6thrust23THRUST_200600_302600_NS17counting_iteratorIxNS8_11use_defaultESA_SA_EEPlZNS1_13binary_searchIS3_S5_PxSB_SC_NS1_21lower_bound_search_opENS8_6detail16wrapped_functionI11custom_lessbEEEE10hipError_tPvRmT1_T2_T3_mmT4_T5_P12ihipStream_tbEUlRKxE_EESK_SO_SP_mSQ_ST_bEUlT_E_NS1_11comp_targetILNS1_3genE4ELNS1_11target_archE910ELNS1_3gpuE8ELNS1_3repE0EEENS1_30default_config_static_selectorELNS0_4arch9wavefront6targetE0EEEvSN_
	.p2align	8
	.type	_ZN7rocprim17ROCPRIM_400000_NS6detail17trampoline_kernelINS0_14default_configENS1_27lower_bound_config_selectorIxlEEZNS1_14transform_implILb0ES3_S5_N6thrust23THRUST_200600_302600_NS17counting_iteratorIxNS8_11use_defaultESA_SA_EEPlZNS1_13binary_searchIS3_S5_PxSB_SC_NS1_21lower_bound_search_opENS8_6detail16wrapped_functionI11custom_lessbEEEE10hipError_tPvRmT1_T2_T3_mmT4_T5_P12ihipStream_tbEUlRKxE_EESK_SO_SP_mSQ_ST_bEUlT_E_NS1_11comp_targetILNS1_3genE4ELNS1_11target_archE910ELNS1_3gpuE8ELNS1_3repE0EEENS1_30default_config_static_selectorELNS0_4arch9wavefront6targetE0EEEvSN_,@function
_ZN7rocprim17ROCPRIM_400000_NS6detail17trampoline_kernelINS0_14default_configENS1_27lower_bound_config_selectorIxlEEZNS1_14transform_implILb0ES3_S5_N6thrust23THRUST_200600_302600_NS17counting_iteratorIxNS8_11use_defaultESA_SA_EEPlZNS1_13binary_searchIS3_S5_PxSB_SC_NS1_21lower_bound_search_opENS8_6detail16wrapped_functionI11custom_lessbEEEE10hipError_tPvRmT1_T2_T3_mmT4_T5_P12ihipStream_tbEUlRKxE_EESK_SO_SP_mSQ_ST_bEUlT_E_NS1_11comp_targetILNS1_3genE4ELNS1_11target_archE910ELNS1_3gpuE8ELNS1_3repE0EEENS1_30default_config_static_selectorELNS0_4arch9wavefront6targetE0EEEvSN_: ; @_ZN7rocprim17ROCPRIM_400000_NS6detail17trampoline_kernelINS0_14default_configENS1_27lower_bound_config_selectorIxlEEZNS1_14transform_implILb0ES3_S5_N6thrust23THRUST_200600_302600_NS17counting_iteratorIxNS8_11use_defaultESA_SA_EEPlZNS1_13binary_searchIS3_S5_PxSB_SC_NS1_21lower_bound_search_opENS8_6detail16wrapped_functionI11custom_lessbEEEE10hipError_tPvRmT1_T2_T3_mmT4_T5_P12ihipStream_tbEUlRKxE_EESK_SO_SP_mSQ_ST_bEUlT_E_NS1_11comp_targetILNS1_3genE4ELNS1_11target_archE910ELNS1_3gpuE8ELNS1_3repE0EEENS1_30default_config_static_selectorELNS0_4arch9wavefront6targetE0EEEvSN_
; %bb.0:
	.section	.rodata,"a",@progbits
	.p2align	6, 0x0
	.amdhsa_kernel _ZN7rocprim17ROCPRIM_400000_NS6detail17trampoline_kernelINS0_14default_configENS1_27lower_bound_config_selectorIxlEEZNS1_14transform_implILb0ES3_S5_N6thrust23THRUST_200600_302600_NS17counting_iteratorIxNS8_11use_defaultESA_SA_EEPlZNS1_13binary_searchIS3_S5_PxSB_SC_NS1_21lower_bound_search_opENS8_6detail16wrapped_functionI11custom_lessbEEEE10hipError_tPvRmT1_T2_T3_mmT4_T5_P12ihipStream_tbEUlRKxE_EESK_SO_SP_mSQ_ST_bEUlT_E_NS1_11comp_targetILNS1_3genE4ELNS1_11target_archE910ELNS1_3gpuE8ELNS1_3repE0EEENS1_30default_config_static_selectorELNS0_4arch9wavefront6targetE0EEEvSN_
		.amdhsa_group_segment_fixed_size 0
		.amdhsa_private_segment_fixed_size 0
		.amdhsa_kernarg_size 56
		.amdhsa_user_sgpr_count 15
		.amdhsa_user_sgpr_dispatch_ptr 0
		.amdhsa_user_sgpr_queue_ptr 0
		.amdhsa_user_sgpr_kernarg_segment_ptr 1
		.amdhsa_user_sgpr_dispatch_id 0
		.amdhsa_user_sgpr_private_segment_size 0
		.amdhsa_wavefront_size32 1
		.amdhsa_uses_dynamic_stack 0
		.amdhsa_enable_private_segment 0
		.amdhsa_system_sgpr_workgroup_id_x 1
		.amdhsa_system_sgpr_workgroup_id_y 0
		.amdhsa_system_sgpr_workgroup_id_z 0
		.amdhsa_system_sgpr_workgroup_info 0
		.amdhsa_system_vgpr_workitem_id 0
		.amdhsa_next_free_vgpr 1
		.amdhsa_next_free_sgpr 1
		.amdhsa_reserve_vcc 0
		.amdhsa_float_round_mode_32 0
		.amdhsa_float_round_mode_16_64 0
		.amdhsa_float_denorm_mode_32 3
		.amdhsa_float_denorm_mode_16_64 3
		.amdhsa_dx10_clamp 1
		.amdhsa_ieee_mode 1
		.amdhsa_fp16_overflow 0
		.amdhsa_workgroup_processor_mode 1
		.amdhsa_memory_ordered 1
		.amdhsa_forward_progress 0
		.amdhsa_shared_vgpr_count 0
		.amdhsa_exception_fp_ieee_invalid_op 0
		.amdhsa_exception_fp_denorm_src 0
		.amdhsa_exception_fp_ieee_div_zero 0
		.amdhsa_exception_fp_ieee_overflow 0
		.amdhsa_exception_fp_ieee_underflow 0
		.amdhsa_exception_fp_ieee_inexact 0
		.amdhsa_exception_int_div_zero 0
	.end_amdhsa_kernel
	.section	.text._ZN7rocprim17ROCPRIM_400000_NS6detail17trampoline_kernelINS0_14default_configENS1_27lower_bound_config_selectorIxlEEZNS1_14transform_implILb0ES3_S5_N6thrust23THRUST_200600_302600_NS17counting_iteratorIxNS8_11use_defaultESA_SA_EEPlZNS1_13binary_searchIS3_S5_PxSB_SC_NS1_21lower_bound_search_opENS8_6detail16wrapped_functionI11custom_lessbEEEE10hipError_tPvRmT1_T2_T3_mmT4_T5_P12ihipStream_tbEUlRKxE_EESK_SO_SP_mSQ_ST_bEUlT_E_NS1_11comp_targetILNS1_3genE4ELNS1_11target_archE910ELNS1_3gpuE8ELNS1_3repE0EEENS1_30default_config_static_selectorELNS0_4arch9wavefront6targetE0EEEvSN_,"axG",@progbits,_ZN7rocprim17ROCPRIM_400000_NS6detail17trampoline_kernelINS0_14default_configENS1_27lower_bound_config_selectorIxlEEZNS1_14transform_implILb0ES3_S5_N6thrust23THRUST_200600_302600_NS17counting_iteratorIxNS8_11use_defaultESA_SA_EEPlZNS1_13binary_searchIS3_S5_PxSB_SC_NS1_21lower_bound_search_opENS8_6detail16wrapped_functionI11custom_lessbEEEE10hipError_tPvRmT1_T2_T3_mmT4_T5_P12ihipStream_tbEUlRKxE_EESK_SO_SP_mSQ_ST_bEUlT_E_NS1_11comp_targetILNS1_3genE4ELNS1_11target_archE910ELNS1_3gpuE8ELNS1_3repE0EEENS1_30default_config_static_selectorELNS0_4arch9wavefront6targetE0EEEvSN_,comdat
.Lfunc_end60:
	.size	_ZN7rocprim17ROCPRIM_400000_NS6detail17trampoline_kernelINS0_14default_configENS1_27lower_bound_config_selectorIxlEEZNS1_14transform_implILb0ES3_S5_N6thrust23THRUST_200600_302600_NS17counting_iteratorIxNS8_11use_defaultESA_SA_EEPlZNS1_13binary_searchIS3_S5_PxSB_SC_NS1_21lower_bound_search_opENS8_6detail16wrapped_functionI11custom_lessbEEEE10hipError_tPvRmT1_T2_T3_mmT4_T5_P12ihipStream_tbEUlRKxE_EESK_SO_SP_mSQ_ST_bEUlT_E_NS1_11comp_targetILNS1_3genE4ELNS1_11target_archE910ELNS1_3gpuE8ELNS1_3repE0EEENS1_30default_config_static_selectorELNS0_4arch9wavefront6targetE0EEEvSN_, .Lfunc_end60-_ZN7rocprim17ROCPRIM_400000_NS6detail17trampoline_kernelINS0_14default_configENS1_27lower_bound_config_selectorIxlEEZNS1_14transform_implILb0ES3_S5_N6thrust23THRUST_200600_302600_NS17counting_iteratorIxNS8_11use_defaultESA_SA_EEPlZNS1_13binary_searchIS3_S5_PxSB_SC_NS1_21lower_bound_search_opENS8_6detail16wrapped_functionI11custom_lessbEEEE10hipError_tPvRmT1_T2_T3_mmT4_T5_P12ihipStream_tbEUlRKxE_EESK_SO_SP_mSQ_ST_bEUlT_E_NS1_11comp_targetILNS1_3genE4ELNS1_11target_archE910ELNS1_3gpuE8ELNS1_3repE0EEENS1_30default_config_static_selectorELNS0_4arch9wavefront6targetE0EEEvSN_
                                        ; -- End function
	.section	.AMDGPU.csdata,"",@progbits
; Kernel info:
; codeLenInByte = 0
; NumSgprs: 0
; NumVgprs: 0
; ScratchSize: 0
; MemoryBound: 0
; FloatMode: 240
; IeeeMode: 1
; LDSByteSize: 0 bytes/workgroup (compile time only)
; SGPRBlocks: 0
; VGPRBlocks: 0
; NumSGPRsForWavesPerEU: 1
; NumVGPRsForWavesPerEU: 1
; Occupancy: 16
; WaveLimiterHint : 0
; COMPUTE_PGM_RSRC2:SCRATCH_EN: 0
; COMPUTE_PGM_RSRC2:USER_SGPR: 15
; COMPUTE_PGM_RSRC2:TRAP_HANDLER: 0
; COMPUTE_PGM_RSRC2:TGID_X_EN: 1
; COMPUTE_PGM_RSRC2:TGID_Y_EN: 0
; COMPUTE_PGM_RSRC2:TGID_Z_EN: 0
; COMPUTE_PGM_RSRC2:TIDIG_COMP_CNT: 0
	.section	.text._ZN7rocprim17ROCPRIM_400000_NS6detail17trampoline_kernelINS0_14default_configENS1_27lower_bound_config_selectorIxlEEZNS1_14transform_implILb0ES3_S5_N6thrust23THRUST_200600_302600_NS17counting_iteratorIxNS8_11use_defaultESA_SA_EEPlZNS1_13binary_searchIS3_S5_PxSB_SC_NS1_21lower_bound_search_opENS8_6detail16wrapped_functionI11custom_lessbEEEE10hipError_tPvRmT1_T2_T3_mmT4_T5_P12ihipStream_tbEUlRKxE_EESK_SO_SP_mSQ_ST_bEUlT_E_NS1_11comp_targetILNS1_3genE3ELNS1_11target_archE908ELNS1_3gpuE7ELNS1_3repE0EEENS1_30default_config_static_selectorELNS0_4arch9wavefront6targetE0EEEvSN_,"axG",@progbits,_ZN7rocprim17ROCPRIM_400000_NS6detail17trampoline_kernelINS0_14default_configENS1_27lower_bound_config_selectorIxlEEZNS1_14transform_implILb0ES3_S5_N6thrust23THRUST_200600_302600_NS17counting_iteratorIxNS8_11use_defaultESA_SA_EEPlZNS1_13binary_searchIS3_S5_PxSB_SC_NS1_21lower_bound_search_opENS8_6detail16wrapped_functionI11custom_lessbEEEE10hipError_tPvRmT1_T2_T3_mmT4_T5_P12ihipStream_tbEUlRKxE_EESK_SO_SP_mSQ_ST_bEUlT_E_NS1_11comp_targetILNS1_3genE3ELNS1_11target_archE908ELNS1_3gpuE7ELNS1_3repE0EEENS1_30default_config_static_selectorELNS0_4arch9wavefront6targetE0EEEvSN_,comdat
	.protected	_ZN7rocprim17ROCPRIM_400000_NS6detail17trampoline_kernelINS0_14default_configENS1_27lower_bound_config_selectorIxlEEZNS1_14transform_implILb0ES3_S5_N6thrust23THRUST_200600_302600_NS17counting_iteratorIxNS8_11use_defaultESA_SA_EEPlZNS1_13binary_searchIS3_S5_PxSB_SC_NS1_21lower_bound_search_opENS8_6detail16wrapped_functionI11custom_lessbEEEE10hipError_tPvRmT1_T2_T3_mmT4_T5_P12ihipStream_tbEUlRKxE_EESK_SO_SP_mSQ_ST_bEUlT_E_NS1_11comp_targetILNS1_3genE3ELNS1_11target_archE908ELNS1_3gpuE7ELNS1_3repE0EEENS1_30default_config_static_selectorELNS0_4arch9wavefront6targetE0EEEvSN_ ; -- Begin function _ZN7rocprim17ROCPRIM_400000_NS6detail17trampoline_kernelINS0_14default_configENS1_27lower_bound_config_selectorIxlEEZNS1_14transform_implILb0ES3_S5_N6thrust23THRUST_200600_302600_NS17counting_iteratorIxNS8_11use_defaultESA_SA_EEPlZNS1_13binary_searchIS3_S5_PxSB_SC_NS1_21lower_bound_search_opENS8_6detail16wrapped_functionI11custom_lessbEEEE10hipError_tPvRmT1_T2_T3_mmT4_T5_P12ihipStream_tbEUlRKxE_EESK_SO_SP_mSQ_ST_bEUlT_E_NS1_11comp_targetILNS1_3genE3ELNS1_11target_archE908ELNS1_3gpuE7ELNS1_3repE0EEENS1_30default_config_static_selectorELNS0_4arch9wavefront6targetE0EEEvSN_
	.globl	_ZN7rocprim17ROCPRIM_400000_NS6detail17trampoline_kernelINS0_14default_configENS1_27lower_bound_config_selectorIxlEEZNS1_14transform_implILb0ES3_S5_N6thrust23THRUST_200600_302600_NS17counting_iteratorIxNS8_11use_defaultESA_SA_EEPlZNS1_13binary_searchIS3_S5_PxSB_SC_NS1_21lower_bound_search_opENS8_6detail16wrapped_functionI11custom_lessbEEEE10hipError_tPvRmT1_T2_T3_mmT4_T5_P12ihipStream_tbEUlRKxE_EESK_SO_SP_mSQ_ST_bEUlT_E_NS1_11comp_targetILNS1_3genE3ELNS1_11target_archE908ELNS1_3gpuE7ELNS1_3repE0EEENS1_30default_config_static_selectorELNS0_4arch9wavefront6targetE0EEEvSN_
	.p2align	8
	.type	_ZN7rocprim17ROCPRIM_400000_NS6detail17trampoline_kernelINS0_14default_configENS1_27lower_bound_config_selectorIxlEEZNS1_14transform_implILb0ES3_S5_N6thrust23THRUST_200600_302600_NS17counting_iteratorIxNS8_11use_defaultESA_SA_EEPlZNS1_13binary_searchIS3_S5_PxSB_SC_NS1_21lower_bound_search_opENS8_6detail16wrapped_functionI11custom_lessbEEEE10hipError_tPvRmT1_T2_T3_mmT4_T5_P12ihipStream_tbEUlRKxE_EESK_SO_SP_mSQ_ST_bEUlT_E_NS1_11comp_targetILNS1_3genE3ELNS1_11target_archE908ELNS1_3gpuE7ELNS1_3repE0EEENS1_30default_config_static_selectorELNS0_4arch9wavefront6targetE0EEEvSN_,@function
_ZN7rocprim17ROCPRIM_400000_NS6detail17trampoline_kernelINS0_14default_configENS1_27lower_bound_config_selectorIxlEEZNS1_14transform_implILb0ES3_S5_N6thrust23THRUST_200600_302600_NS17counting_iteratorIxNS8_11use_defaultESA_SA_EEPlZNS1_13binary_searchIS3_S5_PxSB_SC_NS1_21lower_bound_search_opENS8_6detail16wrapped_functionI11custom_lessbEEEE10hipError_tPvRmT1_T2_T3_mmT4_T5_P12ihipStream_tbEUlRKxE_EESK_SO_SP_mSQ_ST_bEUlT_E_NS1_11comp_targetILNS1_3genE3ELNS1_11target_archE908ELNS1_3gpuE7ELNS1_3repE0EEENS1_30default_config_static_selectorELNS0_4arch9wavefront6targetE0EEEvSN_: ; @_ZN7rocprim17ROCPRIM_400000_NS6detail17trampoline_kernelINS0_14default_configENS1_27lower_bound_config_selectorIxlEEZNS1_14transform_implILb0ES3_S5_N6thrust23THRUST_200600_302600_NS17counting_iteratorIxNS8_11use_defaultESA_SA_EEPlZNS1_13binary_searchIS3_S5_PxSB_SC_NS1_21lower_bound_search_opENS8_6detail16wrapped_functionI11custom_lessbEEEE10hipError_tPvRmT1_T2_T3_mmT4_T5_P12ihipStream_tbEUlRKxE_EESK_SO_SP_mSQ_ST_bEUlT_E_NS1_11comp_targetILNS1_3genE3ELNS1_11target_archE908ELNS1_3gpuE7ELNS1_3repE0EEENS1_30default_config_static_selectorELNS0_4arch9wavefront6targetE0EEEvSN_
; %bb.0:
	.section	.rodata,"a",@progbits
	.p2align	6, 0x0
	.amdhsa_kernel _ZN7rocprim17ROCPRIM_400000_NS6detail17trampoline_kernelINS0_14default_configENS1_27lower_bound_config_selectorIxlEEZNS1_14transform_implILb0ES3_S5_N6thrust23THRUST_200600_302600_NS17counting_iteratorIxNS8_11use_defaultESA_SA_EEPlZNS1_13binary_searchIS3_S5_PxSB_SC_NS1_21lower_bound_search_opENS8_6detail16wrapped_functionI11custom_lessbEEEE10hipError_tPvRmT1_T2_T3_mmT4_T5_P12ihipStream_tbEUlRKxE_EESK_SO_SP_mSQ_ST_bEUlT_E_NS1_11comp_targetILNS1_3genE3ELNS1_11target_archE908ELNS1_3gpuE7ELNS1_3repE0EEENS1_30default_config_static_selectorELNS0_4arch9wavefront6targetE0EEEvSN_
		.amdhsa_group_segment_fixed_size 0
		.amdhsa_private_segment_fixed_size 0
		.amdhsa_kernarg_size 56
		.amdhsa_user_sgpr_count 15
		.amdhsa_user_sgpr_dispatch_ptr 0
		.amdhsa_user_sgpr_queue_ptr 0
		.amdhsa_user_sgpr_kernarg_segment_ptr 1
		.amdhsa_user_sgpr_dispatch_id 0
		.amdhsa_user_sgpr_private_segment_size 0
		.amdhsa_wavefront_size32 1
		.amdhsa_uses_dynamic_stack 0
		.amdhsa_enable_private_segment 0
		.amdhsa_system_sgpr_workgroup_id_x 1
		.amdhsa_system_sgpr_workgroup_id_y 0
		.amdhsa_system_sgpr_workgroup_id_z 0
		.amdhsa_system_sgpr_workgroup_info 0
		.amdhsa_system_vgpr_workitem_id 0
		.amdhsa_next_free_vgpr 1
		.amdhsa_next_free_sgpr 1
		.amdhsa_reserve_vcc 0
		.amdhsa_float_round_mode_32 0
		.amdhsa_float_round_mode_16_64 0
		.amdhsa_float_denorm_mode_32 3
		.amdhsa_float_denorm_mode_16_64 3
		.amdhsa_dx10_clamp 1
		.amdhsa_ieee_mode 1
		.amdhsa_fp16_overflow 0
		.amdhsa_workgroup_processor_mode 1
		.amdhsa_memory_ordered 1
		.amdhsa_forward_progress 0
		.amdhsa_shared_vgpr_count 0
		.amdhsa_exception_fp_ieee_invalid_op 0
		.amdhsa_exception_fp_denorm_src 0
		.amdhsa_exception_fp_ieee_div_zero 0
		.amdhsa_exception_fp_ieee_overflow 0
		.amdhsa_exception_fp_ieee_underflow 0
		.amdhsa_exception_fp_ieee_inexact 0
		.amdhsa_exception_int_div_zero 0
	.end_amdhsa_kernel
	.section	.text._ZN7rocprim17ROCPRIM_400000_NS6detail17trampoline_kernelINS0_14default_configENS1_27lower_bound_config_selectorIxlEEZNS1_14transform_implILb0ES3_S5_N6thrust23THRUST_200600_302600_NS17counting_iteratorIxNS8_11use_defaultESA_SA_EEPlZNS1_13binary_searchIS3_S5_PxSB_SC_NS1_21lower_bound_search_opENS8_6detail16wrapped_functionI11custom_lessbEEEE10hipError_tPvRmT1_T2_T3_mmT4_T5_P12ihipStream_tbEUlRKxE_EESK_SO_SP_mSQ_ST_bEUlT_E_NS1_11comp_targetILNS1_3genE3ELNS1_11target_archE908ELNS1_3gpuE7ELNS1_3repE0EEENS1_30default_config_static_selectorELNS0_4arch9wavefront6targetE0EEEvSN_,"axG",@progbits,_ZN7rocprim17ROCPRIM_400000_NS6detail17trampoline_kernelINS0_14default_configENS1_27lower_bound_config_selectorIxlEEZNS1_14transform_implILb0ES3_S5_N6thrust23THRUST_200600_302600_NS17counting_iteratorIxNS8_11use_defaultESA_SA_EEPlZNS1_13binary_searchIS3_S5_PxSB_SC_NS1_21lower_bound_search_opENS8_6detail16wrapped_functionI11custom_lessbEEEE10hipError_tPvRmT1_T2_T3_mmT4_T5_P12ihipStream_tbEUlRKxE_EESK_SO_SP_mSQ_ST_bEUlT_E_NS1_11comp_targetILNS1_3genE3ELNS1_11target_archE908ELNS1_3gpuE7ELNS1_3repE0EEENS1_30default_config_static_selectorELNS0_4arch9wavefront6targetE0EEEvSN_,comdat
.Lfunc_end61:
	.size	_ZN7rocprim17ROCPRIM_400000_NS6detail17trampoline_kernelINS0_14default_configENS1_27lower_bound_config_selectorIxlEEZNS1_14transform_implILb0ES3_S5_N6thrust23THRUST_200600_302600_NS17counting_iteratorIxNS8_11use_defaultESA_SA_EEPlZNS1_13binary_searchIS3_S5_PxSB_SC_NS1_21lower_bound_search_opENS8_6detail16wrapped_functionI11custom_lessbEEEE10hipError_tPvRmT1_T2_T3_mmT4_T5_P12ihipStream_tbEUlRKxE_EESK_SO_SP_mSQ_ST_bEUlT_E_NS1_11comp_targetILNS1_3genE3ELNS1_11target_archE908ELNS1_3gpuE7ELNS1_3repE0EEENS1_30default_config_static_selectorELNS0_4arch9wavefront6targetE0EEEvSN_, .Lfunc_end61-_ZN7rocprim17ROCPRIM_400000_NS6detail17trampoline_kernelINS0_14default_configENS1_27lower_bound_config_selectorIxlEEZNS1_14transform_implILb0ES3_S5_N6thrust23THRUST_200600_302600_NS17counting_iteratorIxNS8_11use_defaultESA_SA_EEPlZNS1_13binary_searchIS3_S5_PxSB_SC_NS1_21lower_bound_search_opENS8_6detail16wrapped_functionI11custom_lessbEEEE10hipError_tPvRmT1_T2_T3_mmT4_T5_P12ihipStream_tbEUlRKxE_EESK_SO_SP_mSQ_ST_bEUlT_E_NS1_11comp_targetILNS1_3genE3ELNS1_11target_archE908ELNS1_3gpuE7ELNS1_3repE0EEENS1_30default_config_static_selectorELNS0_4arch9wavefront6targetE0EEEvSN_
                                        ; -- End function
	.section	.AMDGPU.csdata,"",@progbits
; Kernel info:
; codeLenInByte = 0
; NumSgprs: 0
; NumVgprs: 0
; ScratchSize: 0
; MemoryBound: 0
; FloatMode: 240
; IeeeMode: 1
; LDSByteSize: 0 bytes/workgroup (compile time only)
; SGPRBlocks: 0
; VGPRBlocks: 0
; NumSGPRsForWavesPerEU: 1
; NumVGPRsForWavesPerEU: 1
; Occupancy: 16
; WaveLimiterHint : 0
; COMPUTE_PGM_RSRC2:SCRATCH_EN: 0
; COMPUTE_PGM_RSRC2:USER_SGPR: 15
; COMPUTE_PGM_RSRC2:TRAP_HANDLER: 0
; COMPUTE_PGM_RSRC2:TGID_X_EN: 1
; COMPUTE_PGM_RSRC2:TGID_Y_EN: 0
; COMPUTE_PGM_RSRC2:TGID_Z_EN: 0
; COMPUTE_PGM_RSRC2:TIDIG_COMP_CNT: 0
	.section	.text._ZN7rocprim17ROCPRIM_400000_NS6detail17trampoline_kernelINS0_14default_configENS1_27lower_bound_config_selectorIxlEEZNS1_14transform_implILb0ES3_S5_N6thrust23THRUST_200600_302600_NS17counting_iteratorIxNS8_11use_defaultESA_SA_EEPlZNS1_13binary_searchIS3_S5_PxSB_SC_NS1_21lower_bound_search_opENS8_6detail16wrapped_functionI11custom_lessbEEEE10hipError_tPvRmT1_T2_T3_mmT4_T5_P12ihipStream_tbEUlRKxE_EESK_SO_SP_mSQ_ST_bEUlT_E_NS1_11comp_targetILNS1_3genE2ELNS1_11target_archE906ELNS1_3gpuE6ELNS1_3repE0EEENS1_30default_config_static_selectorELNS0_4arch9wavefront6targetE0EEEvSN_,"axG",@progbits,_ZN7rocprim17ROCPRIM_400000_NS6detail17trampoline_kernelINS0_14default_configENS1_27lower_bound_config_selectorIxlEEZNS1_14transform_implILb0ES3_S5_N6thrust23THRUST_200600_302600_NS17counting_iteratorIxNS8_11use_defaultESA_SA_EEPlZNS1_13binary_searchIS3_S5_PxSB_SC_NS1_21lower_bound_search_opENS8_6detail16wrapped_functionI11custom_lessbEEEE10hipError_tPvRmT1_T2_T3_mmT4_T5_P12ihipStream_tbEUlRKxE_EESK_SO_SP_mSQ_ST_bEUlT_E_NS1_11comp_targetILNS1_3genE2ELNS1_11target_archE906ELNS1_3gpuE6ELNS1_3repE0EEENS1_30default_config_static_selectorELNS0_4arch9wavefront6targetE0EEEvSN_,comdat
	.protected	_ZN7rocprim17ROCPRIM_400000_NS6detail17trampoline_kernelINS0_14default_configENS1_27lower_bound_config_selectorIxlEEZNS1_14transform_implILb0ES3_S5_N6thrust23THRUST_200600_302600_NS17counting_iteratorIxNS8_11use_defaultESA_SA_EEPlZNS1_13binary_searchIS3_S5_PxSB_SC_NS1_21lower_bound_search_opENS8_6detail16wrapped_functionI11custom_lessbEEEE10hipError_tPvRmT1_T2_T3_mmT4_T5_P12ihipStream_tbEUlRKxE_EESK_SO_SP_mSQ_ST_bEUlT_E_NS1_11comp_targetILNS1_3genE2ELNS1_11target_archE906ELNS1_3gpuE6ELNS1_3repE0EEENS1_30default_config_static_selectorELNS0_4arch9wavefront6targetE0EEEvSN_ ; -- Begin function _ZN7rocprim17ROCPRIM_400000_NS6detail17trampoline_kernelINS0_14default_configENS1_27lower_bound_config_selectorIxlEEZNS1_14transform_implILb0ES3_S5_N6thrust23THRUST_200600_302600_NS17counting_iteratorIxNS8_11use_defaultESA_SA_EEPlZNS1_13binary_searchIS3_S5_PxSB_SC_NS1_21lower_bound_search_opENS8_6detail16wrapped_functionI11custom_lessbEEEE10hipError_tPvRmT1_T2_T3_mmT4_T5_P12ihipStream_tbEUlRKxE_EESK_SO_SP_mSQ_ST_bEUlT_E_NS1_11comp_targetILNS1_3genE2ELNS1_11target_archE906ELNS1_3gpuE6ELNS1_3repE0EEENS1_30default_config_static_selectorELNS0_4arch9wavefront6targetE0EEEvSN_
	.globl	_ZN7rocprim17ROCPRIM_400000_NS6detail17trampoline_kernelINS0_14default_configENS1_27lower_bound_config_selectorIxlEEZNS1_14transform_implILb0ES3_S5_N6thrust23THRUST_200600_302600_NS17counting_iteratorIxNS8_11use_defaultESA_SA_EEPlZNS1_13binary_searchIS3_S5_PxSB_SC_NS1_21lower_bound_search_opENS8_6detail16wrapped_functionI11custom_lessbEEEE10hipError_tPvRmT1_T2_T3_mmT4_T5_P12ihipStream_tbEUlRKxE_EESK_SO_SP_mSQ_ST_bEUlT_E_NS1_11comp_targetILNS1_3genE2ELNS1_11target_archE906ELNS1_3gpuE6ELNS1_3repE0EEENS1_30default_config_static_selectorELNS0_4arch9wavefront6targetE0EEEvSN_
	.p2align	8
	.type	_ZN7rocprim17ROCPRIM_400000_NS6detail17trampoline_kernelINS0_14default_configENS1_27lower_bound_config_selectorIxlEEZNS1_14transform_implILb0ES3_S5_N6thrust23THRUST_200600_302600_NS17counting_iteratorIxNS8_11use_defaultESA_SA_EEPlZNS1_13binary_searchIS3_S5_PxSB_SC_NS1_21lower_bound_search_opENS8_6detail16wrapped_functionI11custom_lessbEEEE10hipError_tPvRmT1_T2_T3_mmT4_T5_P12ihipStream_tbEUlRKxE_EESK_SO_SP_mSQ_ST_bEUlT_E_NS1_11comp_targetILNS1_3genE2ELNS1_11target_archE906ELNS1_3gpuE6ELNS1_3repE0EEENS1_30default_config_static_selectorELNS0_4arch9wavefront6targetE0EEEvSN_,@function
_ZN7rocprim17ROCPRIM_400000_NS6detail17trampoline_kernelINS0_14default_configENS1_27lower_bound_config_selectorIxlEEZNS1_14transform_implILb0ES3_S5_N6thrust23THRUST_200600_302600_NS17counting_iteratorIxNS8_11use_defaultESA_SA_EEPlZNS1_13binary_searchIS3_S5_PxSB_SC_NS1_21lower_bound_search_opENS8_6detail16wrapped_functionI11custom_lessbEEEE10hipError_tPvRmT1_T2_T3_mmT4_T5_P12ihipStream_tbEUlRKxE_EESK_SO_SP_mSQ_ST_bEUlT_E_NS1_11comp_targetILNS1_3genE2ELNS1_11target_archE906ELNS1_3gpuE6ELNS1_3repE0EEENS1_30default_config_static_selectorELNS0_4arch9wavefront6targetE0EEEvSN_: ; @_ZN7rocprim17ROCPRIM_400000_NS6detail17trampoline_kernelINS0_14default_configENS1_27lower_bound_config_selectorIxlEEZNS1_14transform_implILb0ES3_S5_N6thrust23THRUST_200600_302600_NS17counting_iteratorIxNS8_11use_defaultESA_SA_EEPlZNS1_13binary_searchIS3_S5_PxSB_SC_NS1_21lower_bound_search_opENS8_6detail16wrapped_functionI11custom_lessbEEEE10hipError_tPvRmT1_T2_T3_mmT4_T5_P12ihipStream_tbEUlRKxE_EESK_SO_SP_mSQ_ST_bEUlT_E_NS1_11comp_targetILNS1_3genE2ELNS1_11target_archE906ELNS1_3gpuE6ELNS1_3repE0EEENS1_30default_config_static_selectorELNS0_4arch9wavefront6targetE0EEEvSN_
; %bb.0:
	.section	.rodata,"a",@progbits
	.p2align	6, 0x0
	.amdhsa_kernel _ZN7rocprim17ROCPRIM_400000_NS6detail17trampoline_kernelINS0_14default_configENS1_27lower_bound_config_selectorIxlEEZNS1_14transform_implILb0ES3_S5_N6thrust23THRUST_200600_302600_NS17counting_iteratorIxNS8_11use_defaultESA_SA_EEPlZNS1_13binary_searchIS3_S5_PxSB_SC_NS1_21lower_bound_search_opENS8_6detail16wrapped_functionI11custom_lessbEEEE10hipError_tPvRmT1_T2_T3_mmT4_T5_P12ihipStream_tbEUlRKxE_EESK_SO_SP_mSQ_ST_bEUlT_E_NS1_11comp_targetILNS1_3genE2ELNS1_11target_archE906ELNS1_3gpuE6ELNS1_3repE0EEENS1_30default_config_static_selectorELNS0_4arch9wavefront6targetE0EEEvSN_
		.amdhsa_group_segment_fixed_size 0
		.amdhsa_private_segment_fixed_size 0
		.amdhsa_kernarg_size 56
		.amdhsa_user_sgpr_count 15
		.amdhsa_user_sgpr_dispatch_ptr 0
		.amdhsa_user_sgpr_queue_ptr 0
		.amdhsa_user_sgpr_kernarg_segment_ptr 1
		.amdhsa_user_sgpr_dispatch_id 0
		.amdhsa_user_sgpr_private_segment_size 0
		.amdhsa_wavefront_size32 1
		.amdhsa_uses_dynamic_stack 0
		.amdhsa_enable_private_segment 0
		.amdhsa_system_sgpr_workgroup_id_x 1
		.amdhsa_system_sgpr_workgroup_id_y 0
		.amdhsa_system_sgpr_workgroup_id_z 0
		.amdhsa_system_sgpr_workgroup_info 0
		.amdhsa_system_vgpr_workitem_id 0
		.amdhsa_next_free_vgpr 1
		.amdhsa_next_free_sgpr 1
		.amdhsa_reserve_vcc 0
		.amdhsa_float_round_mode_32 0
		.amdhsa_float_round_mode_16_64 0
		.amdhsa_float_denorm_mode_32 3
		.amdhsa_float_denorm_mode_16_64 3
		.amdhsa_dx10_clamp 1
		.amdhsa_ieee_mode 1
		.amdhsa_fp16_overflow 0
		.amdhsa_workgroup_processor_mode 1
		.amdhsa_memory_ordered 1
		.amdhsa_forward_progress 0
		.amdhsa_shared_vgpr_count 0
		.amdhsa_exception_fp_ieee_invalid_op 0
		.amdhsa_exception_fp_denorm_src 0
		.amdhsa_exception_fp_ieee_div_zero 0
		.amdhsa_exception_fp_ieee_overflow 0
		.amdhsa_exception_fp_ieee_underflow 0
		.amdhsa_exception_fp_ieee_inexact 0
		.amdhsa_exception_int_div_zero 0
	.end_amdhsa_kernel
	.section	.text._ZN7rocprim17ROCPRIM_400000_NS6detail17trampoline_kernelINS0_14default_configENS1_27lower_bound_config_selectorIxlEEZNS1_14transform_implILb0ES3_S5_N6thrust23THRUST_200600_302600_NS17counting_iteratorIxNS8_11use_defaultESA_SA_EEPlZNS1_13binary_searchIS3_S5_PxSB_SC_NS1_21lower_bound_search_opENS8_6detail16wrapped_functionI11custom_lessbEEEE10hipError_tPvRmT1_T2_T3_mmT4_T5_P12ihipStream_tbEUlRKxE_EESK_SO_SP_mSQ_ST_bEUlT_E_NS1_11comp_targetILNS1_3genE2ELNS1_11target_archE906ELNS1_3gpuE6ELNS1_3repE0EEENS1_30default_config_static_selectorELNS0_4arch9wavefront6targetE0EEEvSN_,"axG",@progbits,_ZN7rocprim17ROCPRIM_400000_NS6detail17trampoline_kernelINS0_14default_configENS1_27lower_bound_config_selectorIxlEEZNS1_14transform_implILb0ES3_S5_N6thrust23THRUST_200600_302600_NS17counting_iteratorIxNS8_11use_defaultESA_SA_EEPlZNS1_13binary_searchIS3_S5_PxSB_SC_NS1_21lower_bound_search_opENS8_6detail16wrapped_functionI11custom_lessbEEEE10hipError_tPvRmT1_T2_T3_mmT4_T5_P12ihipStream_tbEUlRKxE_EESK_SO_SP_mSQ_ST_bEUlT_E_NS1_11comp_targetILNS1_3genE2ELNS1_11target_archE906ELNS1_3gpuE6ELNS1_3repE0EEENS1_30default_config_static_selectorELNS0_4arch9wavefront6targetE0EEEvSN_,comdat
.Lfunc_end62:
	.size	_ZN7rocprim17ROCPRIM_400000_NS6detail17trampoline_kernelINS0_14default_configENS1_27lower_bound_config_selectorIxlEEZNS1_14transform_implILb0ES3_S5_N6thrust23THRUST_200600_302600_NS17counting_iteratorIxNS8_11use_defaultESA_SA_EEPlZNS1_13binary_searchIS3_S5_PxSB_SC_NS1_21lower_bound_search_opENS8_6detail16wrapped_functionI11custom_lessbEEEE10hipError_tPvRmT1_T2_T3_mmT4_T5_P12ihipStream_tbEUlRKxE_EESK_SO_SP_mSQ_ST_bEUlT_E_NS1_11comp_targetILNS1_3genE2ELNS1_11target_archE906ELNS1_3gpuE6ELNS1_3repE0EEENS1_30default_config_static_selectorELNS0_4arch9wavefront6targetE0EEEvSN_, .Lfunc_end62-_ZN7rocprim17ROCPRIM_400000_NS6detail17trampoline_kernelINS0_14default_configENS1_27lower_bound_config_selectorIxlEEZNS1_14transform_implILb0ES3_S5_N6thrust23THRUST_200600_302600_NS17counting_iteratorIxNS8_11use_defaultESA_SA_EEPlZNS1_13binary_searchIS3_S5_PxSB_SC_NS1_21lower_bound_search_opENS8_6detail16wrapped_functionI11custom_lessbEEEE10hipError_tPvRmT1_T2_T3_mmT4_T5_P12ihipStream_tbEUlRKxE_EESK_SO_SP_mSQ_ST_bEUlT_E_NS1_11comp_targetILNS1_3genE2ELNS1_11target_archE906ELNS1_3gpuE6ELNS1_3repE0EEENS1_30default_config_static_selectorELNS0_4arch9wavefront6targetE0EEEvSN_
                                        ; -- End function
	.section	.AMDGPU.csdata,"",@progbits
; Kernel info:
; codeLenInByte = 0
; NumSgprs: 0
; NumVgprs: 0
; ScratchSize: 0
; MemoryBound: 0
; FloatMode: 240
; IeeeMode: 1
; LDSByteSize: 0 bytes/workgroup (compile time only)
; SGPRBlocks: 0
; VGPRBlocks: 0
; NumSGPRsForWavesPerEU: 1
; NumVGPRsForWavesPerEU: 1
; Occupancy: 16
; WaveLimiterHint : 0
; COMPUTE_PGM_RSRC2:SCRATCH_EN: 0
; COMPUTE_PGM_RSRC2:USER_SGPR: 15
; COMPUTE_PGM_RSRC2:TRAP_HANDLER: 0
; COMPUTE_PGM_RSRC2:TGID_X_EN: 1
; COMPUTE_PGM_RSRC2:TGID_Y_EN: 0
; COMPUTE_PGM_RSRC2:TGID_Z_EN: 0
; COMPUTE_PGM_RSRC2:TIDIG_COMP_CNT: 0
	.section	.text._ZN7rocprim17ROCPRIM_400000_NS6detail17trampoline_kernelINS0_14default_configENS1_27lower_bound_config_selectorIxlEEZNS1_14transform_implILb0ES3_S5_N6thrust23THRUST_200600_302600_NS17counting_iteratorIxNS8_11use_defaultESA_SA_EEPlZNS1_13binary_searchIS3_S5_PxSB_SC_NS1_21lower_bound_search_opENS8_6detail16wrapped_functionI11custom_lessbEEEE10hipError_tPvRmT1_T2_T3_mmT4_T5_P12ihipStream_tbEUlRKxE_EESK_SO_SP_mSQ_ST_bEUlT_E_NS1_11comp_targetILNS1_3genE10ELNS1_11target_archE1201ELNS1_3gpuE5ELNS1_3repE0EEENS1_30default_config_static_selectorELNS0_4arch9wavefront6targetE0EEEvSN_,"axG",@progbits,_ZN7rocprim17ROCPRIM_400000_NS6detail17trampoline_kernelINS0_14default_configENS1_27lower_bound_config_selectorIxlEEZNS1_14transform_implILb0ES3_S5_N6thrust23THRUST_200600_302600_NS17counting_iteratorIxNS8_11use_defaultESA_SA_EEPlZNS1_13binary_searchIS3_S5_PxSB_SC_NS1_21lower_bound_search_opENS8_6detail16wrapped_functionI11custom_lessbEEEE10hipError_tPvRmT1_T2_T3_mmT4_T5_P12ihipStream_tbEUlRKxE_EESK_SO_SP_mSQ_ST_bEUlT_E_NS1_11comp_targetILNS1_3genE10ELNS1_11target_archE1201ELNS1_3gpuE5ELNS1_3repE0EEENS1_30default_config_static_selectorELNS0_4arch9wavefront6targetE0EEEvSN_,comdat
	.protected	_ZN7rocprim17ROCPRIM_400000_NS6detail17trampoline_kernelINS0_14default_configENS1_27lower_bound_config_selectorIxlEEZNS1_14transform_implILb0ES3_S5_N6thrust23THRUST_200600_302600_NS17counting_iteratorIxNS8_11use_defaultESA_SA_EEPlZNS1_13binary_searchIS3_S5_PxSB_SC_NS1_21lower_bound_search_opENS8_6detail16wrapped_functionI11custom_lessbEEEE10hipError_tPvRmT1_T2_T3_mmT4_T5_P12ihipStream_tbEUlRKxE_EESK_SO_SP_mSQ_ST_bEUlT_E_NS1_11comp_targetILNS1_3genE10ELNS1_11target_archE1201ELNS1_3gpuE5ELNS1_3repE0EEENS1_30default_config_static_selectorELNS0_4arch9wavefront6targetE0EEEvSN_ ; -- Begin function _ZN7rocprim17ROCPRIM_400000_NS6detail17trampoline_kernelINS0_14default_configENS1_27lower_bound_config_selectorIxlEEZNS1_14transform_implILb0ES3_S5_N6thrust23THRUST_200600_302600_NS17counting_iteratorIxNS8_11use_defaultESA_SA_EEPlZNS1_13binary_searchIS3_S5_PxSB_SC_NS1_21lower_bound_search_opENS8_6detail16wrapped_functionI11custom_lessbEEEE10hipError_tPvRmT1_T2_T3_mmT4_T5_P12ihipStream_tbEUlRKxE_EESK_SO_SP_mSQ_ST_bEUlT_E_NS1_11comp_targetILNS1_3genE10ELNS1_11target_archE1201ELNS1_3gpuE5ELNS1_3repE0EEENS1_30default_config_static_selectorELNS0_4arch9wavefront6targetE0EEEvSN_
	.globl	_ZN7rocprim17ROCPRIM_400000_NS6detail17trampoline_kernelINS0_14default_configENS1_27lower_bound_config_selectorIxlEEZNS1_14transform_implILb0ES3_S5_N6thrust23THRUST_200600_302600_NS17counting_iteratorIxNS8_11use_defaultESA_SA_EEPlZNS1_13binary_searchIS3_S5_PxSB_SC_NS1_21lower_bound_search_opENS8_6detail16wrapped_functionI11custom_lessbEEEE10hipError_tPvRmT1_T2_T3_mmT4_T5_P12ihipStream_tbEUlRKxE_EESK_SO_SP_mSQ_ST_bEUlT_E_NS1_11comp_targetILNS1_3genE10ELNS1_11target_archE1201ELNS1_3gpuE5ELNS1_3repE0EEENS1_30default_config_static_selectorELNS0_4arch9wavefront6targetE0EEEvSN_
	.p2align	8
	.type	_ZN7rocprim17ROCPRIM_400000_NS6detail17trampoline_kernelINS0_14default_configENS1_27lower_bound_config_selectorIxlEEZNS1_14transform_implILb0ES3_S5_N6thrust23THRUST_200600_302600_NS17counting_iteratorIxNS8_11use_defaultESA_SA_EEPlZNS1_13binary_searchIS3_S5_PxSB_SC_NS1_21lower_bound_search_opENS8_6detail16wrapped_functionI11custom_lessbEEEE10hipError_tPvRmT1_T2_T3_mmT4_T5_P12ihipStream_tbEUlRKxE_EESK_SO_SP_mSQ_ST_bEUlT_E_NS1_11comp_targetILNS1_3genE10ELNS1_11target_archE1201ELNS1_3gpuE5ELNS1_3repE0EEENS1_30default_config_static_selectorELNS0_4arch9wavefront6targetE0EEEvSN_,@function
_ZN7rocprim17ROCPRIM_400000_NS6detail17trampoline_kernelINS0_14default_configENS1_27lower_bound_config_selectorIxlEEZNS1_14transform_implILb0ES3_S5_N6thrust23THRUST_200600_302600_NS17counting_iteratorIxNS8_11use_defaultESA_SA_EEPlZNS1_13binary_searchIS3_S5_PxSB_SC_NS1_21lower_bound_search_opENS8_6detail16wrapped_functionI11custom_lessbEEEE10hipError_tPvRmT1_T2_T3_mmT4_T5_P12ihipStream_tbEUlRKxE_EESK_SO_SP_mSQ_ST_bEUlT_E_NS1_11comp_targetILNS1_3genE10ELNS1_11target_archE1201ELNS1_3gpuE5ELNS1_3repE0EEENS1_30default_config_static_selectorELNS0_4arch9wavefront6targetE0EEEvSN_: ; @_ZN7rocprim17ROCPRIM_400000_NS6detail17trampoline_kernelINS0_14default_configENS1_27lower_bound_config_selectorIxlEEZNS1_14transform_implILb0ES3_S5_N6thrust23THRUST_200600_302600_NS17counting_iteratorIxNS8_11use_defaultESA_SA_EEPlZNS1_13binary_searchIS3_S5_PxSB_SC_NS1_21lower_bound_search_opENS8_6detail16wrapped_functionI11custom_lessbEEEE10hipError_tPvRmT1_T2_T3_mmT4_T5_P12ihipStream_tbEUlRKxE_EESK_SO_SP_mSQ_ST_bEUlT_E_NS1_11comp_targetILNS1_3genE10ELNS1_11target_archE1201ELNS1_3gpuE5ELNS1_3repE0EEENS1_30default_config_static_selectorELNS0_4arch9wavefront6targetE0EEEvSN_
; %bb.0:
	.section	.rodata,"a",@progbits
	.p2align	6, 0x0
	.amdhsa_kernel _ZN7rocprim17ROCPRIM_400000_NS6detail17trampoline_kernelINS0_14default_configENS1_27lower_bound_config_selectorIxlEEZNS1_14transform_implILb0ES3_S5_N6thrust23THRUST_200600_302600_NS17counting_iteratorIxNS8_11use_defaultESA_SA_EEPlZNS1_13binary_searchIS3_S5_PxSB_SC_NS1_21lower_bound_search_opENS8_6detail16wrapped_functionI11custom_lessbEEEE10hipError_tPvRmT1_T2_T3_mmT4_T5_P12ihipStream_tbEUlRKxE_EESK_SO_SP_mSQ_ST_bEUlT_E_NS1_11comp_targetILNS1_3genE10ELNS1_11target_archE1201ELNS1_3gpuE5ELNS1_3repE0EEENS1_30default_config_static_selectorELNS0_4arch9wavefront6targetE0EEEvSN_
		.amdhsa_group_segment_fixed_size 0
		.amdhsa_private_segment_fixed_size 0
		.amdhsa_kernarg_size 56
		.amdhsa_user_sgpr_count 15
		.amdhsa_user_sgpr_dispatch_ptr 0
		.amdhsa_user_sgpr_queue_ptr 0
		.amdhsa_user_sgpr_kernarg_segment_ptr 1
		.amdhsa_user_sgpr_dispatch_id 0
		.amdhsa_user_sgpr_private_segment_size 0
		.amdhsa_wavefront_size32 1
		.amdhsa_uses_dynamic_stack 0
		.amdhsa_enable_private_segment 0
		.amdhsa_system_sgpr_workgroup_id_x 1
		.amdhsa_system_sgpr_workgroup_id_y 0
		.amdhsa_system_sgpr_workgroup_id_z 0
		.amdhsa_system_sgpr_workgroup_info 0
		.amdhsa_system_vgpr_workitem_id 0
		.amdhsa_next_free_vgpr 1
		.amdhsa_next_free_sgpr 1
		.amdhsa_reserve_vcc 0
		.amdhsa_float_round_mode_32 0
		.amdhsa_float_round_mode_16_64 0
		.amdhsa_float_denorm_mode_32 3
		.amdhsa_float_denorm_mode_16_64 3
		.amdhsa_dx10_clamp 1
		.amdhsa_ieee_mode 1
		.amdhsa_fp16_overflow 0
		.amdhsa_workgroup_processor_mode 1
		.amdhsa_memory_ordered 1
		.amdhsa_forward_progress 0
		.amdhsa_shared_vgpr_count 0
		.amdhsa_exception_fp_ieee_invalid_op 0
		.amdhsa_exception_fp_denorm_src 0
		.amdhsa_exception_fp_ieee_div_zero 0
		.amdhsa_exception_fp_ieee_overflow 0
		.amdhsa_exception_fp_ieee_underflow 0
		.amdhsa_exception_fp_ieee_inexact 0
		.amdhsa_exception_int_div_zero 0
	.end_amdhsa_kernel
	.section	.text._ZN7rocprim17ROCPRIM_400000_NS6detail17trampoline_kernelINS0_14default_configENS1_27lower_bound_config_selectorIxlEEZNS1_14transform_implILb0ES3_S5_N6thrust23THRUST_200600_302600_NS17counting_iteratorIxNS8_11use_defaultESA_SA_EEPlZNS1_13binary_searchIS3_S5_PxSB_SC_NS1_21lower_bound_search_opENS8_6detail16wrapped_functionI11custom_lessbEEEE10hipError_tPvRmT1_T2_T3_mmT4_T5_P12ihipStream_tbEUlRKxE_EESK_SO_SP_mSQ_ST_bEUlT_E_NS1_11comp_targetILNS1_3genE10ELNS1_11target_archE1201ELNS1_3gpuE5ELNS1_3repE0EEENS1_30default_config_static_selectorELNS0_4arch9wavefront6targetE0EEEvSN_,"axG",@progbits,_ZN7rocprim17ROCPRIM_400000_NS6detail17trampoline_kernelINS0_14default_configENS1_27lower_bound_config_selectorIxlEEZNS1_14transform_implILb0ES3_S5_N6thrust23THRUST_200600_302600_NS17counting_iteratorIxNS8_11use_defaultESA_SA_EEPlZNS1_13binary_searchIS3_S5_PxSB_SC_NS1_21lower_bound_search_opENS8_6detail16wrapped_functionI11custom_lessbEEEE10hipError_tPvRmT1_T2_T3_mmT4_T5_P12ihipStream_tbEUlRKxE_EESK_SO_SP_mSQ_ST_bEUlT_E_NS1_11comp_targetILNS1_3genE10ELNS1_11target_archE1201ELNS1_3gpuE5ELNS1_3repE0EEENS1_30default_config_static_selectorELNS0_4arch9wavefront6targetE0EEEvSN_,comdat
.Lfunc_end63:
	.size	_ZN7rocprim17ROCPRIM_400000_NS6detail17trampoline_kernelINS0_14default_configENS1_27lower_bound_config_selectorIxlEEZNS1_14transform_implILb0ES3_S5_N6thrust23THRUST_200600_302600_NS17counting_iteratorIxNS8_11use_defaultESA_SA_EEPlZNS1_13binary_searchIS3_S5_PxSB_SC_NS1_21lower_bound_search_opENS8_6detail16wrapped_functionI11custom_lessbEEEE10hipError_tPvRmT1_T2_T3_mmT4_T5_P12ihipStream_tbEUlRKxE_EESK_SO_SP_mSQ_ST_bEUlT_E_NS1_11comp_targetILNS1_3genE10ELNS1_11target_archE1201ELNS1_3gpuE5ELNS1_3repE0EEENS1_30default_config_static_selectorELNS0_4arch9wavefront6targetE0EEEvSN_, .Lfunc_end63-_ZN7rocprim17ROCPRIM_400000_NS6detail17trampoline_kernelINS0_14default_configENS1_27lower_bound_config_selectorIxlEEZNS1_14transform_implILb0ES3_S5_N6thrust23THRUST_200600_302600_NS17counting_iteratorIxNS8_11use_defaultESA_SA_EEPlZNS1_13binary_searchIS3_S5_PxSB_SC_NS1_21lower_bound_search_opENS8_6detail16wrapped_functionI11custom_lessbEEEE10hipError_tPvRmT1_T2_T3_mmT4_T5_P12ihipStream_tbEUlRKxE_EESK_SO_SP_mSQ_ST_bEUlT_E_NS1_11comp_targetILNS1_3genE10ELNS1_11target_archE1201ELNS1_3gpuE5ELNS1_3repE0EEENS1_30default_config_static_selectorELNS0_4arch9wavefront6targetE0EEEvSN_
                                        ; -- End function
	.section	.AMDGPU.csdata,"",@progbits
; Kernel info:
; codeLenInByte = 0
; NumSgprs: 0
; NumVgprs: 0
; ScratchSize: 0
; MemoryBound: 0
; FloatMode: 240
; IeeeMode: 1
; LDSByteSize: 0 bytes/workgroup (compile time only)
; SGPRBlocks: 0
; VGPRBlocks: 0
; NumSGPRsForWavesPerEU: 1
; NumVGPRsForWavesPerEU: 1
; Occupancy: 16
; WaveLimiterHint : 0
; COMPUTE_PGM_RSRC2:SCRATCH_EN: 0
; COMPUTE_PGM_RSRC2:USER_SGPR: 15
; COMPUTE_PGM_RSRC2:TRAP_HANDLER: 0
; COMPUTE_PGM_RSRC2:TGID_X_EN: 1
; COMPUTE_PGM_RSRC2:TGID_Y_EN: 0
; COMPUTE_PGM_RSRC2:TGID_Z_EN: 0
; COMPUTE_PGM_RSRC2:TIDIG_COMP_CNT: 0
	.section	.text._ZN7rocprim17ROCPRIM_400000_NS6detail17trampoline_kernelINS0_14default_configENS1_27lower_bound_config_selectorIxlEEZNS1_14transform_implILb0ES3_S5_N6thrust23THRUST_200600_302600_NS17counting_iteratorIxNS8_11use_defaultESA_SA_EEPlZNS1_13binary_searchIS3_S5_PxSB_SC_NS1_21lower_bound_search_opENS8_6detail16wrapped_functionI11custom_lessbEEEE10hipError_tPvRmT1_T2_T3_mmT4_T5_P12ihipStream_tbEUlRKxE_EESK_SO_SP_mSQ_ST_bEUlT_E_NS1_11comp_targetILNS1_3genE10ELNS1_11target_archE1200ELNS1_3gpuE4ELNS1_3repE0EEENS1_30default_config_static_selectorELNS0_4arch9wavefront6targetE0EEEvSN_,"axG",@progbits,_ZN7rocprim17ROCPRIM_400000_NS6detail17trampoline_kernelINS0_14default_configENS1_27lower_bound_config_selectorIxlEEZNS1_14transform_implILb0ES3_S5_N6thrust23THRUST_200600_302600_NS17counting_iteratorIxNS8_11use_defaultESA_SA_EEPlZNS1_13binary_searchIS3_S5_PxSB_SC_NS1_21lower_bound_search_opENS8_6detail16wrapped_functionI11custom_lessbEEEE10hipError_tPvRmT1_T2_T3_mmT4_T5_P12ihipStream_tbEUlRKxE_EESK_SO_SP_mSQ_ST_bEUlT_E_NS1_11comp_targetILNS1_3genE10ELNS1_11target_archE1200ELNS1_3gpuE4ELNS1_3repE0EEENS1_30default_config_static_selectorELNS0_4arch9wavefront6targetE0EEEvSN_,comdat
	.protected	_ZN7rocprim17ROCPRIM_400000_NS6detail17trampoline_kernelINS0_14default_configENS1_27lower_bound_config_selectorIxlEEZNS1_14transform_implILb0ES3_S5_N6thrust23THRUST_200600_302600_NS17counting_iteratorIxNS8_11use_defaultESA_SA_EEPlZNS1_13binary_searchIS3_S5_PxSB_SC_NS1_21lower_bound_search_opENS8_6detail16wrapped_functionI11custom_lessbEEEE10hipError_tPvRmT1_T2_T3_mmT4_T5_P12ihipStream_tbEUlRKxE_EESK_SO_SP_mSQ_ST_bEUlT_E_NS1_11comp_targetILNS1_3genE10ELNS1_11target_archE1200ELNS1_3gpuE4ELNS1_3repE0EEENS1_30default_config_static_selectorELNS0_4arch9wavefront6targetE0EEEvSN_ ; -- Begin function _ZN7rocprim17ROCPRIM_400000_NS6detail17trampoline_kernelINS0_14default_configENS1_27lower_bound_config_selectorIxlEEZNS1_14transform_implILb0ES3_S5_N6thrust23THRUST_200600_302600_NS17counting_iteratorIxNS8_11use_defaultESA_SA_EEPlZNS1_13binary_searchIS3_S5_PxSB_SC_NS1_21lower_bound_search_opENS8_6detail16wrapped_functionI11custom_lessbEEEE10hipError_tPvRmT1_T2_T3_mmT4_T5_P12ihipStream_tbEUlRKxE_EESK_SO_SP_mSQ_ST_bEUlT_E_NS1_11comp_targetILNS1_3genE10ELNS1_11target_archE1200ELNS1_3gpuE4ELNS1_3repE0EEENS1_30default_config_static_selectorELNS0_4arch9wavefront6targetE0EEEvSN_
	.globl	_ZN7rocprim17ROCPRIM_400000_NS6detail17trampoline_kernelINS0_14default_configENS1_27lower_bound_config_selectorIxlEEZNS1_14transform_implILb0ES3_S5_N6thrust23THRUST_200600_302600_NS17counting_iteratorIxNS8_11use_defaultESA_SA_EEPlZNS1_13binary_searchIS3_S5_PxSB_SC_NS1_21lower_bound_search_opENS8_6detail16wrapped_functionI11custom_lessbEEEE10hipError_tPvRmT1_T2_T3_mmT4_T5_P12ihipStream_tbEUlRKxE_EESK_SO_SP_mSQ_ST_bEUlT_E_NS1_11comp_targetILNS1_3genE10ELNS1_11target_archE1200ELNS1_3gpuE4ELNS1_3repE0EEENS1_30default_config_static_selectorELNS0_4arch9wavefront6targetE0EEEvSN_
	.p2align	8
	.type	_ZN7rocprim17ROCPRIM_400000_NS6detail17trampoline_kernelINS0_14default_configENS1_27lower_bound_config_selectorIxlEEZNS1_14transform_implILb0ES3_S5_N6thrust23THRUST_200600_302600_NS17counting_iteratorIxNS8_11use_defaultESA_SA_EEPlZNS1_13binary_searchIS3_S5_PxSB_SC_NS1_21lower_bound_search_opENS8_6detail16wrapped_functionI11custom_lessbEEEE10hipError_tPvRmT1_T2_T3_mmT4_T5_P12ihipStream_tbEUlRKxE_EESK_SO_SP_mSQ_ST_bEUlT_E_NS1_11comp_targetILNS1_3genE10ELNS1_11target_archE1200ELNS1_3gpuE4ELNS1_3repE0EEENS1_30default_config_static_selectorELNS0_4arch9wavefront6targetE0EEEvSN_,@function
_ZN7rocprim17ROCPRIM_400000_NS6detail17trampoline_kernelINS0_14default_configENS1_27lower_bound_config_selectorIxlEEZNS1_14transform_implILb0ES3_S5_N6thrust23THRUST_200600_302600_NS17counting_iteratorIxNS8_11use_defaultESA_SA_EEPlZNS1_13binary_searchIS3_S5_PxSB_SC_NS1_21lower_bound_search_opENS8_6detail16wrapped_functionI11custom_lessbEEEE10hipError_tPvRmT1_T2_T3_mmT4_T5_P12ihipStream_tbEUlRKxE_EESK_SO_SP_mSQ_ST_bEUlT_E_NS1_11comp_targetILNS1_3genE10ELNS1_11target_archE1200ELNS1_3gpuE4ELNS1_3repE0EEENS1_30default_config_static_selectorELNS0_4arch9wavefront6targetE0EEEvSN_: ; @_ZN7rocprim17ROCPRIM_400000_NS6detail17trampoline_kernelINS0_14default_configENS1_27lower_bound_config_selectorIxlEEZNS1_14transform_implILb0ES3_S5_N6thrust23THRUST_200600_302600_NS17counting_iteratorIxNS8_11use_defaultESA_SA_EEPlZNS1_13binary_searchIS3_S5_PxSB_SC_NS1_21lower_bound_search_opENS8_6detail16wrapped_functionI11custom_lessbEEEE10hipError_tPvRmT1_T2_T3_mmT4_T5_P12ihipStream_tbEUlRKxE_EESK_SO_SP_mSQ_ST_bEUlT_E_NS1_11comp_targetILNS1_3genE10ELNS1_11target_archE1200ELNS1_3gpuE4ELNS1_3repE0EEENS1_30default_config_static_selectorELNS0_4arch9wavefront6targetE0EEEvSN_
; %bb.0:
	.section	.rodata,"a",@progbits
	.p2align	6, 0x0
	.amdhsa_kernel _ZN7rocprim17ROCPRIM_400000_NS6detail17trampoline_kernelINS0_14default_configENS1_27lower_bound_config_selectorIxlEEZNS1_14transform_implILb0ES3_S5_N6thrust23THRUST_200600_302600_NS17counting_iteratorIxNS8_11use_defaultESA_SA_EEPlZNS1_13binary_searchIS3_S5_PxSB_SC_NS1_21lower_bound_search_opENS8_6detail16wrapped_functionI11custom_lessbEEEE10hipError_tPvRmT1_T2_T3_mmT4_T5_P12ihipStream_tbEUlRKxE_EESK_SO_SP_mSQ_ST_bEUlT_E_NS1_11comp_targetILNS1_3genE10ELNS1_11target_archE1200ELNS1_3gpuE4ELNS1_3repE0EEENS1_30default_config_static_selectorELNS0_4arch9wavefront6targetE0EEEvSN_
		.amdhsa_group_segment_fixed_size 0
		.amdhsa_private_segment_fixed_size 0
		.amdhsa_kernarg_size 56
		.amdhsa_user_sgpr_count 15
		.amdhsa_user_sgpr_dispatch_ptr 0
		.amdhsa_user_sgpr_queue_ptr 0
		.amdhsa_user_sgpr_kernarg_segment_ptr 1
		.amdhsa_user_sgpr_dispatch_id 0
		.amdhsa_user_sgpr_private_segment_size 0
		.amdhsa_wavefront_size32 1
		.amdhsa_uses_dynamic_stack 0
		.amdhsa_enable_private_segment 0
		.amdhsa_system_sgpr_workgroup_id_x 1
		.amdhsa_system_sgpr_workgroup_id_y 0
		.amdhsa_system_sgpr_workgroup_id_z 0
		.amdhsa_system_sgpr_workgroup_info 0
		.amdhsa_system_vgpr_workitem_id 0
		.amdhsa_next_free_vgpr 1
		.amdhsa_next_free_sgpr 1
		.amdhsa_reserve_vcc 0
		.amdhsa_float_round_mode_32 0
		.amdhsa_float_round_mode_16_64 0
		.amdhsa_float_denorm_mode_32 3
		.amdhsa_float_denorm_mode_16_64 3
		.amdhsa_dx10_clamp 1
		.amdhsa_ieee_mode 1
		.amdhsa_fp16_overflow 0
		.amdhsa_workgroup_processor_mode 1
		.amdhsa_memory_ordered 1
		.amdhsa_forward_progress 0
		.amdhsa_shared_vgpr_count 0
		.amdhsa_exception_fp_ieee_invalid_op 0
		.amdhsa_exception_fp_denorm_src 0
		.amdhsa_exception_fp_ieee_div_zero 0
		.amdhsa_exception_fp_ieee_overflow 0
		.amdhsa_exception_fp_ieee_underflow 0
		.amdhsa_exception_fp_ieee_inexact 0
		.amdhsa_exception_int_div_zero 0
	.end_amdhsa_kernel
	.section	.text._ZN7rocprim17ROCPRIM_400000_NS6detail17trampoline_kernelINS0_14default_configENS1_27lower_bound_config_selectorIxlEEZNS1_14transform_implILb0ES3_S5_N6thrust23THRUST_200600_302600_NS17counting_iteratorIxNS8_11use_defaultESA_SA_EEPlZNS1_13binary_searchIS3_S5_PxSB_SC_NS1_21lower_bound_search_opENS8_6detail16wrapped_functionI11custom_lessbEEEE10hipError_tPvRmT1_T2_T3_mmT4_T5_P12ihipStream_tbEUlRKxE_EESK_SO_SP_mSQ_ST_bEUlT_E_NS1_11comp_targetILNS1_3genE10ELNS1_11target_archE1200ELNS1_3gpuE4ELNS1_3repE0EEENS1_30default_config_static_selectorELNS0_4arch9wavefront6targetE0EEEvSN_,"axG",@progbits,_ZN7rocprim17ROCPRIM_400000_NS6detail17trampoline_kernelINS0_14default_configENS1_27lower_bound_config_selectorIxlEEZNS1_14transform_implILb0ES3_S5_N6thrust23THRUST_200600_302600_NS17counting_iteratorIxNS8_11use_defaultESA_SA_EEPlZNS1_13binary_searchIS3_S5_PxSB_SC_NS1_21lower_bound_search_opENS8_6detail16wrapped_functionI11custom_lessbEEEE10hipError_tPvRmT1_T2_T3_mmT4_T5_P12ihipStream_tbEUlRKxE_EESK_SO_SP_mSQ_ST_bEUlT_E_NS1_11comp_targetILNS1_3genE10ELNS1_11target_archE1200ELNS1_3gpuE4ELNS1_3repE0EEENS1_30default_config_static_selectorELNS0_4arch9wavefront6targetE0EEEvSN_,comdat
.Lfunc_end64:
	.size	_ZN7rocprim17ROCPRIM_400000_NS6detail17trampoline_kernelINS0_14default_configENS1_27lower_bound_config_selectorIxlEEZNS1_14transform_implILb0ES3_S5_N6thrust23THRUST_200600_302600_NS17counting_iteratorIxNS8_11use_defaultESA_SA_EEPlZNS1_13binary_searchIS3_S5_PxSB_SC_NS1_21lower_bound_search_opENS8_6detail16wrapped_functionI11custom_lessbEEEE10hipError_tPvRmT1_T2_T3_mmT4_T5_P12ihipStream_tbEUlRKxE_EESK_SO_SP_mSQ_ST_bEUlT_E_NS1_11comp_targetILNS1_3genE10ELNS1_11target_archE1200ELNS1_3gpuE4ELNS1_3repE0EEENS1_30default_config_static_selectorELNS0_4arch9wavefront6targetE0EEEvSN_, .Lfunc_end64-_ZN7rocprim17ROCPRIM_400000_NS6detail17trampoline_kernelINS0_14default_configENS1_27lower_bound_config_selectorIxlEEZNS1_14transform_implILb0ES3_S5_N6thrust23THRUST_200600_302600_NS17counting_iteratorIxNS8_11use_defaultESA_SA_EEPlZNS1_13binary_searchIS3_S5_PxSB_SC_NS1_21lower_bound_search_opENS8_6detail16wrapped_functionI11custom_lessbEEEE10hipError_tPvRmT1_T2_T3_mmT4_T5_P12ihipStream_tbEUlRKxE_EESK_SO_SP_mSQ_ST_bEUlT_E_NS1_11comp_targetILNS1_3genE10ELNS1_11target_archE1200ELNS1_3gpuE4ELNS1_3repE0EEENS1_30default_config_static_selectorELNS0_4arch9wavefront6targetE0EEEvSN_
                                        ; -- End function
	.section	.AMDGPU.csdata,"",@progbits
; Kernel info:
; codeLenInByte = 0
; NumSgprs: 0
; NumVgprs: 0
; ScratchSize: 0
; MemoryBound: 0
; FloatMode: 240
; IeeeMode: 1
; LDSByteSize: 0 bytes/workgroup (compile time only)
; SGPRBlocks: 0
; VGPRBlocks: 0
; NumSGPRsForWavesPerEU: 1
; NumVGPRsForWavesPerEU: 1
; Occupancy: 16
; WaveLimiterHint : 0
; COMPUTE_PGM_RSRC2:SCRATCH_EN: 0
; COMPUTE_PGM_RSRC2:USER_SGPR: 15
; COMPUTE_PGM_RSRC2:TRAP_HANDLER: 0
; COMPUTE_PGM_RSRC2:TGID_X_EN: 1
; COMPUTE_PGM_RSRC2:TGID_Y_EN: 0
; COMPUTE_PGM_RSRC2:TGID_Z_EN: 0
; COMPUTE_PGM_RSRC2:TIDIG_COMP_CNT: 0
	.section	.text._ZN7rocprim17ROCPRIM_400000_NS6detail17trampoline_kernelINS0_14default_configENS1_27lower_bound_config_selectorIxlEEZNS1_14transform_implILb0ES3_S5_N6thrust23THRUST_200600_302600_NS17counting_iteratorIxNS8_11use_defaultESA_SA_EEPlZNS1_13binary_searchIS3_S5_PxSB_SC_NS1_21lower_bound_search_opENS8_6detail16wrapped_functionI11custom_lessbEEEE10hipError_tPvRmT1_T2_T3_mmT4_T5_P12ihipStream_tbEUlRKxE_EESK_SO_SP_mSQ_ST_bEUlT_E_NS1_11comp_targetILNS1_3genE9ELNS1_11target_archE1100ELNS1_3gpuE3ELNS1_3repE0EEENS1_30default_config_static_selectorELNS0_4arch9wavefront6targetE0EEEvSN_,"axG",@progbits,_ZN7rocprim17ROCPRIM_400000_NS6detail17trampoline_kernelINS0_14default_configENS1_27lower_bound_config_selectorIxlEEZNS1_14transform_implILb0ES3_S5_N6thrust23THRUST_200600_302600_NS17counting_iteratorIxNS8_11use_defaultESA_SA_EEPlZNS1_13binary_searchIS3_S5_PxSB_SC_NS1_21lower_bound_search_opENS8_6detail16wrapped_functionI11custom_lessbEEEE10hipError_tPvRmT1_T2_T3_mmT4_T5_P12ihipStream_tbEUlRKxE_EESK_SO_SP_mSQ_ST_bEUlT_E_NS1_11comp_targetILNS1_3genE9ELNS1_11target_archE1100ELNS1_3gpuE3ELNS1_3repE0EEENS1_30default_config_static_selectorELNS0_4arch9wavefront6targetE0EEEvSN_,comdat
	.protected	_ZN7rocprim17ROCPRIM_400000_NS6detail17trampoline_kernelINS0_14default_configENS1_27lower_bound_config_selectorIxlEEZNS1_14transform_implILb0ES3_S5_N6thrust23THRUST_200600_302600_NS17counting_iteratorIxNS8_11use_defaultESA_SA_EEPlZNS1_13binary_searchIS3_S5_PxSB_SC_NS1_21lower_bound_search_opENS8_6detail16wrapped_functionI11custom_lessbEEEE10hipError_tPvRmT1_T2_T3_mmT4_T5_P12ihipStream_tbEUlRKxE_EESK_SO_SP_mSQ_ST_bEUlT_E_NS1_11comp_targetILNS1_3genE9ELNS1_11target_archE1100ELNS1_3gpuE3ELNS1_3repE0EEENS1_30default_config_static_selectorELNS0_4arch9wavefront6targetE0EEEvSN_ ; -- Begin function _ZN7rocprim17ROCPRIM_400000_NS6detail17trampoline_kernelINS0_14default_configENS1_27lower_bound_config_selectorIxlEEZNS1_14transform_implILb0ES3_S5_N6thrust23THRUST_200600_302600_NS17counting_iteratorIxNS8_11use_defaultESA_SA_EEPlZNS1_13binary_searchIS3_S5_PxSB_SC_NS1_21lower_bound_search_opENS8_6detail16wrapped_functionI11custom_lessbEEEE10hipError_tPvRmT1_T2_T3_mmT4_T5_P12ihipStream_tbEUlRKxE_EESK_SO_SP_mSQ_ST_bEUlT_E_NS1_11comp_targetILNS1_3genE9ELNS1_11target_archE1100ELNS1_3gpuE3ELNS1_3repE0EEENS1_30default_config_static_selectorELNS0_4arch9wavefront6targetE0EEEvSN_
	.globl	_ZN7rocprim17ROCPRIM_400000_NS6detail17trampoline_kernelINS0_14default_configENS1_27lower_bound_config_selectorIxlEEZNS1_14transform_implILb0ES3_S5_N6thrust23THRUST_200600_302600_NS17counting_iteratorIxNS8_11use_defaultESA_SA_EEPlZNS1_13binary_searchIS3_S5_PxSB_SC_NS1_21lower_bound_search_opENS8_6detail16wrapped_functionI11custom_lessbEEEE10hipError_tPvRmT1_T2_T3_mmT4_T5_P12ihipStream_tbEUlRKxE_EESK_SO_SP_mSQ_ST_bEUlT_E_NS1_11comp_targetILNS1_3genE9ELNS1_11target_archE1100ELNS1_3gpuE3ELNS1_3repE0EEENS1_30default_config_static_selectorELNS0_4arch9wavefront6targetE0EEEvSN_
	.p2align	8
	.type	_ZN7rocprim17ROCPRIM_400000_NS6detail17trampoline_kernelINS0_14default_configENS1_27lower_bound_config_selectorIxlEEZNS1_14transform_implILb0ES3_S5_N6thrust23THRUST_200600_302600_NS17counting_iteratorIxNS8_11use_defaultESA_SA_EEPlZNS1_13binary_searchIS3_S5_PxSB_SC_NS1_21lower_bound_search_opENS8_6detail16wrapped_functionI11custom_lessbEEEE10hipError_tPvRmT1_T2_T3_mmT4_T5_P12ihipStream_tbEUlRKxE_EESK_SO_SP_mSQ_ST_bEUlT_E_NS1_11comp_targetILNS1_3genE9ELNS1_11target_archE1100ELNS1_3gpuE3ELNS1_3repE0EEENS1_30default_config_static_selectorELNS0_4arch9wavefront6targetE0EEEvSN_,@function
_ZN7rocprim17ROCPRIM_400000_NS6detail17trampoline_kernelINS0_14default_configENS1_27lower_bound_config_selectorIxlEEZNS1_14transform_implILb0ES3_S5_N6thrust23THRUST_200600_302600_NS17counting_iteratorIxNS8_11use_defaultESA_SA_EEPlZNS1_13binary_searchIS3_S5_PxSB_SC_NS1_21lower_bound_search_opENS8_6detail16wrapped_functionI11custom_lessbEEEE10hipError_tPvRmT1_T2_T3_mmT4_T5_P12ihipStream_tbEUlRKxE_EESK_SO_SP_mSQ_ST_bEUlT_E_NS1_11comp_targetILNS1_3genE9ELNS1_11target_archE1100ELNS1_3gpuE3ELNS1_3repE0EEENS1_30default_config_static_selectorELNS0_4arch9wavefront6targetE0EEEvSN_: ; @_ZN7rocprim17ROCPRIM_400000_NS6detail17trampoline_kernelINS0_14default_configENS1_27lower_bound_config_selectorIxlEEZNS1_14transform_implILb0ES3_S5_N6thrust23THRUST_200600_302600_NS17counting_iteratorIxNS8_11use_defaultESA_SA_EEPlZNS1_13binary_searchIS3_S5_PxSB_SC_NS1_21lower_bound_search_opENS8_6detail16wrapped_functionI11custom_lessbEEEE10hipError_tPvRmT1_T2_T3_mmT4_T5_P12ihipStream_tbEUlRKxE_EESK_SO_SP_mSQ_ST_bEUlT_E_NS1_11comp_targetILNS1_3genE9ELNS1_11target_archE1100ELNS1_3gpuE3ELNS1_3repE0EEENS1_30default_config_static_selectorELNS0_4arch9wavefront6targetE0EEEvSN_
; %bb.0:
	s_clause 0x3
	s_load_b128 s[8:11], s[0:1], 0x0
	s_load_b32 s2, s[0:1], 0x38
	s_load_b64 s[12:13], s[0:1], 0x28
	s_load_b128 s[4:7], s[0:1], 0x18
	s_waitcnt lgkmcnt(0)
	s_add_u32 s3, s10, s8
	s_addc_u32 s14, s11, s9
	s_add_i32 s2, s2, -1
	s_lshl_b32 s8, s15, 8
	s_mov_b32 s9, 0
	s_cmp_lg_u32 s15, s2
	s_mov_b32 s15, -1
	s_cbranch_scc0 .LBB65_6
; %bb.1:
	v_dual_mov_b32 v2, 0 :: v_dual_mov_b32 v1, 0
	v_mov_b32_e32 v3, 0
	s_cmp_eq_u64 s[12:13], 0
	s_cbranch_scc1 .LBB65_5
; %bb.2:
	s_add_u32 s2, s3, s8
	s_addc_u32 s15, s14, 0
	v_add_co_u32 v4, s2, s2, v0
	v_mov_b32_e32 v2, 0
	v_dual_mov_b32 v3, 0 :: v_dual_mov_b32 v6, s12
	v_add_co_ci_u32_e64 v5, null, s15, 0, s2
	v_mov_b32_e32 v7, s13
	s_mov_b32 s15, 0
	s_set_inst_prefetch_distance 0x1
	.p2align	6
.LBB65_3:                               ; =>This Inner Loop Header: Depth=1
	v_sub_co_u32 v8, vcc_lo, v6, v2
	s_delay_alu instid0(VALU_DEP_2) | instskip(NEXT) | instid1(VALU_DEP_1)
	v_sub_co_ci_u32_e32 v9, vcc_lo, v7, v3, vcc_lo
	v_lshrrev_b64 v[10:11], 1, v[8:9]
	v_lshrrev_b64 v[8:9], 6, v[8:9]
	s_delay_alu instid0(VALU_DEP_2) | instskip(NEXT) | instid1(VALU_DEP_3)
	v_add_co_u32 v10, vcc_lo, v10, v2
	v_add_co_ci_u32_e32 v11, vcc_lo, v11, v3, vcc_lo
	s_delay_alu instid0(VALU_DEP_2) | instskip(NEXT) | instid1(VALU_DEP_2)
	v_add_co_u32 v8, vcc_lo, v10, v8
	v_add_co_ci_u32_e32 v9, vcc_lo, v11, v9, vcc_lo
	s_delay_alu instid0(VALU_DEP_1) | instskip(NEXT) | instid1(VALU_DEP_1)
	v_lshlrev_b64 v[10:11], 3, v[8:9]
	v_add_co_u32 v10, vcc_lo, s6, v10
	s_delay_alu instid0(VALU_DEP_2)
	v_add_co_ci_u32_e32 v11, vcc_lo, s7, v11, vcc_lo
	v_add_co_u32 v12, vcc_lo, v8, 1
	global_load_b64 v[10:11], v[10:11], off
	s_waitcnt vmcnt(0)
	v_cmp_lt_i64_e64 s2, v[10:11], v[4:5]
	v_add_co_ci_u32_e32 v10, vcc_lo, 0, v9, vcc_lo
	s_delay_alu instid0(VALU_DEP_2) | instskip(SKIP_1) | instid1(VALU_DEP_3)
	v_cndmask_b32_e64 v7, v9, v7, s2
	v_cndmask_b32_e64 v6, v8, v6, s2
	v_cndmask_b32_e64 v3, v3, v10, s2
	v_cndmask_b32_e64 v2, v2, v12, s2
	s_delay_alu instid0(VALU_DEP_1) | instskip(SKIP_1) | instid1(SALU_CYCLE_1)
	v_cmp_ge_u64_e32 vcc_lo, v[2:3], v[6:7]
	s_or_b32 s15, vcc_lo, s15
	s_and_not1_b32 exec_lo, exec_lo, s15
	s_cbranch_execnz .LBB65_3
; %bb.4:
	s_set_inst_prefetch_distance 0x2
	s_or_b32 exec_lo, exec_lo, s15
.LBB65_5:
	s_mov_b32 s2, -1
	s_cbranch_execz .LBB65_7
	s_branch .LBB65_13
.LBB65_6:
	s_mov_b32 s2, s9
                                        ; implicit-def: $vgpr2_vgpr3
	s_and_not1_b32 vcc_lo, exec_lo, s15
	s_cbranch_vccnz .LBB65_13
.LBB65_7:
	s_load_b32 s0, s[0:1], 0x10
	v_mov_b32_e32 v1, 0
                                        ; implicit-def: $vgpr2_vgpr3
	s_waitcnt lgkmcnt(0)
	s_sub_i32 s0, s0, s8
	s_delay_alu instid0(SALU_CYCLE_1) | instskip(NEXT) | instid1(VALU_DEP_1)
	v_cmp_gt_u32_e64 s2, s0, v0
	s_and_saveexec_b32 s1, s2
	s_cbranch_execz .LBB65_12
; %bb.8:
	v_mov_b32_e32 v2, 0
	v_mov_b32_e32 v3, 0
	s_cmp_eq_u64 s[12:13], 0
	s_cbranch_scc1 .LBB65_12
; %bb.9:
	s_add_u32 s0, s3, s8
	s_addc_u32 s3, s14, 0
	v_add_co_u32 v4, s0, s0, v0
	v_mov_b32_e32 v2, 0
	v_dual_mov_b32 v3, 0 :: v_dual_mov_b32 v6, s12
	v_add_co_ci_u32_e64 v5, null, s3, 0, s0
	v_mov_b32_e32 v7, s13
	s_mov_b32 s3, 0
	s_set_inst_prefetch_distance 0x1
	.p2align	6
.LBB65_10:                              ; =>This Inner Loop Header: Depth=1
	v_sub_co_u32 v8, vcc_lo, v6, v2
	s_delay_alu instid0(VALU_DEP_2) | instskip(NEXT) | instid1(VALU_DEP_1)
	v_sub_co_ci_u32_e32 v9, vcc_lo, v7, v3, vcc_lo
	v_lshrrev_b64 v[10:11], 1, v[8:9]
	v_lshrrev_b64 v[8:9], 6, v[8:9]
	s_delay_alu instid0(VALU_DEP_2) | instskip(NEXT) | instid1(VALU_DEP_3)
	v_add_co_u32 v10, vcc_lo, v10, v2
	v_add_co_ci_u32_e32 v11, vcc_lo, v11, v3, vcc_lo
	s_delay_alu instid0(VALU_DEP_2) | instskip(NEXT) | instid1(VALU_DEP_2)
	v_add_co_u32 v8, vcc_lo, v10, v8
	v_add_co_ci_u32_e32 v9, vcc_lo, v11, v9, vcc_lo
	s_delay_alu instid0(VALU_DEP_1) | instskip(NEXT) | instid1(VALU_DEP_1)
	v_lshlrev_b64 v[10:11], 3, v[8:9]
	v_add_co_u32 v10, vcc_lo, s6, v10
	s_delay_alu instid0(VALU_DEP_2)
	v_add_co_ci_u32_e32 v11, vcc_lo, s7, v11, vcc_lo
	v_add_co_u32 v12, vcc_lo, v8, 1
	global_load_b64 v[10:11], v[10:11], off
	s_waitcnt vmcnt(0)
	v_cmp_lt_i64_e64 s0, v[10:11], v[4:5]
	v_add_co_ci_u32_e32 v10, vcc_lo, 0, v9, vcc_lo
	s_delay_alu instid0(VALU_DEP_2) | instskip(SKIP_1) | instid1(VALU_DEP_3)
	v_cndmask_b32_e64 v7, v9, v7, s0
	v_cndmask_b32_e64 v6, v8, v6, s0
	;; [unrolled: 1-line block ×4, first 2 shown]
	s_delay_alu instid0(VALU_DEP_1) | instskip(SKIP_1) | instid1(SALU_CYCLE_1)
	v_cmp_ge_u64_e32 vcc_lo, v[2:3], v[6:7]
	s_or_b32 s3, vcc_lo, s3
	s_and_not1_b32 exec_lo, exec_lo, s3
	s_cbranch_execnz .LBB65_10
; %bb.11:
	s_set_inst_prefetch_distance 0x2
	s_or_b32 exec_lo, exec_lo, s3
.LBB65_12:
	s_delay_alu instid0(SALU_CYCLE_1)
	s_or_b32 exec_lo, exec_lo, s1
.LBB65_13:
	s_and_saveexec_b32 s0, s2
	s_cbranch_execnz .LBB65_15
; %bb.14:
	s_endpgm
.LBB65_15:
	s_lshl_b64 s[0:1], s[10:11], 3
	v_lshlrev_b64 v[0:1], 3, v[0:1]
	s_add_u32 s2, s4, s0
	s_addc_u32 s3, s5, s1
	s_lshl_b64 s[0:1], s[8:9], 3
	s_delay_alu instid0(SALU_CYCLE_1)
	s_add_u32 s0, s2, s0
	s_addc_u32 s1, s3, s1
	v_add_co_u32 v0, vcc_lo, s0, v0
	v_add_co_ci_u32_e32 v1, vcc_lo, s1, v1, vcc_lo
	global_store_b64 v[0:1], v[2:3], off
	s_nop 0
	s_sendmsg sendmsg(MSG_DEALLOC_VGPRS)
	s_endpgm
	.section	.rodata,"a",@progbits
	.p2align	6, 0x0
	.amdhsa_kernel _ZN7rocprim17ROCPRIM_400000_NS6detail17trampoline_kernelINS0_14default_configENS1_27lower_bound_config_selectorIxlEEZNS1_14transform_implILb0ES3_S5_N6thrust23THRUST_200600_302600_NS17counting_iteratorIxNS8_11use_defaultESA_SA_EEPlZNS1_13binary_searchIS3_S5_PxSB_SC_NS1_21lower_bound_search_opENS8_6detail16wrapped_functionI11custom_lessbEEEE10hipError_tPvRmT1_T2_T3_mmT4_T5_P12ihipStream_tbEUlRKxE_EESK_SO_SP_mSQ_ST_bEUlT_E_NS1_11comp_targetILNS1_3genE9ELNS1_11target_archE1100ELNS1_3gpuE3ELNS1_3repE0EEENS1_30default_config_static_selectorELNS0_4arch9wavefront6targetE0EEEvSN_
		.amdhsa_group_segment_fixed_size 0
		.amdhsa_private_segment_fixed_size 0
		.amdhsa_kernarg_size 312
		.amdhsa_user_sgpr_count 15
		.amdhsa_user_sgpr_dispatch_ptr 0
		.amdhsa_user_sgpr_queue_ptr 0
		.amdhsa_user_sgpr_kernarg_segment_ptr 1
		.amdhsa_user_sgpr_dispatch_id 0
		.amdhsa_user_sgpr_private_segment_size 0
		.amdhsa_wavefront_size32 1
		.amdhsa_uses_dynamic_stack 0
		.amdhsa_enable_private_segment 0
		.amdhsa_system_sgpr_workgroup_id_x 1
		.amdhsa_system_sgpr_workgroup_id_y 0
		.amdhsa_system_sgpr_workgroup_id_z 0
		.amdhsa_system_sgpr_workgroup_info 0
		.amdhsa_system_vgpr_workitem_id 0
		.amdhsa_next_free_vgpr 13
		.amdhsa_next_free_sgpr 16
		.amdhsa_reserve_vcc 1
		.amdhsa_float_round_mode_32 0
		.amdhsa_float_round_mode_16_64 0
		.amdhsa_float_denorm_mode_32 3
		.amdhsa_float_denorm_mode_16_64 3
		.amdhsa_dx10_clamp 1
		.amdhsa_ieee_mode 1
		.amdhsa_fp16_overflow 0
		.amdhsa_workgroup_processor_mode 1
		.amdhsa_memory_ordered 1
		.amdhsa_forward_progress 0
		.amdhsa_shared_vgpr_count 0
		.amdhsa_exception_fp_ieee_invalid_op 0
		.amdhsa_exception_fp_denorm_src 0
		.amdhsa_exception_fp_ieee_div_zero 0
		.amdhsa_exception_fp_ieee_overflow 0
		.amdhsa_exception_fp_ieee_underflow 0
		.amdhsa_exception_fp_ieee_inexact 0
		.amdhsa_exception_int_div_zero 0
	.end_amdhsa_kernel
	.section	.text._ZN7rocprim17ROCPRIM_400000_NS6detail17trampoline_kernelINS0_14default_configENS1_27lower_bound_config_selectorIxlEEZNS1_14transform_implILb0ES3_S5_N6thrust23THRUST_200600_302600_NS17counting_iteratorIxNS8_11use_defaultESA_SA_EEPlZNS1_13binary_searchIS3_S5_PxSB_SC_NS1_21lower_bound_search_opENS8_6detail16wrapped_functionI11custom_lessbEEEE10hipError_tPvRmT1_T2_T3_mmT4_T5_P12ihipStream_tbEUlRKxE_EESK_SO_SP_mSQ_ST_bEUlT_E_NS1_11comp_targetILNS1_3genE9ELNS1_11target_archE1100ELNS1_3gpuE3ELNS1_3repE0EEENS1_30default_config_static_selectorELNS0_4arch9wavefront6targetE0EEEvSN_,"axG",@progbits,_ZN7rocprim17ROCPRIM_400000_NS6detail17trampoline_kernelINS0_14default_configENS1_27lower_bound_config_selectorIxlEEZNS1_14transform_implILb0ES3_S5_N6thrust23THRUST_200600_302600_NS17counting_iteratorIxNS8_11use_defaultESA_SA_EEPlZNS1_13binary_searchIS3_S5_PxSB_SC_NS1_21lower_bound_search_opENS8_6detail16wrapped_functionI11custom_lessbEEEE10hipError_tPvRmT1_T2_T3_mmT4_T5_P12ihipStream_tbEUlRKxE_EESK_SO_SP_mSQ_ST_bEUlT_E_NS1_11comp_targetILNS1_3genE9ELNS1_11target_archE1100ELNS1_3gpuE3ELNS1_3repE0EEENS1_30default_config_static_selectorELNS0_4arch9wavefront6targetE0EEEvSN_,comdat
.Lfunc_end65:
	.size	_ZN7rocprim17ROCPRIM_400000_NS6detail17trampoline_kernelINS0_14default_configENS1_27lower_bound_config_selectorIxlEEZNS1_14transform_implILb0ES3_S5_N6thrust23THRUST_200600_302600_NS17counting_iteratorIxNS8_11use_defaultESA_SA_EEPlZNS1_13binary_searchIS3_S5_PxSB_SC_NS1_21lower_bound_search_opENS8_6detail16wrapped_functionI11custom_lessbEEEE10hipError_tPvRmT1_T2_T3_mmT4_T5_P12ihipStream_tbEUlRKxE_EESK_SO_SP_mSQ_ST_bEUlT_E_NS1_11comp_targetILNS1_3genE9ELNS1_11target_archE1100ELNS1_3gpuE3ELNS1_3repE0EEENS1_30default_config_static_selectorELNS0_4arch9wavefront6targetE0EEEvSN_, .Lfunc_end65-_ZN7rocprim17ROCPRIM_400000_NS6detail17trampoline_kernelINS0_14default_configENS1_27lower_bound_config_selectorIxlEEZNS1_14transform_implILb0ES3_S5_N6thrust23THRUST_200600_302600_NS17counting_iteratorIxNS8_11use_defaultESA_SA_EEPlZNS1_13binary_searchIS3_S5_PxSB_SC_NS1_21lower_bound_search_opENS8_6detail16wrapped_functionI11custom_lessbEEEE10hipError_tPvRmT1_T2_T3_mmT4_T5_P12ihipStream_tbEUlRKxE_EESK_SO_SP_mSQ_ST_bEUlT_E_NS1_11comp_targetILNS1_3genE9ELNS1_11target_archE1100ELNS1_3gpuE3ELNS1_3repE0EEENS1_30default_config_static_selectorELNS0_4arch9wavefront6targetE0EEEvSN_
                                        ; -- End function
	.section	.AMDGPU.csdata,"",@progbits
; Kernel info:
; codeLenInByte = 732
; NumSgprs: 18
; NumVgprs: 13
; ScratchSize: 0
; MemoryBound: 0
; FloatMode: 240
; IeeeMode: 1
; LDSByteSize: 0 bytes/workgroup (compile time only)
; SGPRBlocks: 2
; VGPRBlocks: 1
; NumSGPRsForWavesPerEU: 18
; NumVGPRsForWavesPerEU: 13
; Occupancy: 16
; WaveLimiterHint : 0
; COMPUTE_PGM_RSRC2:SCRATCH_EN: 0
; COMPUTE_PGM_RSRC2:USER_SGPR: 15
; COMPUTE_PGM_RSRC2:TRAP_HANDLER: 0
; COMPUTE_PGM_RSRC2:TGID_X_EN: 1
; COMPUTE_PGM_RSRC2:TGID_Y_EN: 0
; COMPUTE_PGM_RSRC2:TGID_Z_EN: 0
; COMPUTE_PGM_RSRC2:TIDIG_COMP_CNT: 0
	.section	.text._ZN7rocprim17ROCPRIM_400000_NS6detail17trampoline_kernelINS0_14default_configENS1_27lower_bound_config_selectorIxlEEZNS1_14transform_implILb0ES3_S5_N6thrust23THRUST_200600_302600_NS17counting_iteratorIxNS8_11use_defaultESA_SA_EEPlZNS1_13binary_searchIS3_S5_PxSB_SC_NS1_21lower_bound_search_opENS8_6detail16wrapped_functionI11custom_lessbEEEE10hipError_tPvRmT1_T2_T3_mmT4_T5_P12ihipStream_tbEUlRKxE_EESK_SO_SP_mSQ_ST_bEUlT_E_NS1_11comp_targetILNS1_3genE8ELNS1_11target_archE1030ELNS1_3gpuE2ELNS1_3repE0EEENS1_30default_config_static_selectorELNS0_4arch9wavefront6targetE0EEEvSN_,"axG",@progbits,_ZN7rocprim17ROCPRIM_400000_NS6detail17trampoline_kernelINS0_14default_configENS1_27lower_bound_config_selectorIxlEEZNS1_14transform_implILb0ES3_S5_N6thrust23THRUST_200600_302600_NS17counting_iteratorIxNS8_11use_defaultESA_SA_EEPlZNS1_13binary_searchIS3_S5_PxSB_SC_NS1_21lower_bound_search_opENS8_6detail16wrapped_functionI11custom_lessbEEEE10hipError_tPvRmT1_T2_T3_mmT4_T5_P12ihipStream_tbEUlRKxE_EESK_SO_SP_mSQ_ST_bEUlT_E_NS1_11comp_targetILNS1_3genE8ELNS1_11target_archE1030ELNS1_3gpuE2ELNS1_3repE0EEENS1_30default_config_static_selectorELNS0_4arch9wavefront6targetE0EEEvSN_,comdat
	.protected	_ZN7rocprim17ROCPRIM_400000_NS6detail17trampoline_kernelINS0_14default_configENS1_27lower_bound_config_selectorIxlEEZNS1_14transform_implILb0ES3_S5_N6thrust23THRUST_200600_302600_NS17counting_iteratorIxNS8_11use_defaultESA_SA_EEPlZNS1_13binary_searchIS3_S5_PxSB_SC_NS1_21lower_bound_search_opENS8_6detail16wrapped_functionI11custom_lessbEEEE10hipError_tPvRmT1_T2_T3_mmT4_T5_P12ihipStream_tbEUlRKxE_EESK_SO_SP_mSQ_ST_bEUlT_E_NS1_11comp_targetILNS1_3genE8ELNS1_11target_archE1030ELNS1_3gpuE2ELNS1_3repE0EEENS1_30default_config_static_selectorELNS0_4arch9wavefront6targetE0EEEvSN_ ; -- Begin function _ZN7rocprim17ROCPRIM_400000_NS6detail17trampoline_kernelINS0_14default_configENS1_27lower_bound_config_selectorIxlEEZNS1_14transform_implILb0ES3_S5_N6thrust23THRUST_200600_302600_NS17counting_iteratorIxNS8_11use_defaultESA_SA_EEPlZNS1_13binary_searchIS3_S5_PxSB_SC_NS1_21lower_bound_search_opENS8_6detail16wrapped_functionI11custom_lessbEEEE10hipError_tPvRmT1_T2_T3_mmT4_T5_P12ihipStream_tbEUlRKxE_EESK_SO_SP_mSQ_ST_bEUlT_E_NS1_11comp_targetILNS1_3genE8ELNS1_11target_archE1030ELNS1_3gpuE2ELNS1_3repE0EEENS1_30default_config_static_selectorELNS0_4arch9wavefront6targetE0EEEvSN_
	.globl	_ZN7rocprim17ROCPRIM_400000_NS6detail17trampoline_kernelINS0_14default_configENS1_27lower_bound_config_selectorIxlEEZNS1_14transform_implILb0ES3_S5_N6thrust23THRUST_200600_302600_NS17counting_iteratorIxNS8_11use_defaultESA_SA_EEPlZNS1_13binary_searchIS3_S5_PxSB_SC_NS1_21lower_bound_search_opENS8_6detail16wrapped_functionI11custom_lessbEEEE10hipError_tPvRmT1_T2_T3_mmT4_T5_P12ihipStream_tbEUlRKxE_EESK_SO_SP_mSQ_ST_bEUlT_E_NS1_11comp_targetILNS1_3genE8ELNS1_11target_archE1030ELNS1_3gpuE2ELNS1_3repE0EEENS1_30default_config_static_selectorELNS0_4arch9wavefront6targetE0EEEvSN_
	.p2align	8
	.type	_ZN7rocprim17ROCPRIM_400000_NS6detail17trampoline_kernelINS0_14default_configENS1_27lower_bound_config_selectorIxlEEZNS1_14transform_implILb0ES3_S5_N6thrust23THRUST_200600_302600_NS17counting_iteratorIxNS8_11use_defaultESA_SA_EEPlZNS1_13binary_searchIS3_S5_PxSB_SC_NS1_21lower_bound_search_opENS8_6detail16wrapped_functionI11custom_lessbEEEE10hipError_tPvRmT1_T2_T3_mmT4_T5_P12ihipStream_tbEUlRKxE_EESK_SO_SP_mSQ_ST_bEUlT_E_NS1_11comp_targetILNS1_3genE8ELNS1_11target_archE1030ELNS1_3gpuE2ELNS1_3repE0EEENS1_30default_config_static_selectorELNS0_4arch9wavefront6targetE0EEEvSN_,@function
_ZN7rocprim17ROCPRIM_400000_NS6detail17trampoline_kernelINS0_14default_configENS1_27lower_bound_config_selectorIxlEEZNS1_14transform_implILb0ES3_S5_N6thrust23THRUST_200600_302600_NS17counting_iteratorIxNS8_11use_defaultESA_SA_EEPlZNS1_13binary_searchIS3_S5_PxSB_SC_NS1_21lower_bound_search_opENS8_6detail16wrapped_functionI11custom_lessbEEEE10hipError_tPvRmT1_T2_T3_mmT4_T5_P12ihipStream_tbEUlRKxE_EESK_SO_SP_mSQ_ST_bEUlT_E_NS1_11comp_targetILNS1_3genE8ELNS1_11target_archE1030ELNS1_3gpuE2ELNS1_3repE0EEENS1_30default_config_static_selectorELNS0_4arch9wavefront6targetE0EEEvSN_: ; @_ZN7rocprim17ROCPRIM_400000_NS6detail17trampoline_kernelINS0_14default_configENS1_27lower_bound_config_selectorIxlEEZNS1_14transform_implILb0ES3_S5_N6thrust23THRUST_200600_302600_NS17counting_iteratorIxNS8_11use_defaultESA_SA_EEPlZNS1_13binary_searchIS3_S5_PxSB_SC_NS1_21lower_bound_search_opENS8_6detail16wrapped_functionI11custom_lessbEEEE10hipError_tPvRmT1_T2_T3_mmT4_T5_P12ihipStream_tbEUlRKxE_EESK_SO_SP_mSQ_ST_bEUlT_E_NS1_11comp_targetILNS1_3genE8ELNS1_11target_archE1030ELNS1_3gpuE2ELNS1_3repE0EEENS1_30default_config_static_selectorELNS0_4arch9wavefront6targetE0EEEvSN_
; %bb.0:
	.section	.rodata,"a",@progbits
	.p2align	6, 0x0
	.amdhsa_kernel _ZN7rocprim17ROCPRIM_400000_NS6detail17trampoline_kernelINS0_14default_configENS1_27lower_bound_config_selectorIxlEEZNS1_14transform_implILb0ES3_S5_N6thrust23THRUST_200600_302600_NS17counting_iteratorIxNS8_11use_defaultESA_SA_EEPlZNS1_13binary_searchIS3_S5_PxSB_SC_NS1_21lower_bound_search_opENS8_6detail16wrapped_functionI11custom_lessbEEEE10hipError_tPvRmT1_T2_T3_mmT4_T5_P12ihipStream_tbEUlRKxE_EESK_SO_SP_mSQ_ST_bEUlT_E_NS1_11comp_targetILNS1_3genE8ELNS1_11target_archE1030ELNS1_3gpuE2ELNS1_3repE0EEENS1_30default_config_static_selectorELNS0_4arch9wavefront6targetE0EEEvSN_
		.amdhsa_group_segment_fixed_size 0
		.amdhsa_private_segment_fixed_size 0
		.amdhsa_kernarg_size 56
		.amdhsa_user_sgpr_count 15
		.amdhsa_user_sgpr_dispatch_ptr 0
		.amdhsa_user_sgpr_queue_ptr 0
		.amdhsa_user_sgpr_kernarg_segment_ptr 1
		.amdhsa_user_sgpr_dispatch_id 0
		.amdhsa_user_sgpr_private_segment_size 0
		.amdhsa_wavefront_size32 1
		.amdhsa_uses_dynamic_stack 0
		.amdhsa_enable_private_segment 0
		.amdhsa_system_sgpr_workgroup_id_x 1
		.amdhsa_system_sgpr_workgroup_id_y 0
		.amdhsa_system_sgpr_workgroup_id_z 0
		.amdhsa_system_sgpr_workgroup_info 0
		.amdhsa_system_vgpr_workitem_id 0
		.amdhsa_next_free_vgpr 1
		.amdhsa_next_free_sgpr 1
		.amdhsa_reserve_vcc 0
		.amdhsa_float_round_mode_32 0
		.amdhsa_float_round_mode_16_64 0
		.amdhsa_float_denorm_mode_32 3
		.amdhsa_float_denorm_mode_16_64 3
		.amdhsa_dx10_clamp 1
		.amdhsa_ieee_mode 1
		.amdhsa_fp16_overflow 0
		.amdhsa_workgroup_processor_mode 1
		.amdhsa_memory_ordered 1
		.amdhsa_forward_progress 0
		.amdhsa_shared_vgpr_count 0
		.amdhsa_exception_fp_ieee_invalid_op 0
		.amdhsa_exception_fp_denorm_src 0
		.amdhsa_exception_fp_ieee_div_zero 0
		.amdhsa_exception_fp_ieee_overflow 0
		.amdhsa_exception_fp_ieee_underflow 0
		.amdhsa_exception_fp_ieee_inexact 0
		.amdhsa_exception_int_div_zero 0
	.end_amdhsa_kernel
	.section	.text._ZN7rocprim17ROCPRIM_400000_NS6detail17trampoline_kernelINS0_14default_configENS1_27lower_bound_config_selectorIxlEEZNS1_14transform_implILb0ES3_S5_N6thrust23THRUST_200600_302600_NS17counting_iteratorIxNS8_11use_defaultESA_SA_EEPlZNS1_13binary_searchIS3_S5_PxSB_SC_NS1_21lower_bound_search_opENS8_6detail16wrapped_functionI11custom_lessbEEEE10hipError_tPvRmT1_T2_T3_mmT4_T5_P12ihipStream_tbEUlRKxE_EESK_SO_SP_mSQ_ST_bEUlT_E_NS1_11comp_targetILNS1_3genE8ELNS1_11target_archE1030ELNS1_3gpuE2ELNS1_3repE0EEENS1_30default_config_static_selectorELNS0_4arch9wavefront6targetE0EEEvSN_,"axG",@progbits,_ZN7rocprim17ROCPRIM_400000_NS6detail17trampoline_kernelINS0_14default_configENS1_27lower_bound_config_selectorIxlEEZNS1_14transform_implILb0ES3_S5_N6thrust23THRUST_200600_302600_NS17counting_iteratorIxNS8_11use_defaultESA_SA_EEPlZNS1_13binary_searchIS3_S5_PxSB_SC_NS1_21lower_bound_search_opENS8_6detail16wrapped_functionI11custom_lessbEEEE10hipError_tPvRmT1_T2_T3_mmT4_T5_P12ihipStream_tbEUlRKxE_EESK_SO_SP_mSQ_ST_bEUlT_E_NS1_11comp_targetILNS1_3genE8ELNS1_11target_archE1030ELNS1_3gpuE2ELNS1_3repE0EEENS1_30default_config_static_selectorELNS0_4arch9wavefront6targetE0EEEvSN_,comdat
.Lfunc_end66:
	.size	_ZN7rocprim17ROCPRIM_400000_NS6detail17trampoline_kernelINS0_14default_configENS1_27lower_bound_config_selectorIxlEEZNS1_14transform_implILb0ES3_S5_N6thrust23THRUST_200600_302600_NS17counting_iteratorIxNS8_11use_defaultESA_SA_EEPlZNS1_13binary_searchIS3_S5_PxSB_SC_NS1_21lower_bound_search_opENS8_6detail16wrapped_functionI11custom_lessbEEEE10hipError_tPvRmT1_T2_T3_mmT4_T5_P12ihipStream_tbEUlRKxE_EESK_SO_SP_mSQ_ST_bEUlT_E_NS1_11comp_targetILNS1_3genE8ELNS1_11target_archE1030ELNS1_3gpuE2ELNS1_3repE0EEENS1_30default_config_static_selectorELNS0_4arch9wavefront6targetE0EEEvSN_, .Lfunc_end66-_ZN7rocprim17ROCPRIM_400000_NS6detail17trampoline_kernelINS0_14default_configENS1_27lower_bound_config_selectorIxlEEZNS1_14transform_implILb0ES3_S5_N6thrust23THRUST_200600_302600_NS17counting_iteratorIxNS8_11use_defaultESA_SA_EEPlZNS1_13binary_searchIS3_S5_PxSB_SC_NS1_21lower_bound_search_opENS8_6detail16wrapped_functionI11custom_lessbEEEE10hipError_tPvRmT1_T2_T3_mmT4_T5_P12ihipStream_tbEUlRKxE_EESK_SO_SP_mSQ_ST_bEUlT_E_NS1_11comp_targetILNS1_3genE8ELNS1_11target_archE1030ELNS1_3gpuE2ELNS1_3repE0EEENS1_30default_config_static_selectorELNS0_4arch9wavefront6targetE0EEEvSN_
                                        ; -- End function
	.section	.AMDGPU.csdata,"",@progbits
; Kernel info:
; codeLenInByte = 0
; NumSgprs: 0
; NumVgprs: 0
; ScratchSize: 0
; MemoryBound: 0
; FloatMode: 240
; IeeeMode: 1
; LDSByteSize: 0 bytes/workgroup (compile time only)
; SGPRBlocks: 0
; VGPRBlocks: 0
; NumSGPRsForWavesPerEU: 1
; NumVGPRsForWavesPerEU: 1
; Occupancy: 16
; WaveLimiterHint : 0
; COMPUTE_PGM_RSRC2:SCRATCH_EN: 0
; COMPUTE_PGM_RSRC2:USER_SGPR: 15
; COMPUTE_PGM_RSRC2:TRAP_HANDLER: 0
; COMPUTE_PGM_RSRC2:TGID_X_EN: 1
; COMPUTE_PGM_RSRC2:TGID_Y_EN: 0
; COMPUTE_PGM_RSRC2:TGID_Z_EN: 0
; COMPUTE_PGM_RSRC2:TIDIG_COMP_CNT: 0
	.section	.text._Z18lower_bound_kernelIiEvmPT_Pl,"axG",@progbits,_Z18lower_bound_kernelIiEvmPT_Pl,comdat
	.protected	_Z18lower_bound_kernelIiEvmPT_Pl ; -- Begin function _Z18lower_bound_kernelIiEvmPT_Pl
	.globl	_Z18lower_bound_kernelIiEvmPT_Pl
	.p2align	8
	.type	_Z18lower_bound_kernelIiEvmPT_Pl,@function
_Z18lower_bound_kernelIiEvmPT_Pl:       ; @_Z18lower_bound_kernelIiEvmPT_Pl
; %bb.0:
	s_clause 0x1
	s_load_b128 s[4:7], s[0:1], 0x0
	s_load_b64 s[2:3], s[0:1], 0x10
	s_mov_b64 s[8:9], 0
	s_waitcnt lgkmcnt(0)
	v_cmp_lt_i64_e64 s0, s[4:5], 1
	s_delay_alu instid0(VALU_DEP_1) | instskip(NEXT) | instid1(SALU_CYCLE_1)
	s_and_b32 s0, exec_lo, s0
	s_mov_b32 vcc_lo, s0
	s_cbranch_vccnz .LBB67_3
; %bb.1:
	s_mov_b64 s[10:11], s[4:5]
	.p2align	6
.LBB67_2:                               ; =>This Inner Loop Header: Depth=1
	s_delay_alu instid0(SALU_CYCLE_1) | instskip(SKIP_1) | instid1(SALU_CYCLE_1)
	s_sub_u32 s1, s10, s8
	s_subb_u32 s13, s11, s9
	s_lshr_b32 s12, s13, 31
	s_delay_alu instid0(SALU_CYCLE_1) | instskip(SKIP_1) | instid1(SALU_CYCLE_1)
	s_add_u32 s12, s1, s12
	s_addc_u32 s13, s13, 0
	s_ashr_i64 s[12:13], s[12:13], 1
	s_delay_alu instid0(SALU_CYCLE_1) | instskip(SKIP_1) | instid1(SALU_CYCLE_1)
	s_add_u32 s12, s12, s8
	s_addc_u32 s13, s13, s9
	s_lshl_b64 s[14:15], s[12:13], 2
	s_delay_alu instid0(SALU_CYCLE_1)
	s_add_u32 s14, s6, s14
	s_addc_u32 s15, s7, s15
	s_load_b32 s1, s[14:15], 0x0
	s_add_u32 s14, s12, 1
	s_addc_u32 s15, s13, 0
	s_waitcnt lgkmcnt(0)
	s_cmp_lt_i32 s1, 0
	s_cselect_b32 s9, s15, s9
	s_cselect_b32 s8, s14, s8
	;; [unrolled: 1-line block ×4, first 2 shown]
	s_delay_alu instid0(SALU_CYCLE_1) | instskip(NEXT) | instid1(VALU_DEP_1)
	v_cmp_lt_i64_e64 s1, s[8:9], s[10:11]
	s_and_b32 vcc_lo, exec_lo, s1
	s_cbranch_vccnz .LBB67_2
.LBB67_3:
	v_cmp_gt_i64_e64 s10, s[4:5], 0
	v_mov_b32_e32 v2, 0
	s_delay_alu instid0(VALU_DEP_2) | instskip(SKIP_1) | instid1(VALU_DEP_1)
	v_cndmask_b32_e64 v0, 0, 1, s10
	s_and_not1_b32 vcc_lo, exec_lo, s10
	v_cmp_ne_u32_e64 s1, 1, v0
	v_dual_mov_b32 v0, s8 :: v_dual_mov_b32 v1, s9
	s_mov_b64 s[8:9], 0
	global_store_b64 v2, v[0:1], s[2:3]
	s_cbranch_vccnz .LBB67_6
; %bb.4:
	s_mov_b64 s[10:11], s[4:5]
	.p2align	6
.LBB67_5:                               ; =>This Inner Loop Header: Depth=1
	s_delay_alu instid0(SALU_CYCLE_1) | instskip(SKIP_1) | instid1(SALU_CYCLE_1)
	s_sub_u32 s12, s10, s8
	s_subb_u32 s13, s11, s9
	s_lshr_b32 s14, s13, 31
	s_delay_alu instid0(SALU_CYCLE_1) | instskip(SKIP_1) | instid1(SALU_CYCLE_1)
	s_add_u32 s12, s12, s14
	s_addc_u32 s13, s13, 0
	s_ashr_i64 s[12:13], s[12:13], 1
	s_delay_alu instid0(SALU_CYCLE_1) | instskip(SKIP_1) | instid1(SALU_CYCLE_1)
	s_add_u32 s12, s12, s8
	s_addc_u32 s13, s13, s9
	s_lshl_b64 s[14:15], s[12:13], 2
	s_delay_alu instid0(SALU_CYCLE_1)
	s_add_u32 s14, s6, s14
	s_addc_u32 s15, s7, s15
	s_load_b32 s14, s[14:15], 0x0
	s_add_u32 s15, s12, 1
	s_addc_u32 s16, s13, 0
	s_waitcnt lgkmcnt(0)
	s_cmp_lt_i32 s14, 1
	s_cselect_b32 s9, s16, s9
	s_cselect_b32 s8, s15, s8
	;; [unrolled: 1-line block ×4, first 2 shown]
	s_delay_alu instid0(SALU_CYCLE_1) | instskip(NEXT) | instid1(VALU_DEP_1)
	v_cmp_lt_i64_e64 s12, s[8:9], s[10:11]
	s_and_b32 vcc_lo, exec_lo, s12
	s_cbranch_vccnz .LBB67_5
.LBB67_6:
	v_mov_b32_e32 v0, s8
	v_dual_mov_b32 v2, 0 :: v_dual_mov_b32 v1, s9
	s_and_b32 vcc_lo, exec_lo, s1
	s_mov_b64 s[8:9], 0
	global_store_b64 v2, v[0:1], s[2:3] offset:8
	s_cbranch_vccnz .LBB67_9
; %bb.7:
	s_mov_b64 s[10:11], s[4:5]
	.p2align	6
.LBB67_8:                               ; =>This Inner Loop Header: Depth=1
	s_delay_alu instid0(SALU_CYCLE_1) | instskip(SKIP_1) | instid1(SALU_CYCLE_1)
	s_sub_u32 s12, s10, s8
	s_subb_u32 s13, s11, s9
	s_lshr_b32 s14, s13, 31
	s_delay_alu instid0(SALU_CYCLE_1) | instskip(SKIP_1) | instid1(SALU_CYCLE_1)
	s_add_u32 s12, s12, s14
	s_addc_u32 s13, s13, 0
	s_ashr_i64 s[12:13], s[12:13], 1
	s_delay_alu instid0(SALU_CYCLE_1) | instskip(SKIP_1) | instid1(SALU_CYCLE_1)
	s_add_u32 s12, s12, s8
	s_addc_u32 s13, s13, s9
	s_lshl_b64 s[14:15], s[12:13], 2
	s_delay_alu instid0(SALU_CYCLE_1)
	s_add_u32 s14, s6, s14
	s_addc_u32 s15, s7, s15
	s_load_b32 s14, s[14:15], 0x0
	s_add_u32 s15, s12, 1
	s_addc_u32 s16, s13, 0
	s_waitcnt lgkmcnt(0)
	s_cmp_lt_i32 s14, 2
	s_cselect_b32 s9, s16, s9
	s_cselect_b32 s8, s15, s8
	;; [unrolled: 1-line block ×4, first 2 shown]
	s_delay_alu instid0(SALU_CYCLE_1) | instskip(NEXT) | instid1(VALU_DEP_1)
	v_cmp_lt_i64_e64 s12, s[8:9], s[10:11]
	s_and_b32 vcc_lo, exec_lo, s12
	s_cbranch_vccnz .LBB67_8
.LBB67_9:
	v_mov_b32_e32 v0, s8
	v_dual_mov_b32 v2, 0 :: v_dual_mov_b32 v1, s9
	s_and_b32 vcc_lo, exec_lo, s1
	s_mov_b64 s[8:9], 0
	global_store_b64 v2, v[0:1], s[2:3] offset:16
	s_cbranch_vccnz .LBB67_12
; %bb.10:
	s_mov_b64 s[10:11], s[4:5]
	.p2align	6
.LBB67_11:                              ; =>This Inner Loop Header: Depth=1
	s_delay_alu instid0(SALU_CYCLE_1) | instskip(SKIP_1) | instid1(SALU_CYCLE_1)
	s_sub_u32 s12, s10, s8
	s_subb_u32 s13, s11, s9
	s_lshr_b32 s14, s13, 31
	s_delay_alu instid0(SALU_CYCLE_1) | instskip(SKIP_1) | instid1(SALU_CYCLE_1)
	s_add_u32 s12, s12, s14
	s_addc_u32 s13, s13, 0
	s_ashr_i64 s[12:13], s[12:13], 1
	s_delay_alu instid0(SALU_CYCLE_1) | instskip(SKIP_1) | instid1(SALU_CYCLE_1)
	s_add_u32 s12, s12, s8
	s_addc_u32 s13, s13, s9
	s_lshl_b64 s[14:15], s[12:13], 2
	s_delay_alu instid0(SALU_CYCLE_1)
	s_add_u32 s14, s6, s14
	s_addc_u32 s15, s7, s15
	s_load_b32 s14, s[14:15], 0x0
	s_add_u32 s15, s12, 1
	s_addc_u32 s16, s13, 0
	s_waitcnt lgkmcnt(0)
	s_cmp_lt_i32 s14, 3
	s_cselect_b32 s9, s16, s9
	s_cselect_b32 s8, s15, s8
	s_cselect_b32 s11, s11, s13
	s_cselect_b32 s10, s10, s12
	s_delay_alu instid0(SALU_CYCLE_1) | instskip(NEXT) | instid1(VALU_DEP_1)
	v_cmp_lt_i64_e64 s12, s[8:9], s[10:11]
	s_and_b32 vcc_lo, exec_lo, s12
	s_cbranch_vccnz .LBB67_11
.LBB67_12:
	v_mov_b32_e32 v0, s8
	v_dual_mov_b32 v2, 0 :: v_dual_mov_b32 v1, s9
	s_and_b32 vcc_lo, exec_lo, s1
	s_mov_b64 s[8:9], 0
	global_store_b64 v2, v[0:1], s[2:3] offset:24
	s_cbranch_vccnz .LBB67_15
; %bb.13:
	s_mov_b64 s[10:11], s[4:5]
	.p2align	6
.LBB67_14:                              ; =>This Inner Loop Header: Depth=1
	s_delay_alu instid0(SALU_CYCLE_1) | instskip(SKIP_1) | instid1(SALU_CYCLE_1)
	s_sub_u32 s12, s10, s8
	s_subb_u32 s13, s11, s9
	s_lshr_b32 s14, s13, 31
	s_delay_alu instid0(SALU_CYCLE_1) | instskip(SKIP_1) | instid1(SALU_CYCLE_1)
	s_add_u32 s12, s12, s14
	s_addc_u32 s13, s13, 0
	s_ashr_i64 s[12:13], s[12:13], 1
	s_delay_alu instid0(SALU_CYCLE_1) | instskip(SKIP_1) | instid1(SALU_CYCLE_1)
	s_add_u32 s12, s12, s8
	s_addc_u32 s13, s13, s9
	s_lshl_b64 s[14:15], s[12:13], 2
	s_delay_alu instid0(SALU_CYCLE_1)
	s_add_u32 s14, s6, s14
	s_addc_u32 s15, s7, s15
	s_load_b32 s14, s[14:15], 0x0
	s_add_u32 s15, s12, 1
	s_addc_u32 s16, s13, 0
	s_waitcnt lgkmcnt(0)
	s_cmp_lt_i32 s14, 4
	s_cselect_b32 s9, s16, s9
	s_cselect_b32 s8, s15, s8
	;; [unrolled: 1-line block ×4, first 2 shown]
	s_delay_alu instid0(SALU_CYCLE_1) | instskip(NEXT) | instid1(VALU_DEP_1)
	v_cmp_lt_i64_e64 s12, s[8:9], s[10:11]
	s_and_b32 vcc_lo, exec_lo, s12
	s_cbranch_vccnz .LBB67_14
.LBB67_15:
	v_mov_b32_e32 v0, s8
	v_dual_mov_b32 v2, 0 :: v_dual_mov_b32 v1, s9
	s_and_b32 vcc_lo, exec_lo, s1
	s_mov_b64 s[8:9], 0
	global_store_b64 v2, v[0:1], s[2:3] offset:32
	s_cbranch_vccnz .LBB67_18
; %bb.16:
	s_mov_b64 s[10:11], s[4:5]
	.p2align	6
.LBB67_17:                              ; =>This Inner Loop Header: Depth=1
	s_delay_alu instid0(SALU_CYCLE_1) | instskip(SKIP_1) | instid1(SALU_CYCLE_1)
	s_sub_u32 s12, s10, s8
	s_subb_u32 s13, s11, s9
	s_lshr_b32 s14, s13, 31
	s_delay_alu instid0(SALU_CYCLE_1) | instskip(SKIP_1) | instid1(SALU_CYCLE_1)
	s_add_u32 s12, s12, s14
	s_addc_u32 s13, s13, 0
	s_ashr_i64 s[12:13], s[12:13], 1
	s_delay_alu instid0(SALU_CYCLE_1) | instskip(SKIP_1) | instid1(SALU_CYCLE_1)
	s_add_u32 s12, s12, s8
	s_addc_u32 s13, s13, s9
	s_lshl_b64 s[14:15], s[12:13], 2
	s_delay_alu instid0(SALU_CYCLE_1)
	s_add_u32 s14, s6, s14
	s_addc_u32 s15, s7, s15
	s_load_b32 s14, s[14:15], 0x0
	s_add_u32 s15, s12, 1
	s_addc_u32 s16, s13, 0
	s_waitcnt lgkmcnt(0)
	s_cmp_lt_i32 s14, 5
	s_cselect_b32 s9, s16, s9
	s_cselect_b32 s8, s15, s8
	;; [unrolled: 1-line block ×4, first 2 shown]
	s_delay_alu instid0(SALU_CYCLE_1) | instskip(NEXT) | instid1(VALU_DEP_1)
	v_cmp_lt_i64_e64 s12, s[8:9], s[10:11]
	s_and_b32 vcc_lo, exec_lo, s12
	s_cbranch_vccnz .LBB67_17
.LBB67_18:
	v_mov_b32_e32 v0, s8
	v_dual_mov_b32 v2, 0 :: v_dual_mov_b32 v1, s9
	s_and_b32 vcc_lo, exec_lo, s1
	s_mov_b64 s[8:9], 0
	global_store_b64 v2, v[0:1], s[2:3] offset:40
	s_cbranch_vccnz .LBB67_21
; %bb.19:
	s_mov_b64 s[10:11], s[4:5]
	.p2align	6
.LBB67_20:                              ; =>This Inner Loop Header: Depth=1
	s_delay_alu instid0(SALU_CYCLE_1) | instskip(SKIP_1) | instid1(SALU_CYCLE_1)
	s_sub_u32 s12, s10, s8
	s_subb_u32 s13, s11, s9
	s_lshr_b32 s14, s13, 31
	s_delay_alu instid0(SALU_CYCLE_1) | instskip(SKIP_1) | instid1(SALU_CYCLE_1)
	s_add_u32 s12, s12, s14
	s_addc_u32 s13, s13, 0
	s_ashr_i64 s[12:13], s[12:13], 1
	s_delay_alu instid0(SALU_CYCLE_1) | instskip(SKIP_1) | instid1(SALU_CYCLE_1)
	s_add_u32 s12, s12, s8
	s_addc_u32 s13, s13, s9
	s_lshl_b64 s[14:15], s[12:13], 2
	s_delay_alu instid0(SALU_CYCLE_1)
	s_add_u32 s14, s6, s14
	s_addc_u32 s15, s7, s15
	s_load_b32 s14, s[14:15], 0x0
	s_add_u32 s15, s12, 1
	s_addc_u32 s16, s13, 0
	s_waitcnt lgkmcnt(0)
	s_cmp_lt_i32 s14, 6
	s_cselect_b32 s9, s16, s9
	s_cselect_b32 s8, s15, s8
	;; [unrolled: 1-line block ×4, first 2 shown]
	s_delay_alu instid0(SALU_CYCLE_1) | instskip(NEXT) | instid1(VALU_DEP_1)
	v_cmp_lt_i64_e64 s12, s[8:9], s[10:11]
	s_and_b32 vcc_lo, exec_lo, s12
	s_cbranch_vccnz .LBB67_20
.LBB67_21:
	v_mov_b32_e32 v0, s8
	v_dual_mov_b32 v2, 0 :: v_dual_mov_b32 v1, s9
	s_and_b32 vcc_lo, exec_lo, s1
	s_mov_b64 s[8:9], 0
	global_store_b64 v2, v[0:1], s[2:3] offset:48
	s_cbranch_vccnz .LBB67_24
; %bb.22:
	s_mov_b64 s[10:11], s[4:5]
	.p2align	6
.LBB67_23:                              ; =>This Inner Loop Header: Depth=1
	s_delay_alu instid0(SALU_CYCLE_1) | instskip(SKIP_1) | instid1(SALU_CYCLE_1)
	s_sub_u32 s1, s10, s8
	s_subb_u32 s13, s11, s9
	s_lshr_b32 s12, s13, 31
	s_delay_alu instid0(SALU_CYCLE_1) | instskip(SKIP_1) | instid1(SALU_CYCLE_1)
	s_add_u32 s12, s1, s12
	s_addc_u32 s13, s13, 0
	s_ashr_i64 s[12:13], s[12:13], 1
	s_delay_alu instid0(SALU_CYCLE_1) | instskip(SKIP_1) | instid1(SALU_CYCLE_1)
	s_add_u32 s12, s12, s8
	s_addc_u32 s13, s13, s9
	s_lshl_b64 s[14:15], s[12:13], 2
	s_delay_alu instid0(SALU_CYCLE_1)
	s_add_u32 s14, s6, s14
	s_addc_u32 s15, s7, s15
	s_load_b32 s1, s[14:15], 0x0
	s_add_u32 s14, s12, 1
	s_addc_u32 s15, s13, 0
	s_waitcnt lgkmcnt(0)
	s_cmp_lt_i32 s1, 7
	s_cselect_b32 s9, s15, s9
	s_cselect_b32 s8, s14, s8
	;; [unrolled: 1-line block ×4, first 2 shown]
	s_delay_alu instid0(SALU_CYCLE_1) | instskip(NEXT) | instid1(VALU_DEP_1)
	v_cmp_lt_i64_e64 s1, s[8:9], s[10:11]
	s_and_b32 vcc_lo, exec_lo, s1
	s_cbranch_vccnz .LBB67_23
.LBB67_24:
	v_dual_mov_b32 v0, 0 :: v_dual_mov_b32 v1, s8
	v_mov_b32_e32 v2, s9
	s_mov_b32 vcc_lo, s0
	global_store_b64 v0, v[1:2], s[2:3] offset:56
	s_cbranch_vccz .LBB67_26
; %bb.25:
	v_mov_b32_e32 v1, v0
	s_mov_b64 s[0:1], 0
	global_store_b64 v0, v[0:1], s[2:3] offset:64
	s_cbranch_execz .LBB67_27
	s_branch .LBB67_31
.LBB67_26:
                                        ; implicit-def: $sgpr0_sgpr1
.LBB67_27:
	s_mov_b64 s[0:1], 0
	s_mov_b64 s[8:9], s[4:5]
	.p2align	6
.LBB67_28:                              ; =>This Inner Loop Header: Depth=1
	s_delay_alu instid0(SALU_CYCLE_1) | instskip(SKIP_1) | instid1(SALU_CYCLE_1)
	s_sub_u32 s10, s8, s0
	s_subb_u32 s11, s9, s1
	s_lshr_b32 s12, s11, 31
	s_delay_alu instid0(SALU_CYCLE_1) | instskip(SKIP_1) | instid1(SALU_CYCLE_1)
	s_add_u32 s10, s10, s12
	s_addc_u32 s11, s11, 0
	s_ashr_i64 s[10:11], s[10:11], 1
	s_delay_alu instid0(SALU_CYCLE_1) | instskip(SKIP_1) | instid1(SALU_CYCLE_1)
	s_add_u32 s10, s10, s0
	s_addc_u32 s11, s11, s1
	s_lshl_b64 s[12:13], s[10:11], 2
	s_delay_alu instid0(SALU_CYCLE_1)
	s_add_u32 s12, s6, s12
	s_addc_u32 s13, s7, s13
	s_load_b32 s12, s[12:13], 0x0
	s_add_u32 s13, s10, 1
	s_addc_u32 s14, s11, 0
	s_waitcnt lgkmcnt(0)
	s_cmp_lt_i32 s12, 8
	s_cselect_b32 s1, s14, s1
	s_cselect_b32 s0, s13, s0
	;; [unrolled: 1-line block ×4, first 2 shown]
	s_delay_alu instid0(SALU_CYCLE_1) | instskip(NEXT) | instid1(VALU_DEP_1)
	v_cmp_lt_i64_e64 s10, s[0:1], s[8:9]
	s_and_b32 vcc_lo, exec_lo, s10
	s_cbranch_vccnz .LBB67_28
; %bb.29:
	v_mov_b32_e32 v0, s0
	v_dual_mov_b32 v2, 0 :: v_dual_mov_b32 v1, s1
	s_mov_b64 s[0:1], 0
	global_store_b64 v2, v[0:1], s[2:3] offset:64
	.p2align	6
.LBB67_30:                              ; =>This Inner Loop Header: Depth=1
	s_sub_u32 s8, s4, s0
	s_subb_u32 s9, s5, s1
	s_delay_alu instid0(SALU_CYCLE_1) | instskip(NEXT) | instid1(SALU_CYCLE_1)
	s_lshr_b32 s10, s9, 31
	s_add_u32 s8, s8, s10
	s_addc_u32 s9, s9, 0
	s_delay_alu instid0(SALU_CYCLE_1) | instskip(NEXT) | instid1(SALU_CYCLE_1)
	s_ashr_i64 s[8:9], s[8:9], 1
	s_add_u32 s8, s8, s0
	s_addc_u32 s9, s9, s1
	s_delay_alu instid0(SALU_CYCLE_1) | instskip(NEXT) | instid1(SALU_CYCLE_1)
	s_lshl_b64 s[10:11], s[8:9], 2
	s_add_u32 s10, s6, s10
	s_addc_u32 s11, s7, s11
	s_load_b32 s10, s[10:11], 0x0
	s_add_u32 s11, s8, 1
	s_addc_u32 s12, s9, 0
	s_waitcnt lgkmcnt(0)
	s_cmp_lt_i32 s10, 9
	s_cselect_b32 s1, s12, s1
	s_cselect_b32 s0, s11, s0
	;; [unrolled: 1-line block ×4, first 2 shown]
	s_delay_alu instid0(SALU_CYCLE_1) | instskip(NEXT) | instid1(VALU_DEP_1)
	v_cmp_ge_i64_e64 s8, s[0:1], s[4:5]
	s_and_b32 vcc_lo, exec_lo, s8
	s_cbranch_vccz .LBB67_30
.LBB67_31:
	v_mov_b32_e32 v0, s0
	v_dual_mov_b32 v2, 0 :: v_dual_mov_b32 v1, s1
	global_store_b64 v2, v[0:1], s[2:3] offset:72
	s_nop 0
	s_sendmsg sendmsg(MSG_DEALLOC_VGPRS)
	s_endpgm
	.section	.rodata,"a",@progbits
	.p2align	6, 0x0
	.amdhsa_kernel _Z18lower_bound_kernelIiEvmPT_Pl
		.amdhsa_group_segment_fixed_size 0
		.amdhsa_private_segment_fixed_size 0
		.amdhsa_kernarg_size 24
		.amdhsa_user_sgpr_count 15
		.amdhsa_user_sgpr_dispatch_ptr 0
		.amdhsa_user_sgpr_queue_ptr 0
		.amdhsa_user_sgpr_kernarg_segment_ptr 1
		.amdhsa_user_sgpr_dispatch_id 0
		.amdhsa_user_sgpr_private_segment_size 0
		.amdhsa_wavefront_size32 1
		.amdhsa_uses_dynamic_stack 0
		.amdhsa_enable_private_segment 0
		.amdhsa_system_sgpr_workgroup_id_x 1
		.amdhsa_system_sgpr_workgroup_id_y 0
		.amdhsa_system_sgpr_workgroup_id_z 0
		.amdhsa_system_sgpr_workgroup_info 0
		.amdhsa_system_vgpr_workitem_id 0
		.amdhsa_next_free_vgpr 3
		.amdhsa_next_free_sgpr 17
		.amdhsa_reserve_vcc 1
		.amdhsa_float_round_mode_32 0
		.amdhsa_float_round_mode_16_64 0
		.amdhsa_float_denorm_mode_32 3
		.amdhsa_float_denorm_mode_16_64 3
		.amdhsa_dx10_clamp 1
		.amdhsa_ieee_mode 1
		.amdhsa_fp16_overflow 0
		.amdhsa_workgroup_processor_mode 1
		.amdhsa_memory_ordered 1
		.amdhsa_forward_progress 0
		.amdhsa_shared_vgpr_count 0
		.amdhsa_exception_fp_ieee_invalid_op 0
		.amdhsa_exception_fp_denorm_src 0
		.amdhsa_exception_fp_ieee_div_zero 0
		.amdhsa_exception_fp_ieee_overflow 0
		.amdhsa_exception_fp_ieee_underflow 0
		.amdhsa_exception_fp_ieee_inexact 0
		.amdhsa_exception_int_div_zero 0
	.end_amdhsa_kernel
	.section	.text._Z18lower_bound_kernelIiEvmPT_Pl,"axG",@progbits,_Z18lower_bound_kernelIiEvmPT_Pl,comdat
.Lfunc_end67:
	.size	_Z18lower_bound_kernelIiEvmPT_Pl, .Lfunc_end67-_Z18lower_bound_kernelIiEvmPT_Pl
                                        ; -- End function
	.section	.AMDGPU.csdata,"",@progbits
; Kernel info:
; codeLenInByte = 1648
; NumSgprs: 19
; NumVgprs: 3
; ScratchSize: 0
; MemoryBound: 0
; FloatMode: 240
; IeeeMode: 1
; LDSByteSize: 0 bytes/workgroup (compile time only)
; SGPRBlocks: 2
; VGPRBlocks: 0
; NumSGPRsForWavesPerEU: 19
; NumVGPRsForWavesPerEU: 3
; Occupancy: 16
; WaveLimiterHint : 0
; COMPUTE_PGM_RSRC2:SCRATCH_EN: 0
; COMPUTE_PGM_RSRC2:USER_SGPR: 15
; COMPUTE_PGM_RSRC2:TRAP_HANDLER: 0
; COMPUTE_PGM_RSRC2:TGID_X_EN: 1
; COMPUTE_PGM_RSRC2:TGID_Y_EN: 0
; COMPUTE_PGM_RSRC2:TGID_Z_EN: 0
; COMPUTE_PGM_RSRC2:TIDIG_COMP_CNT: 0
	.section	.text._ZN7rocprim17ROCPRIM_400000_NS6detail17trampoline_kernelINS0_14default_configENS1_27lower_bound_config_selectorIilEEZNS1_14transform_implILb0ES3_S5_N6thrust23THRUST_200600_302600_NS17counting_iteratorIiNS8_11use_defaultESA_SA_EEPlZNS1_13binary_searchIS3_S5_PiSB_SC_NS1_21lower_bound_search_opENS8_6detail16wrapped_functionI11custom_lessbEEEE10hipError_tPvRmT1_T2_T3_mmT4_T5_P12ihipStream_tbEUlRKiE_EESK_SO_SP_mSQ_ST_bEUlT_E_NS1_11comp_targetILNS1_3genE0ELNS1_11target_archE4294967295ELNS1_3gpuE0ELNS1_3repE0EEENS1_30default_config_static_selectorELNS0_4arch9wavefront6targetE0EEEvSN_,"axG",@progbits,_ZN7rocprim17ROCPRIM_400000_NS6detail17trampoline_kernelINS0_14default_configENS1_27lower_bound_config_selectorIilEEZNS1_14transform_implILb0ES3_S5_N6thrust23THRUST_200600_302600_NS17counting_iteratorIiNS8_11use_defaultESA_SA_EEPlZNS1_13binary_searchIS3_S5_PiSB_SC_NS1_21lower_bound_search_opENS8_6detail16wrapped_functionI11custom_lessbEEEE10hipError_tPvRmT1_T2_T3_mmT4_T5_P12ihipStream_tbEUlRKiE_EESK_SO_SP_mSQ_ST_bEUlT_E_NS1_11comp_targetILNS1_3genE0ELNS1_11target_archE4294967295ELNS1_3gpuE0ELNS1_3repE0EEENS1_30default_config_static_selectorELNS0_4arch9wavefront6targetE0EEEvSN_,comdat
	.protected	_ZN7rocprim17ROCPRIM_400000_NS6detail17trampoline_kernelINS0_14default_configENS1_27lower_bound_config_selectorIilEEZNS1_14transform_implILb0ES3_S5_N6thrust23THRUST_200600_302600_NS17counting_iteratorIiNS8_11use_defaultESA_SA_EEPlZNS1_13binary_searchIS3_S5_PiSB_SC_NS1_21lower_bound_search_opENS8_6detail16wrapped_functionI11custom_lessbEEEE10hipError_tPvRmT1_T2_T3_mmT4_T5_P12ihipStream_tbEUlRKiE_EESK_SO_SP_mSQ_ST_bEUlT_E_NS1_11comp_targetILNS1_3genE0ELNS1_11target_archE4294967295ELNS1_3gpuE0ELNS1_3repE0EEENS1_30default_config_static_selectorELNS0_4arch9wavefront6targetE0EEEvSN_ ; -- Begin function _ZN7rocprim17ROCPRIM_400000_NS6detail17trampoline_kernelINS0_14default_configENS1_27lower_bound_config_selectorIilEEZNS1_14transform_implILb0ES3_S5_N6thrust23THRUST_200600_302600_NS17counting_iteratorIiNS8_11use_defaultESA_SA_EEPlZNS1_13binary_searchIS3_S5_PiSB_SC_NS1_21lower_bound_search_opENS8_6detail16wrapped_functionI11custom_lessbEEEE10hipError_tPvRmT1_T2_T3_mmT4_T5_P12ihipStream_tbEUlRKiE_EESK_SO_SP_mSQ_ST_bEUlT_E_NS1_11comp_targetILNS1_3genE0ELNS1_11target_archE4294967295ELNS1_3gpuE0ELNS1_3repE0EEENS1_30default_config_static_selectorELNS0_4arch9wavefront6targetE0EEEvSN_
	.globl	_ZN7rocprim17ROCPRIM_400000_NS6detail17trampoline_kernelINS0_14default_configENS1_27lower_bound_config_selectorIilEEZNS1_14transform_implILb0ES3_S5_N6thrust23THRUST_200600_302600_NS17counting_iteratorIiNS8_11use_defaultESA_SA_EEPlZNS1_13binary_searchIS3_S5_PiSB_SC_NS1_21lower_bound_search_opENS8_6detail16wrapped_functionI11custom_lessbEEEE10hipError_tPvRmT1_T2_T3_mmT4_T5_P12ihipStream_tbEUlRKiE_EESK_SO_SP_mSQ_ST_bEUlT_E_NS1_11comp_targetILNS1_3genE0ELNS1_11target_archE4294967295ELNS1_3gpuE0ELNS1_3repE0EEENS1_30default_config_static_selectorELNS0_4arch9wavefront6targetE0EEEvSN_
	.p2align	8
	.type	_ZN7rocprim17ROCPRIM_400000_NS6detail17trampoline_kernelINS0_14default_configENS1_27lower_bound_config_selectorIilEEZNS1_14transform_implILb0ES3_S5_N6thrust23THRUST_200600_302600_NS17counting_iteratorIiNS8_11use_defaultESA_SA_EEPlZNS1_13binary_searchIS3_S5_PiSB_SC_NS1_21lower_bound_search_opENS8_6detail16wrapped_functionI11custom_lessbEEEE10hipError_tPvRmT1_T2_T3_mmT4_T5_P12ihipStream_tbEUlRKiE_EESK_SO_SP_mSQ_ST_bEUlT_E_NS1_11comp_targetILNS1_3genE0ELNS1_11target_archE4294967295ELNS1_3gpuE0ELNS1_3repE0EEENS1_30default_config_static_selectorELNS0_4arch9wavefront6targetE0EEEvSN_,@function
_ZN7rocprim17ROCPRIM_400000_NS6detail17trampoline_kernelINS0_14default_configENS1_27lower_bound_config_selectorIilEEZNS1_14transform_implILb0ES3_S5_N6thrust23THRUST_200600_302600_NS17counting_iteratorIiNS8_11use_defaultESA_SA_EEPlZNS1_13binary_searchIS3_S5_PiSB_SC_NS1_21lower_bound_search_opENS8_6detail16wrapped_functionI11custom_lessbEEEE10hipError_tPvRmT1_T2_T3_mmT4_T5_P12ihipStream_tbEUlRKiE_EESK_SO_SP_mSQ_ST_bEUlT_E_NS1_11comp_targetILNS1_3genE0ELNS1_11target_archE4294967295ELNS1_3gpuE0ELNS1_3repE0EEENS1_30default_config_static_selectorELNS0_4arch9wavefront6targetE0EEEvSN_: ; @_ZN7rocprim17ROCPRIM_400000_NS6detail17trampoline_kernelINS0_14default_configENS1_27lower_bound_config_selectorIilEEZNS1_14transform_implILb0ES3_S5_N6thrust23THRUST_200600_302600_NS17counting_iteratorIiNS8_11use_defaultESA_SA_EEPlZNS1_13binary_searchIS3_S5_PiSB_SC_NS1_21lower_bound_search_opENS8_6detail16wrapped_functionI11custom_lessbEEEE10hipError_tPvRmT1_T2_T3_mmT4_T5_P12ihipStream_tbEUlRKiE_EESK_SO_SP_mSQ_ST_bEUlT_E_NS1_11comp_targetILNS1_3genE0ELNS1_11target_archE4294967295ELNS1_3gpuE0ELNS1_3repE0EEENS1_30default_config_static_selectorELNS0_4arch9wavefront6targetE0EEEvSN_
; %bb.0:
	.section	.rodata,"a",@progbits
	.p2align	6, 0x0
	.amdhsa_kernel _ZN7rocprim17ROCPRIM_400000_NS6detail17trampoline_kernelINS0_14default_configENS1_27lower_bound_config_selectorIilEEZNS1_14transform_implILb0ES3_S5_N6thrust23THRUST_200600_302600_NS17counting_iteratorIiNS8_11use_defaultESA_SA_EEPlZNS1_13binary_searchIS3_S5_PiSB_SC_NS1_21lower_bound_search_opENS8_6detail16wrapped_functionI11custom_lessbEEEE10hipError_tPvRmT1_T2_T3_mmT4_T5_P12ihipStream_tbEUlRKiE_EESK_SO_SP_mSQ_ST_bEUlT_E_NS1_11comp_targetILNS1_3genE0ELNS1_11target_archE4294967295ELNS1_3gpuE0ELNS1_3repE0EEENS1_30default_config_static_selectorELNS0_4arch9wavefront6targetE0EEEvSN_
		.amdhsa_group_segment_fixed_size 0
		.amdhsa_private_segment_fixed_size 0
		.amdhsa_kernarg_size 56
		.amdhsa_user_sgpr_count 15
		.amdhsa_user_sgpr_dispatch_ptr 0
		.amdhsa_user_sgpr_queue_ptr 0
		.amdhsa_user_sgpr_kernarg_segment_ptr 1
		.amdhsa_user_sgpr_dispatch_id 0
		.amdhsa_user_sgpr_private_segment_size 0
		.amdhsa_wavefront_size32 1
		.amdhsa_uses_dynamic_stack 0
		.amdhsa_enable_private_segment 0
		.amdhsa_system_sgpr_workgroup_id_x 1
		.amdhsa_system_sgpr_workgroup_id_y 0
		.amdhsa_system_sgpr_workgroup_id_z 0
		.amdhsa_system_sgpr_workgroup_info 0
		.amdhsa_system_vgpr_workitem_id 0
		.amdhsa_next_free_vgpr 1
		.amdhsa_next_free_sgpr 1
		.amdhsa_reserve_vcc 0
		.amdhsa_float_round_mode_32 0
		.amdhsa_float_round_mode_16_64 0
		.amdhsa_float_denorm_mode_32 3
		.amdhsa_float_denorm_mode_16_64 3
		.amdhsa_dx10_clamp 1
		.amdhsa_ieee_mode 1
		.amdhsa_fp16_overflow 0
		.amdhsa_workgroup_processor_mode 1
		.amdhsa_memory_ordered 1
		.amdhsa_forward_progress 0
		.amdhsa_shared_vgpr_count 0
		.amdhsa_exception_fp_ieee_invalid_op 0
		.amdhsa_exception_fp_denorm_src 0
		.amdhsa_exception_fp_ieee_div_zero 0
		.amdhsa_exception_fp_ieee_overflow 0
		.amdhsa_exception_fp_ieee_underflow 0
		.amdhsa_exception_fp_ieee_inexact 0
		.amdhsa_exception_int_div_zero 0
	.end_amdhsa_kernel
	.section	.text._ZN7rocprim17ROCPRIM_400000_NS6detail17trampoline_kernelINS0_14default_configENS1_27lower_bound_config_selectorIilEEZNS1_14transform_implILb0ES3_S5_N6thrust23THRUST_200600_302600_NS17counting_iteratorIiNS8_11use_defaultESA_SA_EEPlZNS1_13binary_searchIS3_S5_PiSB_SC_NS1_21lower_bound_search_opENS8_6detail16wrapped_functionI11custom_lessbEEEE10hipError_tPvRmT1_T2_T3_mmT4_T5_P12ihipStream_tbEUlRKiE_EESK_SO_SP_mSQ_ST_bEUlT_E_NS1_11comp_targetILNS1_3genE0ELNS1_11target_archE4294967295ELNS1_3gpuE0ELNS1_3repE0EEENS1_30default_config_static_selectorELNS0_4arch9wavefront6targetE0EEEvSN_,"axG",@progbits,_ZN7rocprim17ROCPRIM_400000_NS6detail17trampoline_kernelINS0_14default_configENS1_27lower_bound_config_selectorIilEEZNS1_14transform_implILb0ES3_S5_N6thrust23THRUST_200600_302600_NS17counting_iteratorIiNS8_11use_defaultESA_SA_EEPlZNS1_13binary_searchIS3_S5_PiSB_SC_NS1_21lower_bound_search_opENS8_6detail16wrapped_functionI11custom_lessbEEEE10hipError_tPvRmT1_T2_T3_mmT4_T5_P12ihipStream_tbEUlRKiE_EESK_SO_SP_mSQ_ST_bEUlT_E_NS1_11comp_targetILNS1_3genE0ELNS1_11target_archE4294967295ELNS1_3gpuE0ELNS1_3repE0EEENS1_30default_config_static_selectorELNS0_4arch9wavefront6targetE0EEEvSN_,comdat
.Lfunc_end68:
	.size	_ZN7rocprim17ROCPRIM_400000_NS6detail17trampoline_kernelINS0_14default_configENS1_27lower_bound_config_selectorIilEEZNS1_14transform_implILb0ES3_S5_N6thrust23THRUST_200600_302600_NS17counting_iteratorIiNS8_11use_defaultESA_SA_EEPlZNS1_13binary_searchIS3_S5_PiSB_SC_NS1_21lower_bound_search_opENS8_6detail16wrapped_functionI11custom_lessbEEEE10hipError_tPvRmT1_T2_T3_mmT4_T5_P12ihipStream_tbEUlRKiE_EESK_SO_SP_mSQ_ST_bEUlT_E_NS1_11comp_targetILNS1_3genE0ELNS1_11target_archE4294967295ELNS1_3gpuE0ELNS1_3repE0EEENS1_30default_config_static_selectorELNS0_4arch9wavefront6targetE0EEEvSN_, .Lfunc_end68-_ZN7rocprim17ROCPRIM_400000_NS6detail17trampoline_kernelINS0_14default_configENS1_27lower_bound_config_selectorIilEEZNS1_14transform_implILb0ES3_S5_N6thrust23THRUST_200600_302600_NS17counting_iteratorIiNS8_11use_defaultESA_SA_EEPlZNS1_13binary_searchIS3_S5_PiSB_SC_NS1_21lower_bound_search_opENS8_6detail16wrapped_functionI11custom_lessbEEEE10hipError_tPvRmT1_T2_T3_mmT4_T5_P12ihipStream_tbEUlRKiE_EESK_SO_SP_mSQ_ST_bEUlT_E_NS1_11comp_targetILNS1_3genE0ELNS1_11target_archE4294967295ELNS1_3gpuE0ELNS1_3repE0EEENS1_30default_config_static_selectorELNS0_4arch9wavefront6targetE0EEEvSN_
                                        ; -- End function
	.section	.AMDGPU.csdata,"",@progbits
; Kernel info:
; codeLenInByte = 0
; NumSgprs: 0
; NumVgprs: 0
; ScratchSize: 0
; MemoryBound: 0
; FloatMode: 240
; IeeeMode: 1
; LDSByteSize: 0 bytes/workgroup (compile time only)
; SGPRBlocks: 0
; VGPRBlocks: 0
; NumSGPRsForWavesPerEU: 1
; NumVGPRsForWavesPerEU: 1
; Occupancy: 16
; WaveLimiterHint : 0
; COMPUTE_PGM_RSRC2:SCRATCH_EN: 0
; COMPUTE_PGM_RSRC2:USER_SGPR: 15
; COMPUTE_PGM_RSRC2:TRAP_HANDLER: 0
; COMPUTE_PGM_RSRC2:TGID_X_EN: 1
; COMPUTE_PGM_RSRC2:TGID_Y_EN: 0
; COMPUTE_PGM_RSRC2:TGID_Z_EN: 0
; COMPUTE_PGM_RSRC2:TIDIG_COMP_CNT: 0
	.section	.text._ZN7rocprim17ROCPRIM_400000_NS6detail17trampoline_kernelINS0_14default_configENS1_27lower_bound_config_selectorIilEEZNS1_14transform_implILb0ES3_S5_N6thrust23THRUST_200600_302600_NS17counting_iteratorIiNS8_11use_defaultESA_SA_EEPlZNS1_13binary_searchIS3_S5_PiSB_SC_NS1_21lower_bound_search_opENS8_6detail16wrapped_functionI11custom_lessbEEEE10hipError_tPvRmT1_T2_T3_mmT4_T5_P12ihipStream_tbEUlRKiE_EESK_SO_SP_mSQ_ST_bEUlT_E_NS1_11comp_targetILNS1_3genE5ELNS1_11target_archE942ELNS1_3gpuE9ELNS1_3repE0EEENS1_30default_config_static_selectorELNS0_4arch9wavefront6targetE0EEEvSN_,"axG",@progbits,_ZN7rocprim17ROCPRIM_400000_NS6detail17trampoline_kernelINS0_14default_configENS1_27lower_bound_config_selectorIilEEZNS1_14transform_implILb0ES3_S5_N6thrust23THRUST_200600_302600_NS17counting_iteratorIiNS8_11use_defaultESA_SA_EEPlZNS1_13binary_searchIS3_S5_PiSB_SC_NS1_21lower_bound_search_opENS8_6detail16wrapped_functionI11custom_lessbEEEE10hipError_tPvRmT1_T2_T3_mmT4_T5_P12ihipStream_tbEUlRKiE_EESK_SO_SP_mSQ_ST_bEUlT_E_NS1_11comp_targetILNS1_3genE5ELNS1_11target_archE942ELNS1_3gpuE9ELNS1_3repE0EEENS1_30default_config_static_selectorELNS0_4arch9wavefront6targetE0EEEvSN_,comdat
	.protected	_ZN7rocprim17ROCPRIM_400000_NS6detail17trampoline_kernelINS0_14default_configENS1_27lower_bound_config_selectorIilEEZNS1_14transform_implILb0ES3_S5_N6thrust23THRUST_200600_302600_NS17counting_iteratorIiNS8_11use_defaultESA_SA_EEPlZNS1_13binary_searchIS3_S5_PiSB_SC_NS1_21lower_bound_search_opENS8_6detail16wrapped_functionI11custom_lessbEEEE10hipError_tPvRmT1_T2_T3_mmT4_T5_P12ihipStream_tbEUlRKiE_EESK_SO_SP_mSQ_ST_bEUlT_E_NS1_11comp_targetILNS1_3genE5ELNS1_11target_archE942ELNS1_3gpuE9ELNS1_3repE0EEENS1_30default_config_static_selectorELNS0_4arch9wavefront6targetE0EEEvSN_ ; -- Begin function _ZN7rocprim17ROCPRIM_400000_NS6detail17trampoline_kernelINS0_14default_configENS1_27lower_bound_config_selectorIilEEZNS1_14transform_implILb0ES3_S5_N6thrust23THRUST_200600_302600_NS17counting_iteratorIiNS8_11use_defaultESA_SA_EEPlZNS1_13binary_searchIS3_S5_PiSB_SC_NS1_21lower_bound_search_opENS8_6detail16wrapped_functionI11custom_lessbEEEE10hipError_tPvRmT1_T2_T3_mmT4_T5_P12ihipStream_tbEUlRKiE_EESK_SO_SP_mSQ_ST_bEUlT_E_NS1_11comp_targetILNS1_3genE5ELNS1_11target_archE942ELNS1_3gpuE9ELNS1_3repE0EEENS1_30default_config_static_selectorELNS0_4arch9wavefront6targetE0EEEvSN_
	.globl	_ZN7rocprim17ROCPRIM_400000_NS6detail17trampoline_kernelINS0_14default_configENS1_27lower_bound_config_selectorIilEEZNS1_14transform_implILb0ES3_S5_N6thrust23THRUST_200600_302600_NS17counting_iteratorIiNS8_11use_defaultESA_SA_EEPlZNS1_13binary_searchIS3_S5_PiSB_SC_NS1_21lower_bound_search_opENS8_6detail16wrapped_functionI11custom_lessbEEEE10hipError_tPvRmT1_T2_T3_mmT4_T5_P12ihipStream_tbEUlRKiE_EESK_SO_SP_mSQ_ST_bEUlT_E_NS1_11comp_targetILNS1_3genE5ELNS1_11target_archE942ELNS1_3gpuE9ELNS1_3repE0EEENS1_30default_config_static_selectorELNS0_4arch9wavefront6targetE0EEEvSN_
	.p2align	8
	.type	_ZN7rocprim17ROCPRIM_400000_NS6detail17trampoline_kernelINS0_14default_configENS1_27lower_bound_config_selectorIilEEZNS1_14transform_implILb0ES3_S5_N6thrust23THRUST_200600_302600_NS17counting_iteratorIiNS8_11use_defaultESA_SA_EEPlZNS1_13binary_searchIS3_S5_PiSB_SC_NS1_21lower_bound_search_opENS8_6detail16wrapped_functionI11custom_lessbEEEE10hipError_tPvRmT1_T2_T3_mmT4_T5_P12ihipStream_tbEUlRKiE_EESK_SO_SP_mSQ_ST_bEUlT_E_NS1_11comp_targetILNS1_3genE5ELNS1_11target_archE942ELNS1_3gpuE9ELNS1_3repE0EEENS1_30default_config_static_selectorELNS0_4arch9wavefront6targetE0EEEvSN_,@function
_ZN7rocprim17ROCPRIM_400000_NS6detail17trampoline_kernelINS0_14default_configENS1_27lower_bound_config_selectorIilEEZNS1_14transform_implILb0ES3_S5_N6thrust23THRUST_200600_302600_NS17counting_iteratorIiNS8_11use_defaultESA_SA_EEPlZNS1_13binary_searchIS3_S5_PiSB_SC_NS1_21lower_bound_search_opENS8_6detail16wrapped_functionI11custom_lessbEEEE10hipError_tPvRmT1_T2_T3_mmT4_T5_P12ihipStream_tbEUlRKiE_EESK_SO_SP_mSQ_ST_bEUlT_E_NS1_11comp_targetILNS1_3genE5ELNS1_11target_archE942ELNS1_3gpuE9ELNS1_3repE0EEENS1_30default_config_static_selectorELNS0_4arch9wavefront6targetE0EEEvSN_: ; @_ZN7rocprim17ROCPRIM_400000_NS6detail17trampoline_kernelINS0_14default_configENS1_27lower_bound_config_selectorIilEEZNS1_14transform_implILb0ES3_S5_N6thrust23THRUST_200600_302600_NS17counting_iteratorIiNS8_11use_defaultESA_SA_EEPlZNS1_13binary_searchIS3_S5_PiSB_SC_NS1_21lower_bound_search_opENS8_6detail16wrapped_functionI11custom_lessbEEEE10hipError_tPvRmT1_T2_T3_mmT4_T5_P12ihipStream_tbEUlRKiE_EESK_SO_SP_mSQ_ST_bEUlT_E_NS1_11comp_targetILNS1_3genE5ELNS1_11target_archE942ELNS1_3gpuE9ELNS1_3repE0EEENS1_30default_config_static_selectorELNS0_4arch9wavefront6targetE0EEEvSN_
; %bb.0:
	.section	.rodata,"a",@progbits
	.p2align	6, 0x0
	.amdhsa_kernel _ZN7rocprim17ROCPRIM_400000_NS6detail17trampoline_kernelINS0_14default_configENS1_27lower_bound_config_selectorIilEEZNS1_14transform_implILb0ES3_S5_N6thrust23THRUST_200600_302600_NS17counting_iteratorIiNS8_11use_defaultESA_SA_EEPlZNS1_13binary_searchIS3_S5_PiSB_SC_NS1_21lower_bound_search_opENS8_6detail16wrapped_functionI11custom_lessbEEEE10hipError_tPvRmT1_T2_T3_mmT4_T5_P12ihipStream_tbEUlRKiE_EESK_SO_SP_mSQ_ST_bEUlT_E_NS1_11comp_targetILNS1_3genE5ELNS1_11target_archE942ELNS1_3gpuE9ELNS1_3repE0EEENS1_30default_config_static_selectorELNS0_4arch9wavefront6targetE0EEEvSN_
		.amdhsa_group_segment_fixed_size 0
		.amdhsa_private_segment_fixed_size 0
		.amdhsa_kernarg_size 56
		.amdhsa_user_sgpr_count 15
		.amdhsa_user_sgpr_dispatch_ptr 0
		.amdhsa_user_sgpr_queue_ptr 0
		.amdhsa_user_sgpr_kernarg_segment_ptr 1
		.amdhsa_user_sgpr_dispatch_id 0
		.amdhsa_user_sgpr_private_segment_size 0
		.amdhsa_wavefront_size32 1
		.amdhsa_uses_dynamic_stack 0
		.amdhsa_enable_private_segment 0
		.amdhsa_system_sgpr_workgroup_id_x 1
		.amdhsa_system_sgpr_workgroup_id_y 0
		.amdhsa_system_sgpr_workgroup_id_z 0
		.amdhsa_system_sgpr_workgroup_info 0
		.amdhsa_system_vgpr_workitem_id 0
		.amdhsa_next_free_vgpr 1
		.amdhsa_next_free_sgpr 1
		.amdhsa_reserve_vcc 0
		.amdhsa_float_round_mode_32 0
		.amdhsa_float_round_mode_16_64 0
		.amdhsa_float_denorm_mode_32 3
		.amdhsa_float_denorm_mode_16_64 3
		.amdhsa_dx10_clamp 1
		.amdhsa_ieee_mode 1
		.amdhsa_fp16_overflow 0
		.amdhsa_workgroup_processor_mode 1
		.amdhsa_memory_ordered 1
		.amdhsa_forward_progress 0
		.amdhsa_shared_vgpr_count 0
		.amdhsa_exception_fp_ieee_invalid_op 0
		.amdhsa_exception_fp_denorm_src 0
		.amdhsa_exception_fp_ieee_div_zero 0
		.amdhsa_exception_fp_ieee_overflow 0
		.amdhsa_exception_fp_ieee_underflow 0
		.amdhsa_exception_fp_ieee_inexact 0
		.amdhsa_exception_int_div_zero 0
	.end_amdhsa_kernel
	.section	.text._ZN7rocprim17ROCPRIM_400000_NS6detail17trampoline_kernelINS0_14default_configENS1_27lower_bound_config_selectorIilEEZNS1_14transform_implILb0ES3_S5_N6thrust23THRUST_200600_302600_NS17counting_iteratorIiNS8_11use_defaultESA_SA_EEPlZNS1_13binary_searchIS3_S5_PiSB_SC_NS1_21lower_bound_search_opENS8_6detail16wrapped_functionI11custom_lessbEEEE10hipError_tPvRmT1_T2_T3_mmT4_T5_P12ihipStream_tbEUlRKiE_EESK_SO_SP_mSQ_ST_bEUlT_E_NS1_11comp_targetILNS1_3genE5ELNS1_11target_archE942ELNS1_3gpuE9ELNS1_3repE0EEENS1_30default_config_static_selectorELNS0_4arch9wavefront6targetE0EEEvSN_,"axG",@progbits,_ZN7rocprim17ROCPRIM_400000_NS6detail17trampoline_kernelINS0_14default_configENS1_27lower_bound_config_selectorIilEEZNS1_14transform_implILb0ES3_S5_N6thrust23THRUST_200600_302600_NS17counting_iteratorIiNS8_11use_defaultESA_SA_EEPlZNS1_13binary_searchIS3_S5_PiSB_SC_NS1_21lower_bound_search_opENS8_6detail16wrapped_functionI11custom_lessbEEEE10hipError_tPvRmT1_T2_T3_mmT4_T5_P12ihipStream_tbEUlRKiE_EESK_SO_SP_mSQ_ST_bEUlT_E_NS1_11comp_targetILNS1_3genE5ELNS1_11target_archE942ELNS1_3gpuE9ELNS1_3repE0EEENS1_30default_config_static_selectorELNS0_4arch9wavefront6targetE0EEEvSN_,comdat
.Lfunc_end69:
	.size	_ZN7rocprim17ROCPRIM_400000_NS6detail17trampoline_kernelINS0_14default_configENS1_27lower_bound_config_selectorIilEEZNS1_14transform_implILb0ES3_S5_N6thrust23THRUST_200600_302600_NS17counting_iteratorIiNS8_11use_defaultESA_SA_EEPlZNS1_13binary_searchIS3_S5_PiSB_SC_NS1_21lower_bound_search_opENS8_6detail16wrapped_functionI11custom_lessbEEEE10hipError_tPvRmT1_T2_T3_mmT4_T5_P12ihipStream_tbEUlRKiE_EESK_SO_SP_mSQ_ST_bEUlT_E_NS1_11comp_targetILNS1_3genE5ELNS1_11target_archE942ELNS1_3gpuE9ELNS1_3repE0EEENS1_30default_config_static_selectorELNS0_4arch9wavefront6targetE0EEEvSN_, .Lfunc_end69-_ZN7rocprim17ROCPRIM_400000_NS6detail17trampoline_kernelINS0_14default_configENS1_27lower_bound_config_selectorIilEEZNS1_14transform_implILb0ES3_S5_N6thrust23THRUST_200600_302600_NS17counting_iteratorIiNS8_11use_defaultESA_SA_EEPlZNS1_13binary_searchIS3_S5_PiSB_SC_NS1_21lower_bound_search_opENS8_6detail16wrapped_functionI11custom_lessbEEEE10hipError_tPvRmT1_T2_T3_mmT4_T5_P12ihipStream_tbEUlRKiE_EESK_SO_SP_mSQ_ST_bEUlT_E_NS1_11comp_targetILNS1_3genE5ELNS1_11target_archE942ELNS1_3gpuE9ELNS1_3repE0EEENS1_30default_config_static_selectorELNS0_4arch9wavefront6targetE0EEEvSN_
                                        ; -- End function
	.section	.AMDGPU.csdata,"",@progbits
; Kernel info:
; codeLenInByte = 0
; NumSgprs: 0
; NumVgprs: 0
; ScratchSize: 0
; MemoryBound: 0
; FloatMode: 240
; IeeeMode: 1
; LDSByteSize: 0 bytes/workgroup (compile time only)
; SGPRBlocks: 0
; VGPRBlocks: 0
; NumSGPRsForWavesPerEU: 1
; NumVGPRsForWavesPerEU: 1
; Occupancy: 16
; WaveLimiterHint : 0
; COMPUTE_PGM_RSRC2:SCRATCH_EN: 0
; COMPUTE_PGM_RSRC2:USER_SGPR: 15
; COMPUTE_PGM_RSRC2:TRAP_HANDLER: 0
; COMPUTE_PGM_RSRC2:TGID_X_EN: 1
; COMPUTE_PGM_RSRC2:TGID_Y_EN: 0
; COMPUTE_PGM_RSRC2:TGID_Z_EN: 0
; COMPUTE_PGM_RSRC2:TIDIG_COMP_CNT: 0
	.section	.text._ZN7rocprim17ROCPRIM_400000_NS6detail17trampoline_kernelINS0_14default_configENS1_27lower_bound_config_selectorIilEEZNS1_14transform_implILb0ES3_S5_N6thrust23THRUST_200600_302600_NS17counting_iteratorIiNS8_11use_defaultESA_SA_EEPlZNS1_13binary_searchIS3_S5_PiSB_SC_NS1_21lower_bound_search_opENS8_6detail16wrapped_functionI11custom_lessbEEEE10hipError_tPvRmT1_T2_T3_mmT4_T5_P12ihipStream_tbEUlRKiE_EESK_SO_SP_mSQ_ST_bEUlT_E_NS1_11comp_targetILNS1_3genE4ELNS1_11target_archE910ELNS1_3gpuE8ELNS1_3repE0EEENS1_30default_config_static_selectorELNS0_4arch9wavefront6targetE0EEEvSN_,"axG",@progbits,_ZN7rocprim17ROCPRIM_400000_NS6detail17trampoline_kernelINS0_14default_configENS1_27lower_bound_config_selectorIilEEZNS1_14transform_implILb0ES3_S5_N6thrust23THRUST_200600_302600_NS17counting_iteratorIiNS8_11use_defaultESA_SA_EEPlZNS1_13binary_searchIS3_S5_PiSB_SC_NS1_21lower_bound_search_opENS8_6detail16wrapped_functionI11custom_lessbEEEE10hipError_tPvRmT1_T2_T3_mmT4_T5_P12ihipStream_tbEUlRKiE_EESK_SO_SP_mSQ_ST_bEUlT_E_NS1_11comp_targetILNS1_3genE4ELNS1_11target_archE910ELNS1_3gpuE8ELNS1_3repE0EEENS1_30default_config_static_selectorELNS0_4arch9wavefront6targetE0EEEvSN_,comdat
	.protected	_ZN7rocprim17ROCPRIM_400000_NS6detail17trampoline_kernelINS0_14default_configENS1_27lower_bound_config_selectorIilEEZNS1_14transform_implILb0ES3_S5_N6thrust23THRUST_200600_302600_NS17counting_iteratorIiNS8_11use_defaultESA_SA_EEPlZNS1_13binary_searchIS3_S5_PiSB_SC_NS1_21lower_bound_search_opENS8_6detail16wrapped_functionI11custom_lessbEEEE10hipError_tPvRmT1_T2_T3_mmT4_T5_P12ihipStream_tbEUlRKiE_EESK_SO_SP_mSQ_ST_bEUlT_E_NS1_11comp_targetILNS1_3genE4ELNS1_11target_archE910ELNS1_3gpuE8ELNS1_3repE0EEENS1_30default_config_static_selectorELNS0_4arch9wavefront6targetE0EEEvSN_ ; -- Begin function _ZN7rocprim17ROCPRIM_400000_NS6detail17trampoline_kernelINS0_14default_configENS1_27lower_bound_config_selectorIilEEZNS1_14transform_implILb0ES3_S5_N6thrust23THRUST_200600_302600_NS17counting_iteratorIiNS8_11use_defaultESA_SA_EEPlZNS1_13binary_searchIS3_S5_PiSB_SC_NS1_21lower_bound_search_opENS8_6detail16wrapped_functionI11custom_lessbEEEE10hipError_tPvRmT1_T2_T3_mmT4_T5_P12ihipStream_tbEUlRKiE_EESK_SO_SP_mSQ_ST_bEUlT_E_NS1_11comp_targetILNS1_3genE4ELNS1_11target_archE910ELNS1_3gpuE8ELNS1_3repE0EEENS1_30default_config_static_selectorELNS0_4arch9wavefront6targetE0EEEvSN_
	.globl	_ZN7rocprim17ROCPRIM_400000_NS6detail17trampoline_kernelINS0_14default_configENS1_27lower_bound_config_selectorIilEEZNS1_14transform_implILb0ES3_S5_N6thrust23THRUST_200600_302600_NS17counting_iteratorIiNS8_11use_defaultESA_SA_EEPlZNS1_13binary_searchIS3_S5_PiSB_SC_NS1_21lower_bound_search_opENS8_6detail16wrapped_functionI11custom_lessbEEEE10hipError_tPvRmT1_T2_T3_mmT4_T5_P12ihipStream_tbEUlRKiE_EESK_SO_SP_mSQ_ST_bEUlT_E_NS1_11comp_targetILNS1_3genE4ELNS1_11target_archE910ELNS1_3gpuE8ELNS1_3repE0EEENS1_30default_config_static_selectorELNS0_4arch9wavefront6targetE0EEEvSN_
	.p2align	8
	.type	_ZN7rocprim17ROCPRIM_400000_NS6detail17trampoline_kernelINS0_14default_configENS1_27lower_bound_config_selectorIilEEZNS1_14transform_implILb0ES3_S5_N6thrust23THRUST_200600_302600_NS17counting_iteratorIiNS8_11use_defaultESA_SA_EEPlZNS1_13binary_searchIS3_S5_PiSB_SC_NS1_21lower_bound_search_opENS8_6detail16wrapped_functionI11custom_lessbEEEE10hipError_tPvRmT1_T2_T3_mmT4_T5_P12ihipStream_tbEUlRKiE_EESK_SO_SP_mSQ_ST_bEUlT_E_NS1_11comp_targetILNS1_3genE4ELNS1_11target_archE910ELNS1_3gpuE8ELNS1_3repE0EEENS1_30default_config_static_selectorELNS0_4arch9wavefront6targetE0EEEvSN_,@function
_ZN7rocprim17ROCPRIM_400000_NS6detail17trampoline_kernelINS0_14default_configENS1_27lower_bound_config_selectorIilEEZNS1_14transform_implILb0ES3_S5_N6thrust23THRUST_200600_302600_NS17counting_iteratorIiNS8_11use_defaultESA_SA_EEPlZNS1_13binary_searchIS3_S5_PiSB_SC_NS1_21lower_bound_search_opENS8_6detail16wrapped_functionI11custom_lessbEEEE10hipError_tPvRmT1_T2_T3_mmT4_T5_P12ihipStream_tbEUlRKiE_EESK_SO_SP_mSQ_ST_bEUlT_E_NS1_11comp_targetILNS1_3genE4ELNS1_11target_archE910ELNS1_3gpuE8ELNS1_3repE0EEENS1_30default_config_static_selectorELNS0_4arch9wavefront6targetE0EEEvSN_: ; @_ZN7rocprim17ROCPRIM_400000_NS6detail17trampoline_kernelINS0_14default_configENS1_27lower_bound_config_selectorIilEEZNS1_14transform_implILb0ES3_S5_N6thrust23THRUST_200600_302600_NS17counting_iteratorIiNS8_11use_defaultESA_SA_EEPlZNS1_13binary_searchIS3_S5_PiSB_SC_NS1_21lower_bound_search_opENS8_6detail16wrapped_functionI11custom_lessbEEEE10hipError_tPvRmT1_T2_T3_mmT4_T5_P12ihipStream_tbEUlRKiE_EESK_SO_SP_mSQ_ST_bEUlT_E_NS1_11comp_targetILNS1_3genE4ELNS1_11target_archE910ELNS1_3gpuE8ELNS1_3repE0EEENS1_30default_config_static_selectorELNS0_4arch9wavefront6targetE0EEEvSN_
; %bb.0:
	.section	.rodata,"a",@progbits
	.p2align	6, 0x0
	.amdhsa_kernel _ZN7rocprim17ROCPRIM_400000_NS6detail17trampoline_kernelINS0_14default_configENS1_27lower_bound_config_selectorIilEEZNS1_14transform_implILb0ES3_S5_N6thrust23THRUST_200600_302600_NS17counting_iteratorIiNS8_11use_defaultESA_SA_EEPlZNS1_13binary_searchIS3_S5_PiSB_SC_NS1_21lower_bound_search_opENS8_6detail16wrapped_functionI11custom_lessbEEEE10hipError_tPvRmT1_T2_T3_mmT4_T5_P12ihipStream_tbEUlRKiE_EESK_SO_SP_mSQ_ST_bEUlT_E_NS1_11comp_targetILNS1_3genE4ELNS1_11target_archE910ELNS1_3gpuE8ELNS1_3repE0EEENS1_30default_config_static_selectorELNS0_4arch9wavefront6targetE0EEEvSN_
		.amdhsa_group_segment_fixed_size 0
		.amdhsa_private_segment_fixed_size 0
		.amdhsa_kernarg_size 56
		.amdhsa_user_sgpr_count 15
		.amdhsa_user_sgpr_dispatch_ptr 0
		.amdhsa_user_sgpr_queue_ptr 0
		.amdhsa_user_sgpr_kernarg_segment_ptr 1
		.amdhsa_user_sgpr_dispatch_id 0
		.amdhsa_user_sgpr_private_segment_size 0
		.amdhsa_wavefront_size32 1
		.amdhsa_uses_dynamic_stack 0
		.amdhsa_enable_private_segment 0
		.amdhsa_system_sgpr_workgroup_id_x 1
		.amdhsa_system_sgpr_workgroup_id_y 0
		.amdhsa_system_sgpr_workgroup_id_z 0
		.amdhsa_system_sgpr_workgroup_info 0
		.amdhsa_system_vgpr_workitem_id 0
		.amdhsa_next_free_vgpr 1
		.amdhsa_next_free_sgpr 1
		.amdhsa_reserve_vcc 0
		.amdhsa_float_round_mode_32 0
		.amdhsa_float_round_mode_16_64 0
		.amdhsa_float_denorm_mode_32 3
		.amdhsa_float_denorm_mode_16_64 3
		.amdhsa_dx10_clamp 1
		.amdhsa_ieee_mode 1
		.amdhsa_fp16_overflow 0
		.amdhsa_workgroup_processor_mode 1
		.amdhsa_memory_ordered 1
		.amdhsa_forward_progress 0
		.amdhsa_shared_vgpr_count 0
		.amdhsa_exception_fp_ieee_invalid_op 0
		.amdhsa_exception_fp_denorm_src 0
		.amdhsa_exception_fp_ieee_div_zero 0
		.amdhsa_exception_fp_ieee_overflow 0
		.amdhsa_exception_fp_ieee_underflow 0
		.amdhsa_exception_fp_ieee_inexact 0
		.amdhsa_exception_int_div_zero 0
	.end_amdhsa_kernel
	.section	.text._ZN7rocprim17ROCPRIM_400000_NS6detail17trampoline_kernelINS0_14default_configENS1_27lower_bound_config_selectorIilEEZNS1_14transform_implILb0ES3_S5_N6thrust23THRUST_200600_302600_NS17counting_iteratorIiNS8_11use_defaultESA_SA_EEPlZNS1_13binary_searchIS3_S5_PiSB_SC_NS1_21lower_bound_search_opENS8_6detail16wrapped_functionI11custom_lessbEEEE10hipError_tPvRmT1_T2_T3_mmT4_T5_P12ihipStream_tbEUlRKiE_EESK_SO_SP_mSQ_ST_bEUlT_E_NS1_11comp_targetILNS1_3genE4ELNS1_11target_archE910ELNS1_3gpuE8ELNS1_3repE0EEENS1_30default_config_static_selectorELNS0_4arch9wavefront6targetE0EEEvSN_,"axG",@progbits,_ZN7rocprim17ROCPRIM_400000_NS6detail17trampoline_kernelINS0_14default_configENS1_27lower_bound_config_selectorIilEEZNS1_14transform_implILb0ES3_S5_N6thrust23THRUST_200600_302600_NS17counting_iteratorIiNS8_11use_defaultESA_SA_EEPlZNS1_13binary_searchIS3_S5_PiSB_SC_NS1_21lower_bound_search_opENS8_6detail16wrapped_functionI11custom_lessbEEEE10hipError_tPvRmT1_T2_T3_mmT4_T5_P12ihipStream_tbEUlRKiE_EESK_SO_SP_mSQ_ST_bEUlT_E_NS1_11comp_targetILNS1_3genE4ELNS1_11target_archE910ELNS1_3gpuE8ELNS1_3repE0EEENS1_30default_config_static_selectorELNS0_4arch9wavefront6targetE0EEEvSN_,comdat
.Lfunc_end70:
	.size	_ZN7rocprim17ROCPRIM_400000_NS6detail17trampoline_kernelINS0_14default_configENS1_27lower_bound_config_selectorIilEEZNS1_14transform_implILb0ES3_S5_N6thrust23THRUST_200600_302600_NS17counting_iteratorIiNS8_11use_defaultESA_SA_EEPlZNS1_13binary_searchIS3_S5_PiSB_SC_NS1_21lower_bound_search_opENS8_6detail16wrapped_functionI11custom_lessbEEEE10hipError_tPvRmT1_T2_T3_mmT4_T5_P12ihipStream_tbEUlRKiE_EESK_SO_SP_mSQ_ST_bEUlT_E_NS1_11comp_targetILNS1_3genE4ELNS1_11target_archE910ELNS1_3gpuE8ELNS1_3repE0EEENS1_30default_config_static_selectorELNS0_4arch9wavefront6targetE0EEEvSN_, .Lfunc_end70-_ZN7rocprim17ROCPRIM_400000_NS6detail17trampoline_kernelINS0_14default_configENS1_27lower_bound_config_selectorIilEEZNS1_14transform_implILb0ES3_S5_N6thrust23THRUST_200600_302600_NS17counting_iteratorIiNS8_11use_defaultESA_SA_EEPlZNS1_13binary_searchIS3_S5_PiSB_SC_NS1_21lower_bound_search_opENS8_6detail16wrapped_functionI11custom_lessbEEEE10hipError_tPvRmT1_T2_T3_mmT4_T5_P12ihipStream_tbEUlRKiE_EESK_SO_SP_mSQ_ST_bEUlT_E_NS1_11comp_targetILNS1_3genE4ELNS1_11target_archE910ELNS1_3gpuE8ELNS1_3repE0EEENS1_30default_config_static_selectorELNS0_4arch9wavefront6targetE0EEEvSN_
                                        ; -- End function
	.section	.AMDGPU.csdata,"",@progbits
; Kernel info:
; codeLenInByte = 0
; NumSgprs: 0
; NumVgprs: 0
; ScratchSize: 0
; MemoryBound: 0
; FloatMode: 240
; IeeeMode: 1
; LDSByteSize: 0 bytes/workgroup (compile time only)
; SGPRBlocks: 0
; VGPRBlocks: 0
; NumSGPRsForWavesPerEU: 1
; NumVGPRsForWavesPerEU: 1
; Occupancy: 16
; WaveLimiterHint : 0
; COMPUTE_PGM_RSRC2:SCRATCH_EN: 0
; COMPUTE_PGM_RSRC2:USER_SGPR: 15
; COMPUTE_PGM_RSRC2:TRAP_HANDLER: 0
; COMPUTE_PGM_RSRC2:TGID_X_EN: 1
; COMPUTE_PGM_RSRC2:TGID_Y_EN: 0
; COMPUTE_PGM_RSRC2:TGID_Z_EN: 0
; COMPUTE_PGM_RSRC2:TIDIG_COMP_CNT: 0
	.section	.text._ZN7rocprim17ROCPRIM_400000_NS6detail17trampoline_kernelINS0_14default_configENS1_27lower_bound_config_selectorIilEEZNS1_14transform_implILb0ES3_S5_N6thrust23THRUST_200600_302600_NS17counting_iteratorIiNS8_11use_defaultESA_SA_EEPlZNS1_13binary_searchIS3_S5_PiSB_SC_NS1_21lower_bound_search_opENS8_6detail16wrapped_functionI11custom_lessbEEEE10hipError_tPvRmT1_T2_T3_mmT4_T5_P12ihipStream_tbEUlRKiE_EESK_SO_SP_mSQ_ST_bEUlT_E_NS1_11comp_targetILNS1_3genE3ELNS1_11target_archE908ELNS1_3gpuE7ELNS1_3repE0EEENS1_30default_config_static_selectorELNS0_4arch9wavefront6targetE0EEEvSN_,"axG",@progbits,_ZN7rocprim17ROCPRIM_400000_NS6detail17trampoline_kernelINS0_14default_configENS1_27lower_bound_config_selectorIilEEZNS1_14transform_implILb0ES3_S5_N6thrust23THRUST_200600_302600_NS17counting_iteratorIiNS8_11use_defaultESA_SA_EEPlZNS1_13binary_searchIS3_S5_PiSB_SC_NS1_21lower_bound_search_opENS8_6detail16wrapped_functionI11custom_lessbEEEE10hipError_tPvRmT1_T2_T3_mmT4_T5_P12ihipStream_tbEUlRKiE_EESK_SO_SP_mSQ_ST_bEUlT_E_NS1_11comp_targetILNS1_3genE3ELNS1_11target_archE908ELNS1_3gpuE7ELNS1_3repE0EEENS1_30default_config_static_selectorELNS0_4arch9wavefront6targetE0EEEvSN_,comdat
	.protected	_ZN7rocprim17ROCPRIM_400000_NS6detail17trampoline_kernelINS0_14default_configENS1_27lower_bound_config_selectorIilEEZNS1_14transform_implILb0ES3_S5_N6thrust23THRUST_200600_302600_NS17counting_iteratorIiNS8_11use_defaultESA_SA_EEPlZNS1_13binary_searchIS3_S5_PiSB_SC_NS1_21lower_bound_search_opENS8_6detail16wrapped_functionI11custom_lessbEEEE10hipError_tPvRmT1_T2_T3_mmT4_T5_P12ihipStream_tbEUlRKiE_EESK_SO_SP_mSQ_ST_bEUlT_E_NS1_11comp_targetILNS1_3genE3ELNS1_11target_archE908ELNS1_3gpuE7ELNS1_3repE0EEENS1_30default_config_static_selectorELNS0_4arch9wavefront6targetE0EEEvSN_ ; -- Begin function _ZN7rocprim17ROCPRIM_400000_NS6detail17trampoline_kernelINS0_14default_configENS1_27lower_bound_config_selectorIilEEZNS1_14transform_implILb0ES3_S5_N6thrust23THRUST_200600_302600_NS17counting_iteratorIiNS8_11use_defaultESA_SA_EEPlZNS1_13binary_searchIS3_S5_PiSB_SC_NS1_21lower_bound_search_opENS8_6detail16wrapped_functionI11custom_lessbEEEE10hipError_tPvRmT1_T2_T3_mmT4_T5_P12ihipStream_tbEUlRKiE_EESK_SO_SP_mSQ_ST_bEUlT_E_NS1_11comp_targetILNS1_3genE3ELNS1_11target_archE908ELNS1_3gpuE7ELNS1_3repE0EEENS1_30default_config_static_selectorELNS0_4arch9wavefront6targetE0EEEvSN_
	.globl	_ZN7rocprim17ROCPRIM_400000_NS6detail17trampoline_kernelINS0_14default_configENS1_27lower_bound_config_selectorIilEEZNS1_14transform_implILb0ES3_S5_N6thrust23THRUST_200600_302600_NS17counting_iteratorIiNS8_11use_defaultESA_SA_EEPlZNS1_13binary_searchIS3_S5_PiSB_SC_NS1_21lower_bound_search_opENS8_6detail16wrapped_functionI11custom_lessbEEEE10hipError_tPvRmT1_T2_T3_mmT4_T5_P12ihipStream_tbEUlRKiE_EESK_SO_SP_mSQ_ST_bEUlT_E_NS1_11comp_targetILNS1_3genE3ELNS1_11target_archE908ELNS1_3gpuE7ELNS1_3repE0EEENS1_30default_config_static_selectorELNS0_4arch9wavefront6targetE0EEEvSN_
	.p2align	8
	.type	_ZN7rocprim17ROCPRIM_400000_NS6detail17trampoline_kernelINS0_14default_configENS1_27lower_bound_config_selectorIilEEZNS1_14transform_implILb0ES3_S5_N6thrust23THRUST_200600_302600_NS17counting_iteratorIiNS8_11use_defaultESA_SA_EEPlZNS1_13binary_searchIS3_S5_PiSB_SC_NS1_21lower_bound_search_opENS8_6detail16wrapped_functionI11custom_lessbEEEE10hipError_tPvRmT1_T2_T3_mmT4_T5_P12ihipStream_tbEUlRKiE_EESK_SO_SP_mSQ_ST_bEUlT_E_NS1_11comp_targetILNS1_3genE3ELNS1_11target_archE908ELNS1_3gpuE7ELNS1_3repE0EEENS1_30default_config_static_selectorELNS0_4arch9wavefront6targetE0EEEvSN_,@function
_ZN7rocprim17ROCPRIM_400000_NS6detail17trampoline_kernelINS0_14default_configENS1_27lower_bound_config_selectorIilEEZNS1_14transform_implILb0ES3_S5_N6thrust23THRUST_200600_302600_NS17counting_iteratorIiNS8_11use_defaultESA_SA_EEPlZNS1_13binary_searchIS3_S5_PiSB_SC_NS1_21lower_bound_search_opENS8_6detail16wrapped_functionI11custom_lessbEEEE10hipError_tPvRmT1_T2_T3_mmT4_T5_P12ihipStream_tbEUlRKiE_EESK_SO_SP_mSQ_ST_bEUlT_E_NS1_11comp_targetILNS1_3genE3ELNS1_11target_archE908ELNS1_3gpuE7ELNS1_3repE0EEENS1_30default_config_static_selectorELNS0_4arch9wavefront6targetE0EEEvSN_: ; @_ZN7rocprim17ROCPRIM_400000_NS6detail17trampoline_kernelINS0_14default_configENS1_27lower_bound_config_selectorIilEEZNS1_14transform_implILb0ES3_S5_N6thrust23THRUST_200600_302600_NS17counting_iteratorIiNS8_11use_defaultESA_SA_EEPlZNS1_13binary_searchIS3_S5_PiSB_SC_NS1_21lower_bound_search_opENS8_6detail16wrapped_functionI11custom_lessbEEEE10hipError_tPvRmT1_T2_T3_mmT4_T5_P12ihipStream_tbEUlRKiE_EESK_SO_SP_mSQ_ST_bEUlT_E_NS1_11comp_targetILNS1_3genE3ELNS1_11target_archE908ELNS1_3gpuE7ELNS1_3repE0EEENS1_30default_config_static_selectorELNS0_4arch9wavefront6targetE0EEEvSN_
; %bb.0:
	.section	.rodata,"a",@progbits
	.p2align	6, 0x0
	.amdhsa_kernel _ZN7rocprim17ROCPRIM_400000_NS6detail17trampoline_kernelINS0_14default_configENS1_27lower_bound_config_selectorIilEEZNS1_14transform_implILb0ES3_S5_N6thrust23THRUST_200600_302600_NS17counting_iteratorIiNS8_11use_defaultESA_SA_EEPlZNS1_13binary_searchIS3_S5_PiSB_SC_NS1_21lower_bound_search_opENS8_6detail16wrapped_functionI11custom_lessbEEEE10hipError_tPvRmT1_T2_T3_mmT4_T5_P12ihipStream_tbEUlRKiE_EESK_SO_SP_mSQ_ST_bEUlT_E_NS1_11comp_targetILNS1_3genE3ELNS1_11target_archE908ELNS1_3gpuE7ELNS1_3repE0EEENS1_30default_config_static_selectorELNS0_4arch9wavefront6targetE0EEEvSN_
		.amdhsa_group_segment_fixed_size 0
		.amdhsa_private_segment_fixed_size 0
		.amdhsa_kernarg_size 56
		.amdhsa_user_sgpr_count 15
		.amdhsa_user_sgpr_dispatch_ptr 0
		.amdhsa_user_sgpr_queue_ptr 0
		.amdhsa_user_sgpr_kernarg_segment_ptr 1
		.amdhsa_user_sgpr_dispatch_id 0
		.amdhsa_user_sgpr_private_segment_size 0
		.amdhsa_wavefront_size32 1
		.amdhsa_uses_dynamic_stack 0
		.amdhsa_enable_private_segment 0
		.amdhsa_system_sgpr_workgroup_id_x 1
		.amdhsa_system_sgpr_workgroup_id_y 0
		.amdhsa_system_sgpr_workgroup_id_z 0
		.amdhsa_system_sgpr_workgroup_info 0
		.amdhsa_system_vgpr_workitem_id 0
		.amdhsa_next_free_vgpr 1
		.amdhsa_next_free_sgpr 1
		.amdhsa_reserve_vcc 0
		.amdhsa_float_round_mode_32 0
		.amdhsa_float_round_mode_16_64 0
		.amdhsa_float_denorm_mode_32 3
		.amdhsa_float_denorm_mode_16_64 3
		.amdhsa_dx10_clamp 1
		.amdhsa_ieee_mode 1
		.amdhsa_fp16_overflow 0
		.amdhsa_workgroup_processor_mode 1
		.amdhsa_memory_ordered 1
		.amdhsa_forward_progress 0
		.amdhsa_shared_vgpr_count 0
		.amdhsa_exception_fp_ieee_invalid_op 0
		.amdhsa_exception_fp_denorm_src 0
		.amdhsa_exception_fp_ieee_div_zero 0
		.amdhsa_exception_fp_ieee_overflow 0
		.amdhsa_exception_fp_ieee_underflow 0
		.amdhsa_exception_fp_ieee_inexact 0
		.amdhsa_exception_int_div_zero 0
	.end_amdhsa_kernel
	.section	.text._ZN7rocprim17ROCPRIM_400000_NS6detail17trampoline_kernelINS0_14default_configENS1_27lower_bound_config_selectorIilEEZNS1_14transform_implILb0ES3_S5_N6thrust23THRUST_200600_302600_NS17counting_iteratorIiNS8_11use_defaultESA_SA_EEPlZNS1_13binary_searchIS3_S5_PiSB_SC_NS1_21lower_bound_search_opENS8_6detail16wrapped_functionI11custom_lessbEEEE10hipError_tPvRmT1_T2_T3_mmT4_T5_P12ihipStream_tbEUlRKiE_EESK_SO_SP_mSQ_ST_bEUlT_E_NS1_11comp_targetILNS1_3genE3ELNS1_11target_archE908ELNS1_3gpuE7ELNS1_3repE0EEENS1_30default_config_static_selectorELNS0_4arch9wavefront6targetE0EEEvSN_,"axG",@progbits,_ZN7rocprim17ROCPRIM_400000_NS6detail17trampoline_kernelINS0_14default_configENS1_27lower_bound_config_selectorIilEEZNS1_14transform_implILb0ES3_S5_N6thrust23THRUST_200600_302600_NS17counting_iteratorIiNS8_11use_defaultESA_SA_EEPlZNS1_13binary_searchIS3_S5_PiSB_SC_NS1_21lower_bound_search_opENS8_6detail16wrapped_functionI11custom_lessbEEEE10hipError_tPvRmT1_T2_T3_mmT4_T5_P12ihipStream_tbEUlRKiE_EESK_SO_SP_mSQ_ST_bEUlT_E_NS1_11comp_targetILNS1_3genE3ELNS1_11target_archE908ELNS1_3gpuE7ELNS1_3repE0EEENS1_30default_config_static_selectorELNS0_4arch9wavefront6targetE0EEEvSN_,comdat
.Lfunc_end71:
	.size	_ZN7rocprim17ROCPRIM_400000_NS6detail17trampoline_kernelINS0_14default_configENS1_27lower_bound_config_selectorIilEEZNS1_14transform_implILb0ES3_S5_N6thrust23THRUST_200600_302600_NS17counting_iteratorIiNS8_11use_defaultESA_SA_EEPlZNS1_13binary_searchIS3_S5_PiSB_SC_NS1_21lower_bound_search_opENS8_6detail16wrapped_functionI11custom_lessbEEEE10hipError_tPvRmT1_T2_T3_mmT4_T5_P12ihipStream_tbEUlRKiE_EESK_SO_SP_mSQ_ST_bEUlT_E_NS1_11comp_targetILNS1_3genE3ELNS1_11target_archE908ELNS1_3gpuE7ELNS1_3repE0EEENS1_30default_config_static_selectorELNS0_4arch9wavefront6targetE0EEEvSN_, .Lfunc_end71-_ZN7rocprim17ROCPRIM_400000_NS6detail17trampoline_kernelINS0_14default_configENS1_27lower_bound_config_selectorIilEEZNS1_14transform_implILb0ES3_S5_N6thrust23THRUST_200600_302600_NS17counting_iteratorIiNS8_11use_defaultESA_SA_EEPlZNS1_13binary_searchIS3_S5_PiSB_SC_NS1_21lower_bound_search_opENS8_6detail16wrapped_functionI11custom_lessbEEEE10hipError_tPvRmT1_T2_T3_mmT4_T5_P12ihipStream_tbEUlRKiE_EESK_SO_SP_mSQ_ST_bEUlT_E_NS1_11comp_targetILNS1_3genE3ELNS1_11target_archE908ELNS1_3gpuE7ELNS1_3repE0EEENS1_30default_config_static_selectorELNS0_4arch9wavefront6targetE0EEEvSN_
                                        ; -- End function
	.section	.AMDGPU.csdata,"",@progbits
; Kernel info:
; codeLenInByte = 0
; NumSgprs: 0
; NumVgprs: 0
; ScratchSize: 0
; MemoryBound: 0
; FloatMode: 240
; IeeeMode: 1
; LDSByteSize: 0 bytes/workgroup (compile time only)
; SGPRBlocks: 0
; VGPRBlocks: 0
; NumSGPRsForWavesPerEU: 1
; NumVGPRsForWavesPerEU: 1
; Occupancy: 16
; WaveLimiterHint : 0
; COMPUTE_PGM_RSRC2:SCRATCH_EN: 0
; COMPUTE_PGM_RSRC2:USER_SGPR: 15
; COMPUTE_PGM_RSRC2:TRAP_HANDLER: 0
; COMPUTE_PGM_RSRC2:TGID_X_EN: 1
; COMPUTE_PGM_RSRC2:TGID_Y_EN: 0
; COMPUTE_PGM_RSRC2:TGID_Z_EN: 0
; COMPUTE_PGM_RSRC2:TIDIG_COMP_CNT: 0
	.section	.text._ZN7rocprim17ROCPRIM_400000_NS6detail17trampoline_kernelINS0_14default_configENS1_27lower_bound_config_selectorIilEEZNS1_14transform_implILb0ES3_S5_N6thrust23THRUST_200600_302600_NS17counting_iteratorIiNS8_11use_defaultESA_SA_EEPlZNS1_13binary_searchIS3_S5_PiSB_SC_NS1_21lower_bound_search_opENS8_6detail16wrapped_functionI11custom_lessbEEEE10hipError_tPvRmT1_T2_T3_mmT4_T5_P12ihipStream_tbEUlRKiE_EESK_SO_SP_mSQ_ST_bEUlT_E_NS1_11comp_targetILNS1_3genE2ELNS1_11target_archE906ELNS1_3gpuE6ELNS1_3repE0EEENS1_30default_config_static_selectorELNS0_4arch9wavefront6targetE0EEEvSN_,"axG",@progbits,_ZN7rocprim17ROCPRIM_400000_NS6detail17trampoline_kernelINS0_14default_configENS1_27lower_bound_config_selectorIilEEZNS1_14transform_implILb0ES3_S5_N6thrust23THRUST_200600_302600_NS17counting_iteratorIiNS8_11use_defaultESA_SA_EEPlZNS1_13binary_searchIS3_S5_PiSB_SC_NS1_21lower_bound_search_opENS8_6detail16wrapped_functionI11custom_lessbEEEE10hipError_tPvRmT1_T2_T3_mmT4_T5_P12ihipStream_tbEUlRKiE_EESK_SO_SP_mSQ_ST_bEUlT_E_NS1_11comp_targetILNS1_3genE2ELNS1_11target_archE906ELNS1_3gpuE6ELNS1_3repE0EEENS1_30default_config_static_selectorELNS0_4arch9wavefront6targetE0EEEvSN_,comdat
	.protected	_ZN7rocprim17ROCPRIM_400000_NS6detail17trampoline_kernelINS0_14default_configENS1_27lower_bound_config_selectorIilEEZNS1_14transform_implILb0ES3_S5_N6thrust23THRUST_200600_302600_NS17counting_iteratorIiNS8_11use_defaultESA_SA_EEPlZNS1_13binary_searchIS3_S5_PiSB_SC_NS1_21lower_bound_search_opENS8_6detail16wrapped_functionI11custom_lessbEEEE10hipError_tPvRmT1_T2_T3_mmT4_T5_P12ihipStream_tbEUlRKiE_EESK_SO_SP_mSQ_ST_bEUlT_E_NS1_11comp_targetILNS1_3genE2ELNS1_11target_archE906ELNS1_3gpuE6ELNS1_3repE0EEENS1_30default_config_static_selectorELNS0_4arch9wavefront6targetE0EEEvSN_ ; -- Begin function _ZN7rocprim17ROCPRIM_400000_NS6detail17trampoline_kernelINS0_14default_configENS1_27lower_bound_config_selectorIilEEZNS1_14transform_implILb0ES3_S5_N6thrust23THRUST_200600_302600_NS17counting_iteratorIiNS8_11use_defaultESA_SA_EEPlZNS1_13binary_searchIS3_S5_PiSB_SC_NS1_21lower_bound_search_opENS8_6detail16wrapped_functionI11custom_lessbEEEE10hipError_tPvRmT1_T2_T3_mmT4_T5_P12ihipStream_tbEUlRKiE_EESK_SO_SP_mSQ_ST_bEUlT_E_NS1_11comp_targetILNS1_3genE2ELNS1_11target_archE906ELNS1_3gpuE6ELNS1_3repE0EEENS1_30default_config_static_selectorELNS0_4arch9wavefront6targetE0EEEvSN_
	.globl	_ZN7rocprim17ROCPRIM_400000_NS6detail17trampoline_kernelINS0_14default_configENS1_27lower_bound_config_selectorIilEEZNS1_14transform_implILb0ES3_S5_N6thrust23THRUST_200600_302600_NS17counting_iteratorIiNS8_11use_defaultESA_SA_EEPlZNS1_13binary_searchIS3_S5_PiSB_SC_NS1_21lower_bound_search_opENS8_6detail16wrapped_functionI11custom_lessbEEEE10hipError_tPvRmT1_T2_T3_mmT4_T5_P12ihipStream_tbEUlRKiE_EESK_SO_SP_mSQ_ST_bEUlT_E_NS1_11comp_targetILNS1_3genE2ELNS1_11target_archE906ELNS1_3gpuE6ELNS1_3repE0EEENS1_30default_config_static_selectorELNS0_4arch9wavefront6targetE0EEEvSN_
	.p2align	8
	.type	_ZN7rocprim17ROCPRIM_400000_NS6detail17trampoline_kernelINS0_14default_configENS1_27lower_bound_config_selectorIilEEZNS1_14transform_implILb0ES3_S5_N6thrust23THRUST_200600_302600_NS17counting_iteratorIiNS8_11use_defaultESA_SA_EEPlZNS1_13binary_searchIS3_S5_PiSB_SC_NS1_21lower_bound_search_opENS8_6detail16wrapped_functionI11custom_lessbEEEE10hipError_tPvRmT1_T2_T3_mmT4_T5_P12ihipStream_tbEUlRKiE_EESK_SO_SP_mSQ_ST_bEUlT_E_NS1_11comp_targetILNS1_3genE2ELNS1_11target_archE906ELNS1_3gpuE6ELNS1_3repE0EEENS1_30default_config_static_selectorELNS0_4arch9wavefront6targetE0EEEvSN_,@function
_ZN7rocprim17ROCPRIM_400000_NS6detail17trampoline_kernelINS0_14default_configENS1_27lower_bound_config_selectorIilEEZNS1_14transform_implILb0ES3_S5_N6thrust23THRUST_200600_302600_NS17counting_iteratorIiNS8_11use_defaultESA_SA_EEPlZNS1_13binary_searchIS3_S5_PiSB_SC_NS1_21lower_bound_search_opENS8_6detail16wrapped_functionI11custom_lessbEEEE10hipError_tPvRmT1_T2_T3_mmT4_T5_P12ihipStream_tbEUlRKiE_EESK_SO_SP_mSQ_ST_bEUlT_E_NS1_11comp_targetILNS1_3genE2ELNS1_11target_archE906ELNS1_3gpuE6ELNS1_3repE0EEENS1_30default_config_static_selectorELNS0_4arch9wavefront6targetE0EEEvSN_: ; @_ZN7rocprim17ROCPRIM_400000_NS6detail17trampoline_kernelINS0_14default_configENS1_27lower_bound_config_selectorIilEEZNS1_14transform_implILb0ES3_S5_N6thrust23THRUST_200600_302600_NS17counting_iteratorIiNS8_11use_defaultESA_SA_EEPlZNS1_13binary_searchIS3_S5_PiSB_SC_NS1_21lower_bound_search_opENS8_6detail16wrapped_functionI11custom_lessbEEEE10hipError_tPvRmT1_T2_T3_mmT4_T5_P12ihipStream_tbEUlRKiE_EESK_SO_SP_mSQ_ST_bEUlT_E_NS1_11comp_targetILNS1_3genE2ELNS1_11target_archE906ELNS1_3gpuE6ELNS1_3repE0EEENS1_30default_config_static_selectorELNS0_4arch9wavefront6targetE0EEEvSN_
; %bb.0:
	.section	.rodata,"a",@progbits
	.p2align	6, 0x0
	.amdhsa_kernel _ZN7rocprim17ROCPRIM_400000_NS6detail17trampoline_kernelINS0_14default_configENS1_27lower_bound_config_selectorIilEEZNS1_14transform_implILb0ES3_S5_N6thrust23THRUST_200600_302600_NS17counting_iteratorIiNS8_11use_defaultESA_SA_EEPlZNS1_13binary_searchIS3_S5_PiSB_SC_NS1_21lower_bound_search_opENS8_6detail16wrapped_functionI11custom_lessbEEEE10hipError_tPvRmT1_T2_T3_mmT4_T5_P12ihipStream_tbEUlRKiE_EESK_SO_SP_mSQ_ST_bEUlT_E_NS1_11comp_targetILNS1_3genE2ELNS1_11target_archE906ELNS1_3gpuE6ELNS1_3repE0EEENS1_30default_config_static_selectorELNS0_4arch9wavefront6targetE0EEEvSN_
		.amdhsa_group_segment_fixed_size 0
		.amdhsa_private_segment_fixed_size 0
		.amdhsa_kernarg_size 56
		.amdhsa_user_sgpr_count 15
		.amdhsa_user_sgpr_dispatch_ptr 0
		.amdhsa_user_sgpr_queue_ptr 0
		.amdhsa_user_sgpr_kernarg_segment_ptr 1
		.amdhsa_user_sgpr_dispatch_id 0
		.amdhsa_user_sgpr_private_segment_size 0
		.amdhsa_wavefront_size32 1
		.amdhsa_uses_dynamic_stack 0
		.amdhsa_enable_private_segment 0
		.amdhsa_system_sgpr_workgroup_id_x 1
		.amdhsa_system_sgpr_workgroup_id_y 0
		.amdhsa_system_sgpr_workgroup_id_z 0
		.amdhsa_system_sgpr_workgroup_info 0
		.amdhsa_system_vgpr_workitem_id 0
		.amdhsa_next_free_vgpr 1
		.amdhsa_next_free_sgpr 1
		.amdhsa_reserve_vcc 0
		.amdhsa_float_round_mode_32 0
		.amdhsa_float_round_mode_16_64 0
		.amdhsa_float_denorm_mode_32 3
		.amdhsa_float_denorm_mode_16_64 3
		.amdhsa_dx10_clamp 1
		.amdhsa_ieee_mode 1
		.amdhsa_fp16_overflow 0
		.amdhsa_workgroup_processor_mode 1
		.amdhsa_memory_ordered 1
		.amdhsa_forward_progress 0
		.amdhsa_shared_vgpr_count 0
		.amdhsa_exception_fp_ieee_invalid_op 0
		.amdhsa_exception_fp_denorm_src 0
		.amdhsa_exception_fp_ieee_div_zero 0
		.amdhsa_exception_fp_ieee_overflow 0
		.amdhsa_exception_fp_ieee_underflow 0
		.amdhsa_exception_fp_ieee_inexact 0
		.amdhsa_exception_int_div_zero 0
	.end_amdhsa_kernel
	.section	.text._ZN7rocprim17ROCPRIM_400000_NS6detail17trampoline_kernelINS0_14default_configENS1_27lower_bound_config_selectorIilEEZNS1_14transform_implILb0ES3_S5_N6thrust23THRUST_200600_302600_NS17counting_iteratorIiNS8_11use_defaultESA_SA_EEPlZNS1_13binary_searchIS3_S5_PiSB_SC_NS1_21lower_bound_search_opENS8_6detail16wrapped_functionI11custom_lessbEEEE10hipError_tPvRmT1_T2_T3_mmT4_T5_P12ihipStream_tbEUlRKiE_EESK_SO_SP_mSQ_ST_bEUlT_E_NS1_11comp_targetILNS1_3genE2ELNS1_11target_archE906ELNS1_3gpuE6ELNS1_3repE0EEENS1_30default_config_static_selectorELNS0_4arch9wavefront6targetE0EEEvSN_,"axG",@progbits,_ZN7rocprim17ROCPRIM_400000_NS6detail17trampoline_kernelINS0_14default_configENS1_27lower_bound_config_selectorIilEEZNS1_14transform_implILb0ES3_S5_N6thrust23THRUST_200600_302600_NS17counting_iteratorIiNS8_11use_defaultESA_SA_EEPlZNS1_13binary_searchIS3_S5_PiSB_SC_NS1_21lower_bound_search_opENS8_6detail16wrapped_functionI11custom_lessbEEEE10hipError_tPvRmT1_T2_T3_mmT4_T5_P12ihipStream_tbEUlRKiE_EESK_SO_SP_mSQ_ST_bEUlT_E_NS1_11comp_targetILNS1_3genE2ELNS1_11target_archE906ELNS1_3gpuE6ELNS1_3repE0EEENS1_30default_config_static_selectorELNS0_4arch9wavefront6targetE0EEEvSN_,comdat
.Lfunc_end72:
	.size	_ZN7rocprim17ROCPRIM_400000_NS6detail17trampoline_kernelINS0_14default_configENS1_27lower_bound_config_selectorIilEEZNS1_14transform_implILb0ES3_S5_N6thrust23THRUST_200600_302600_NS17counting_iteratorIiNS8_11use_defaultESA_SA_EEPlZNS1_13binary_searchIS3_S5_PiSB_SC_NS1_21lower_bound_search_opENS8_6detail16wrapped_functionI11custom_lessbEEEE10hipError_tPvRmT1_T2_T3_mmT4_T5_P12ihipStream_tbEUlRKiE_EESK_SO_SP_mSQ_ST_bEUlT_E_NS1_11comp_targetILNS1_3genE2ELNS1_11target_archE906ELNS1_3gpuE6ELNS1_3repE0EEENS1_30default_config_static_selectorELNS0_4arch9wavefront6targetE0EEEvSN_, .Lfunc_end72-_ZN7rocprim17ROCPRIM_400000_NS6detail17trampoline_kernelINS0_14default_configENS1_27lower_bound_config_selectorIilEEZNS1_14transform_implILb0ES3_S5_N6thrust23THRUST_200600_302600_NS17counting_iteratorIiNS8_11use_defaultESA_SA_EEPlZNS1_13binary_searchIS3_S5_PiSB_SC_NS1_21lower_bound_search_opENS8_6detail16wrapped_functionI11custom_lessbEEEE10hipError_tPvRmT1_T2_T3_mmT4_T5_P12ihipStream_tbEUlRKiE_EESK_SO_SP_mSQ_ST_bEUlT_E_NS1_11comp_targetILNS1_3genE2ELNS1_11target_archE906ELNS1_3gpuE6ELNS1_3repE0EEENS1_30default_config_static_selectorELNS0_4arch9wavefront6targetE0EEEvSN_
                                        ; -- End function
	.section	.AMDGPU.csdata,"",@progbits
; Kernel info:
; codeLenInByte = 0
; NumSgprs: 0
; NumVgprs: 0
; ScratchSize: 0
; MemoryBound: 0
; FloatMode: 240
; IeeeMode: 1
; LDSByteSize: 0 bytes/workgroup (compile time only)
; SGPRBlocks: 0
; VGPRBlocks: 0
; NumSGPRsForWavesPerEU: 1
; NumVGPRsForWavesPerEU: 1
; Occupancy: 16
; WaveLimiterHint : 0
; COMPUTE_PGM_RSRC2:SCRATCH_EN: 0
; COMPUTE_PGM_RSRC2:USER_SGPR: 15
; COMPUTE_PGM_RSRC2:TRAP_HANDLER: 0
; COMPUTE_PGM_RSRC2:TGID_X_EN: 1
; COMPUTE_PGM_RSRC2:TGID_Y_EN: 0
; COMPUTE_PGM_RSRC2:TGID_Z_EN: 0
; COMPUTE_PGM_RSRC2:TIDIG_COMP_CNT: 0
	.section	.text._ZN7rocprim17ROCPRIM_400000_NS6detail17trampoline_kernelINS0_14default_configENS1_27lower_bound_config_selectorIilEEZNS1_14transform_implILb0ES3_S5_N6thrust23THRUST_200600_302600_NS17counting_iteratorIiNS8_11use_defaultESA_SA_EEPlZNS1_13binary_searchIS3_S5_PiSB_SC_NS1_21lower_bound_search_opENS8_6detail16wrapped_functionI11custom_lessbEEEE10hipError_tPvRmT1_T2_T3_mmT4_T5_P12ihipStream_tbEUlRKiE_EESK_SO_SP_mSQ_ST_bEUlT_E_NS1_11comp_targetILNS1_3genE10ELNS1_11target_archE1201ELNS1_3gpuE5ELNS1_3repE0EEENS1_30default_config_static_selectorELNS0_4arch9wavefront6targetE0EEEvSN_,"axG",@progbits,_ZN7rocprim17ROCPRIM_400000_NS6detail17trampoline_kernelINS0_14default_configENS1_27lower_bound_config_selectorIilEEZNS1_14transform_implILb0ES3_S5_N6thrust23THRUST_200600_302600_NS17counting_iteratorIiNS8_11use_defaultESA_SA_EEPlZNS1_13binary_searchIS3_S5_PiSB_SC_NS1_21lower_bound_search_opENS8_6detail16wrapped_functionI11custom_lessbEEEE10hipError_tPvRmT1_T2_T3_mmT4_T5_P12ihipStream_tbEUlRKiE_EESK_SO_SP_mSQ_ST_bEUlT_E_NS1_11comp_targetILNS1_3genE10ELNS1_11target_archE1201ELNS1_3gpuE5ELNS1_3repE0EEENS1_30default_config_static_selectorELNS0_4arch9wavefront6targetE0EEEvSN_,comdat
	.protected	_ZN7rocprim17ROCPRIM_400000_NS6detail17trampoline_kernelINS0_14default_configENS1_27lower_bound_config_selectorIilEEZNS1_14transform_implILb0ES3_S5_N6thrust23THRUST_200600_302600_NS17counting_iteratorIiNS8_11use_defaultESA_SA_EEPlZNS1_13binary_searchIS3_S5_PiSB_SC_NS1_21lower_bound_search_opENS8_6detail16wrapped_functionI11custom_lessbEEEE10hipError_tPvRmT1_T2_T3_mmT4_T5_P12ihipStream_tbEUlRKiE_EESK_SO_SP_mSQ_ST_bEUlT_E_NS1_11comp_targetILNS1_3genE10ELNS1_11target_archE1201ELNS1_3gpuE5ELNS1_3repE0EEENS1_30default_config_static_selectorELNS0_4arch9wavefront6targetE0EEEvSN_ ; -- Begin function _ZN7rocprim17ROCPRIM_400000_NS6detail17trampoline_kernelINS0_14default_configENS1_27lower_bound_config_selectorIilEEZNS1_14transform_implILb0ES3_S5_N6thrust23THRUST_200600_302600_NS17counting_iteratorIiNS8_11use_defaultESA_SA_EEPlZNS1_13binary_searchIS3_S5_PiSB_SC_NS1_21lower_bound_search_opENS8_6detail16wrapped_functionI11custom_lessbEEEE10hipError_tPvRmT1_T2_T3_mmT4_T5_P12ihipStream_tbEUlRKiE_EESK_SO_SP_mSQ_ST_bEUlT_E_NS1_11comp_targetILNS1_3genE10ELNS1_11target_archE1201ELNS1_3gpuE5ELNS1_3repE0EEENS1_30default_config_static_selectorELNS0_4arch9wavefront6targetE0EEEvSN_
	.globl	_ZN7rocprim17ROCPRIM_400000_NS6detail17trampoline_kernelINS0_14default_configENS1_27lower_bound_config_selectorIilEEZNS1_14transform_implILb0ES3_S5_N6thrust23THRUST_200600_302600_NS17counting_iteratorIiNS8_11use_defaultESA_SA_EEPlZNS1_13binary_searchIS3_S5_PiSB_SC_NS1_21lower_bound_search_opENS8_6detail16wrapped_functionI11custom_lessbEEEE10hipError_tPvRmT1_T2_T3_mmT4_T5_P12ihipStream_tbEUlRKiE_EESK_SO_SP_mSQ_ST_bEUlT_E_NS1_11comp_targetILNS1_3genE10ELNS1_11target_archE1201ELNS1_3gpuE5ELNS1_3repE0EEENS1_30default_config_static_selectorELNS0_4arch9wavefront6targetE0EEEvSN_
	.p2align	8
	.type	_ZN7rocprim17ROCPRIM_400000_NS6detail17trampoline_kernelINS0_14default_configENS1_27lower_bound_config_selectorIilEEZNS1_14transform_implILb0ES3_S5_N6thrust23THRUST_200600_302600_NS17counting_iteratorIiNS8_11use_defaultESA_SA_EEPlZNS1_13binary_searchIS3_S5_PiSB_SC_NS1_21lower_bound_search_opENS8_6detail16wrapped_functionI11custom_lessbEEEE10hipError_tPvRmT1_T2_T3_mmT4_T5_P12ihipStream_tbEUlRKiE_EESK_SO_SP_mSQ_ST_bEUlT_E_NS1_11comp_targetILNS1_3genE10ELNS1_11target_archE1201ELNS1_3gpuE5ELNS1_3repE0EEENS1_30default_config_static_selectorELNS0_4arch9wavefront6targetE0EEEvSN_,@function
_ZN7rocprim17ROCPRIM_400000_NS6detail17trampoline_kernelINS0_14default_configENS1_27lower_bound_config_selectorIilEEZNS1_14transform_implILb0ES3_S5_N6thrust23THRUST_200600_302600_NS17counting_iteratorIiNS8_11use_defaultESA_SA_EEPlZNS1_13binary_searchIS3_S5_PiSB_SC_NS1_21lower_bound_search_opENS8_6detail16wrapped_functionI11custom_lessbEEEE10hipError_tPvRmT1_T2_T3_mmT4_T5_P12ihipStream_tbEUlRKiE_EESK_SO_SP_mSQ_ST_bEUlT_E_NS1_11comp_targetILNS1_3genE10ELNS1_11target_archE1201ELNS1_3gpuE5ELNS1_3repE0EEENS1_30default_config_static_selectorELNS0_4arch9wavefront6targetE0EEEvSN_: ; @_ZN7rocprim17ROCPRIM_400000_NS6detail17trampoline_kernelINS0_14default_configENS1_27lower_bound_config_selectorIilEEZNS1_14transform_implILb0ES3_S5_N6thrust23THRUST_200600_302600_NS17counting_iteratorIiNS8_11use_defaultESA_SA_EEPlZNS1_13binary_searchIS3_S5_PiSB_SC_NS1_21lower_bound_search_opENS8_6detail16wrapped_functionI11custom_lessbEEEE10hipError_tPvRmT1_T2_T3_mmT4_T5_P12ihipStream_tbEUlRKiE_EESK_SO_SP_mSQ_ST_bEUlT_E_NS1_11comp_targetILNS1_3genE10ELNS1_11target_archE1201ELNS1_3gpuE5ELNS1_3repE0EEENS1_30default_config_static_selectorELNS0_4arch9wavefront6targetE0EEEvSN_
; %bb.0:
	.section	.rodata,"a",@progbits
	.p2align	6, 0x0
	.amdhsa_kernel _ZN7rocprim17ROCPRIM_400000_NS6detail17trampoline_kernelINS0_14default_configENS1_27lower_bound_config_selectorIilEEZNS1_14transform_implILb0ES3_S5_N6thrust23THRUST_200600_302600_NS17counting_iteratorIiNS8_11use_defaultESA_SA_EEPlZNS1_13binary_searchIS3_S5_PiSB_SC_NS1_21lower_bound_search_opENS8_6detail16wrapped_functionI11custom_lessbEEEE10hipError_tPvRmT1_T2_T3_mmT4_T5_P12ihipStream_tbEUlRKiE_EESK_SO_SP_mSQ_ST_bEUlT_E_NS1_11comp_targetILNS1_3genE10ELNS1_11target_archE1201ELNS1_3gpuE5ELNS1_3repE0EEENS1_30default_config_static_selectorELNS0_4arch9wavefront6targetE0EEEvSN_
		.amdhsa_group_segment_fixed_size 0
		.amdhsa_private_segment_fixed_size 0
		.amdhsa_kernarg_size 56
		.amdhsa_user_sgpr_count 15
		.amdhsa_user_sgpr_dispatch_ptr 0
		.amdhsa_user_sgpr_queue_ptr 0
		.amdhsa_user_sgpr_kernarg_segment_ptr 1
		.amdhsa_user_sgpr_dispatch_id 0
		.amdhsa_user_sgpr_private_segment_size 0
		.amdhsa_wavefront_size32 1
		.amdhsa_uses_dynamic_stack 0
		.amdhsa_enable_private_segment 0
		.amdhsa_system_sgpr_workgroup_id_x 1
		.amdhsa_system_sgpr_workgroup_id_y 0
		.amdhsa_system_sgpr_workgroup_id_z 0
		.amdhsa_system_sgpr_workgroup_info 0
		.amdhsa_system_vgpr_workitem_id 0
		.amdhsa_next_free_vgpr 1
		.amdhsa_next_free_sgpr 1
		.amdhsa_reserve_vcc 0
		.amdhsa_float_round_mode_32 0
		.amdhsa_float_round_mode_16_64 0
		.amdhsa_float_denorm_mode_32 3
		.amdhsa_float_denorm_mode_16_64 3
		.amdhsa_dx10_clamp 1
		.amdhsa_ieee_mode 1
		.amdhsa_fp16_overflow 0
		.amdhsa_workgroup_processor_mode 1
		.amdhsa_memory_ordered 1
		.amdhsa_forward_progress 0
		.amdhsa_shared_vgpr_count 0
		.amdhsa_exception_fp_ieee_invalid_op 0
		.amdhsa_exception_fp_denorm_src 0
		.amdhsa_exception_fp_ieee_div_zero 0
		.amdhsa_exception_fp_ieee_overflow 0
		.amdhsa_exception_fp_ieee_underflow 0
		.amdhsa_exception_fp_ieee_inexact 0
		.amdhsa_exception_int_div_zero 0
	.end_amdhsa_kernel
	.section	.text._ZN7rocprim17ROCPRIM_400000_NS6detail17trampoline_kernelINS0_14default_configENS1_27lower_bound_config_selectorIilEEZNS1_14transform_implILb0ES3_S5_N6thrust23THRUST_200600_302600_NS17counting_iteratorIiNS8_11use_defaultESA_SA_EEPlZNS1_13binary_searchIS3_S5_PiSB_SC_NS1_21lower_bound_search_opENS8_6detail16wrapped_functionI11custom_lessbEEEE10hipError_tPvRmT1_T2_T3_mmT4_T5_P12ihipStream_tbEUlRKiE_EESK_SO_SP_mSQ_ST_bEUlT_E_NS1_11comp_targetILNS1_3genE10ELNS1_11target_archE1201ELNS1_3gpuE5ELNS1_3repE0EEENS1_30default_config_static_selectorELNS0_4arch9wavefront6targetE0EEEvSN_,"axG",@progbits,_ZN7rocprim17ROCPRIM_400000_NS6detail17trampoline_kernelINS0_14default_configENS1_27lower_bound_config_selectorIilEEZNS1_14transform_implILb0ES3_S5_N6thrust23THRUST_200600_302600_NS17counting_iteratorIiNS8_11use_defaultESA_SA_EEPlZNS1_13binary_searchIS3_S5_PiSB_SC_NS1_21lower_bound_search_opENS8_6detail16wrapped_functionI11custom_lessbEEEE10hipError_tPvRmT1_T2_T3_mmT4_T5_P12ihipStream_tbEUlRKiE_EESK_SO_SP_mSQ_ST_bEUlT_E_NS1_11comp_targetILNS1_3genE10ELNS1_11target_archE1201ELNS1_3gpuE5ELNS1_3repE0EEENS1_30default_config_static_selectorELNS0_4arch9wavefront6targetE0EEEvSN_,comdat
.Lfunc_end73:
	.size	_ZN7rocprim17ROCPRIM_400000_NS6detail17trampoline_kernelINS0_14default_configENS1_27lower_bound_config_selectorIilEEZNS1_14transform_implILb0ES3_S5_N6thrust23THRUST_200600_302600_NS17counting_iteratorIiNS8_11use_defaultESA_SA_EEPlZNS1_13binary_searchIS3_S5_PiSB_SC_NS1_21lower_bound_search_opENS8_6detail16wrapped_functionI11custom_lessbEEEE10hipError_tPvRmT1_T2_T3_mmT4_T5_P12ihipStream_tbEUlRKiE_EESK_SO_SP_mSQ_ST_bEUlT_E_NS1_11comp_targetILNS1_3genE10ELNS1_11target_archE1201ELNS1_3gpuE5ELNS1_3repE0EEENS1_30default_config_static_selectorELNS0_4arch9wavefront6targetE0EEEvSN_, .Lfunc_end73-_ZN7rocprim17ROCPRIM_400000_NS6detail17trampoline_kernelINS0_14default_configENS1_27lower_bound_config_selectorIilEEZNS1_14transform_implILb0ES3_S5_N6thrust23THRUST_200600_302600_NS17counting_iteratorIiNS8_11use_defaultESA_SA_EEPlZNS1_13binary_searchIS3_S5_PiSB_SC_NS1_21lower_bound_search_opENS8_6detail16wrapped_functionI11custom_lessbEEEE10hipError_tPvRmT1_T2_T3_mmT4_T5_P12ihipStream_tbEUlRKiE_EESK_SO_SP_mSQ_ST_bEUlT_E_NS1_11comp_targetILNS1_3genE10ELNS1_11target_archE1201ELNS1_3gpuE5ELNS1_3repE0EEENS1_30default_config_static_selectorELNS0_4arch9wavefront6targetE0EEEvSN_
                                        ; -- End function
	.section	.AMDGPU.csdata,"",@progbits
; Kernel info:
; codeLenInByte = 0
; NumSgprs: 0
; NumVgprs: 0
; ScratchSize: 0
; MemoryBound: 0
; FloatMode: 240
; IeeeMode: 1
; LDSByteSize: 0 bytes/workgroup (compile time only)
; SGPRBlocks: 0
; VGPRBlocks: 0
; NumSGPRsForWavesPerEU: 1
; NumVGPRsForWavesPerEU: 1
; Occupancy: 16
; WaveLimiterHint : 0
; COMPUTE_PGM_RSRC2:SCRATCH_EN: 0
; COMPUTE_PGM_RSRC2:USER_SGPR: 15
; COMPUTE_PGM_RSRC2:TRAP_HANDLER: 0
; COMPUTE_PGM_RSRC2:TGID_X_EN: 1
; COMPUTE_PGM_RSRC2:TGID_Y_EN: 0
; COMPUTE_PGM_RSRC2:TGID_Z_EN: 0
; COMPUTE_PGM_RSRC2:TIDIG_COMP_CNT: 0
	.section	.text._ZN7rocprim17ROCPRIM_400000_NS6detail17trampoline_kernelINS0_14default_configENS1_27lower_bound_config_selectorIilEEZNS1_14transform_implILb0ES3_S5_N6thrust23THRUST_200600_302600_NS17counting_iteratorIiNS8_11use_defaultESA_SA_EEPlZNS1_13binary_searchIS3_S5_PiSB_SC_NS1_21lower_bound_search_opENS8_6detail16wrapped_functionI11custom_lessbEEEE10hipError_tPvRmT1_T2_T3_mmT4_T5_P12ihipStream_tbEUlRKiE_EESK_SO_SP_mSQ_ST_bEUlT_E_NS1_11comp_targetILNS1_3genE10ELNS1_11target_archE1200ELNS1_3gpuE4ELNS1_3repE0EEENS1_30default_config_static_selectorELNS0_4arch9wavefront6targetE0EEEvSN_,"axG",@progbits,_ZN7rocprim17ROCPRIM_400000_NS6detail17trampoline_kernelINS0_14default_configENS1_27lower_bound_config_selectorIilEEZNS1_14transform_implILb0ES3_S5_N6thrust23THRUST_200600_302600_NS17counting_iteratorIiNS8_11use_defaultESA_SA_EEPlZNS1_13binary_searchIS3_S5_PiSB_SC_NS1_21lower_bound_search_opENS8_6detail16wrapped_functionI11custom_lessbEEEE10hipError_tPvRmT1_T2_T3_mmT4_T5_P12ihipStream_tbEUlRKiE_EESK_SO_SP_mSQ_ST_bEUlT_E_NS1_11comp_targetILNS1_3genE10ELNS1_11target_archE1200ELNS1_3gpuE4ELNS1_3repE0EEENS1_30default_config_static_selectorELNS0_4arch9wavefront6targetE0EEEvSN_,comdat
	.protected	_ZN7rocprim17ROCPRIM_400000_NS6detail17trampoline_kernelINS0_14default_configENS1_27lower_bound_config_selectorIilEEZNS1_14transform_implILb0ES3_S5_N6thrust23THRUST_200600_302600_NS17counting_iteratorIiNS8_11use_defaultESA_SA_EEPlZNS1_13binary_searchIS3_S5_PiSB_SC_NS1_21lower_bound_search_opENS8_6detail16wrapped_functionI11custom_lessbEEEE10hipError_tPvRmT1_T2_T3_mmT4_T5_P12ihipStream_tbEUlRKiE_EESK_SO_SP_mSQ_ST_bEUlT_E_NS1_11comp_targetILNS1_3genE10ELNS1_11target_archE1200ELNS1_3gpuE4ELNS1_3repE0EEENS1_30default_config_static_selectorELNS0_4arch9wavefront6targetE0EEEvSN_ ; -- Begin function _ZN7rocprim17ROCPRIM_400000_NS6detail17trampoline_kernelINS0_14default_configENS1_27lower_bound_config_selectorIilEEZNS1_14transform_implILb0ES3_S5_N6thrust23THRUST_200600_302600_NS17counting_iteratorIiNS8_11use_defaultESA_SA_EEPlZNS1_13binary_searchIS3_S5_PiSB_SC_NS1_21lower_bound_search_opENS8_6detail16wrapped_functionI11custom_lessbEEEE10hipError_tPvRmT1_T2_T3_mmT4_T5_P12ihipStream_tbEUlRKiE_EESK_SO_SP_mSQ_ST_bEUlT_E_NS1_11comp_targetILNS1_3genE10ELNS1_11target_archE1200ELNS1_3gpuE4ELNS1_3repE0EEENS1_30default_config_static_selectorELNS0_4arch9wavefront6targetE0EEEvSN_
	.globl	_ZN7rocprim17ROCPRIM_400000_NS6detail17trampoline_kernelINS0_14default_configENS1_27lower_bound_config_selectorIilEEZNS1_14transform_implILb0ES3_S5_N6thrust23THRUST_200600_302600_NS17counting_iteratorIiNS8_11use_defaultESA_SA_EEPlZNS1_13binary_searchIS3_S5_PiSB_SC_NS1_21lower_bound_search_opENS8_6detail16wrapped_functionI11custom_lessbEEEE10hipError_tPvRmT1_T2_T3_mmT4_T5_P12ihipStream_tbEUlRKiE_EESK_SO_SP_mSQ_ST_bEUlT_E_NS1_11comp_targetILNS1_3genE10ELNS1_11target_archE1200ELNS1_3gpuE4ELNS1_3repE0EEENS1_30default_config_static_selectorELNS0_4arch9wavefront6targetE0EEEvSN_
	.p2align	8
	.type	_ZN7rocprim17ROCPRIM_400000_NS6detail17trampoline_kernelINS0_14default_configENS1_27lower_bound_config_selectorIilEEZNS1_14transform_implILb0ES3_S5_N6thrust23THRUST_200600_302600_NS17counting_iteratorIiNS8_11use_defaultESA_SA_EEPlZNS1_13binary_searchIS3_S5_PiSB_SC_NS1_21lower_bound_search_opENS8_6detail16wrapped_functionI11custom_lessbEEEE10hipError_tPvRmT1_T2_T3_mmT4_T5_P12ihipStream_tbEUlRKiE_EESK_SO_SP_mSQ_ST_bEUlT_E_NS1_11comp_targetILNS1_3genE10ELNS1_11target_archE1200ELNS1_3gpuE4ELNS1_3repE0EEENS1_30default_config_static_selectorELNS0_4arch9wavefront6targetE0EEEvSN_,@function
_ZN7rocprim17ROCPRIM_400000_NS6detail17trampoline_kernelINS0_14default_configENS1_27lower_bound_config_selectorIilEEZNS1_14transform_implILb0ES3_S5_N6thrust23THRUST_200600_302600_NS17counting_iteratorIiNS8_11use_defaultESA_SA_EEPlZNS1_13binary_searchIS3_S5_PiSB_SC_NS1_21lower_bound_search_opENS8_6detail16wrapped_functionI11custom_lessbEEEE10hipError_tPvRmT1_T2_T3_mmT4_T5_P12ihipStream_tbEUlRKiE_EESK_SO_SP_mSQ_ST_bEUlT_E_NS1_11comp_targetILNS1_3genE10ELNS1_11target_archE1200ELNS1_3gpuE4ELNS1_3repE0EEENS1_30default_config_static_selectorELNS0_4arch9wavefront6targetE0EEEvSN_: ; @_ZN7rocprim17ROCPRIM_400000_NS6detail17trampoline_kernelINS0_14default_configENS1_27lower_bound_config_selectorIilEEZNS1_14transform_implILb0ES3_S5_N6thrust23THRUST_200600_302600_NS17counting_iteratorIiNS8_11use_defaultESA_SA_EEPlZNS1_13binary_searchIS3_S5_PiSB_SC_NS1_21lower_bound_search_opENS8_6detail16wrapped_functionI11custom_lessbEEEE10hipError_tPvRmT1_T2_T3_mmT4_T5_P12ihipStream_tbEUlRKiE_EESK_SO_SP_mSQ_ST_bEUlT_E_NS1_11comp_targetILNS1_3genE10ELNS1_11target_archE1200ELNS1_3gpuE4ELNS1_3repE0EEENS1_30default_config_static_selectorELNS0_4arch9wavefront6targetE0EEEvSN_
; %bb.0:
	.section	.rodata,"a",@progbits
	.p2align	6, 0x0
	.amdhsa_kernel _ZN7rocprim17ROCPRIM_400000_NS6detail17trampoline_kernelINS0_14default_configENS1_27lower_bound_config_selectorIilEEZNS1_14transform_implILb0ES3_S5_N6thrust23THRUST_200600_302600_NS17counting_iteratorIiNS8_11use_defaultESA_SA_EEPlZNS1_13binary_searchIS3_S5_PiSB_SC_NS1_21lower_bound_search_opENS8_6detail16wrapped_functionI11custom_lessbEEEE10hipError_tPvRmT1_T2_T3_mmT4_T5_P12ihipStream_tbEUlRKiE_EESK_SO_SP_mSQ_ST_bEUlT_E_NS1_11comp_targetILNS1_3genE10ELNS1_11target_archE1200ELNS1_3gpuE4ELNS1_3repE0EEENS1_30default_config_static_selectorELNS0_4arch9wavefront6targetE0EEEvSN_
		.amdhsa_group_segment_fixed_size 0
		.amdhsa_private_segment_fixed_size 0
		.amdhsa_kernarg_size 56
		.amdhsa_user_sgpr_count 15
		.amdhsa_user_sgpr_dispatch_ptr 0
		.amdhsa_user_sgpr_queue_ptr 0
		.amdhsa_user_sgpr_kernarg_segment_ptr 1
		.amdhsa_user_sgpr_dispatch_id 0
		.amdhsa_user_sgpr_private_segment_size 0
		.amdhsa_wavefront_size32 1
		.amdhsa_uses_dynamic_stack 0
		.amdhsa_enable_private_segment 0
		.amdhsa_system_sgpr_workgroup_id_x 1
		.amdhsa_system_sgpr_workgroup_id_y 0
		.amdhsa_system_sgpr_workgroup_id_z 0
		.amdhsa_system_sgpr_workgroup_info 0
		.amdhsa_system_vgpr_workitem_id 0
		.amdhsa_next_free_vgpr 1
		.amdhsa_next_free_sgpr 1
		.amdhsa_reserve_vcc 0
		.amdhsa_float_round_mode_32 0
		.amdhsa_float_round_mode_16_64 0
		.amdhsa_float_denorm_mode_32 3
		.amdhsa_float_denorm_mode_16_64 3
		.amdhsa_dx10_clamp 1
		.amdhsa_ieee_mode 1
		.amdhsa_fp16_overflow 0
		.amdhsa_workgroup_processor_mode 1
		.amdhsa_memory_ordered 1
		.amdhsa_forward_progress 0
		.amdhsa_shared_vgpr_count 0
		.amdhsa_exception_fp_ieee_invalid_op 0
		.amdhsa_exception_fp_denorm_src 0
		.amdhsa_exception_fp_ieee_div_zero 0
		.amdhsa_exception_fp_ieee_overflow 0
		.amdhsa_exception_fp_ieee_underflow 0
		.amdhsa_exception_fp_ieee_inexact 0
		.amdhsa_exception_int_div_zero 0
	.end_amdhsa_kernel
	.section	.text._ZN7rocprim17ROCPRIM_400000_NS6detail17trampoline_kernelINS0_14default_configENS1_27lower_bound_config_selectorIilEEZNS1_14transform_implILb0ES3_S5_N6thrust23THRUST_200600_302600_NS17counting_iteratorIiNS8_11use_defaultESA_SA_EEPlZNS1_13binary_searchIS3_S5_PiSB_SC_NS1_21lower_bound_search_opENS8_6detail16wrapped_functionI11custom_lessbEEEE10hipError_tPvRmT1_T2_T3_mmT4_T5_P12ihipStream_tbEUlRKiE_EESK_SO_SP_mSQ_ST_bEUlT_E_NS1_11comp_targetILNS1_3genE10ELNS1_11target_archE1200ELNS1_3gpuE4ELNS1_3repE0EEENS1_30default_config_static_selectorELNS0_4arch9wavefront6targetE0EEEvSN_,"axG",@progbits,_ZN7rocprim17ROCPRIM_400000_NS6detail17trampoline_kernelINS0_14default_configENS1_27lower_bound_config_selectorIilEEZNS1_14transform_implILb0ES3_S5_N6thrust23THRUST_200600_302600_NS17counting_iteratorIiNS8_11use_defaultESA_SA_EEPlZNS1_13binary_searchIS3_S5_PiSB_SC_NS1_21lower_bound_search_opENS8_6detail16wrapped_functionI11custom_lessbEEEE10hipError_tPvRmT1_T2_T3_mmT4_T5_P12ihipStream_tbEUlRKiE_EESK_SO_SP_mSQ_ST_bEUlT_E_NS1_11comp_targetILNS1_3genE10ELNS1_11target_archE1200ELNS1_3gpuE4ELNS1_3repE0EEENS1_30default_config_static_selectorELNS0_4arch9wavefront6targetE0EEEvSN_,comdat
.Lfunc_end74:
	.size	_ZN7rocprim17ROCPRIM_400000_NS6detail17trampoline_kernelINS0_14default_configENS1_27lower_bound_config_selectorIilEEZNS1_14transform_implILb0ES3_S5_N6thrust23THRUST_200600_302600_NS17counting_iteratorIiNS8_11use_defaultESA_SA_EEPlZNS1_13binary_searchIS3_S5_PiSB_SC_NS1_21lower_bound_search_opENS8_6detail16wrapped_functionI11custom_lessbEEEE10hipError_tPvRmT1_T2_T3_mmT4_T5_P12ihipStream_tbEUlRKiE_EESK_SO_SP_mSQ_ST_bEUlT_E_NS1_11comp_targetILNS1_3genE10ELNS1_11target_archE1200ELNS1_3gpuE4ELNS1_3repE0EEENS1_30default_config_static_selectorELNS0_4arch9wavefront6targetE0EEEvSN_, .Lfunc_end74-_ZN7rocprim17ROCPRIM_400000_NS6detail17trampoline_kernelINS0_14default_configENS1_27lower_bound_config_selectorIilEEZNS1_14transform_implILb0ES3_S5_N6thrust23THRUST_200600_302600_NS17counting_iteratorIiNS8_11use_defaultESA_SA_EEPlZNS1_13binary_searchIS3_S5_PiSB_SC_NS1_21lower_bound_search_opENS8_6detail16wrapped_functionI11custom_lessbEEEE10hipError_tPvRmT1_T2_T3_mmT4_T5_P12ihipStream_tbEUlRKiE_EESK_SO_SP_mSQ_ST_bEUlT_E_NS1_11comp_targetILNS1_3genE10ELNS1_11target_archE1200ELNS1_3gpuE4ELNS1_3repE0EEENS1_30default_config_static_selectorELNS0_4arch9wavefront6targetE0EEEvSN_
                                        ; -- End function
	.section	.AMDGPU.csdata,"",@progbits
; Kernel info:
; codeLenInByte = 0
; NumSgprs: 0
; NumVgprs: 0
; ScratchSize: 0
; MemoryBound: 0
; FloatMode: 240
; IeeeMode: 1
; LDSByteSize: 0 bytes/workgroup (compile time only)
; SGPRBlocks: 0
; VGPRBlocks: 0
; NumSGPRsForWavesPerEU: 1
; NumVGPRsForWavesPerEU: 1
; Occupancy: 16
; WaveLimiterHint : 0
; COMPUTE_PGM_RSRC2:SCRATCH_EN: 0
; COMPUTE_PGM_RSRC2:USER_SGPR: 15
; COMPUTE_PGM_RSRC2:TRAP_HANDLER: 0
; COMPUTE_PGM_RSRC2:TGID_X_EN: 1
; COMPUTE_PGM_RSRC2:TGID_Y_EN: 0
; COMPUTE_PGM_RSRC2:TGID_Z_EN: 0
; COMPUTE_PGM_RSRC2:TIDIG_COMP_CNT: 0
	.section	.text._ZN7rocprim17ROCPRIM_400000_NS6detail17trampoline_kernelINS0_14default_configENS1_27lower_bound_config_selectorIilEEZNS1_14transform_implILb0ES3_S5_N6thrust23THRUST_200600_302600_NS17counting_iteratorIiNS8_11use_defaultESA_SA_EEPlZNS1_13binary_searchIS3_S5_PiSB_SC_NS1_21lower_bound_search_opENS8_6detail16wrapped_functionI11custom_lessbEEEE10hipError_tPvRmT1_T2_T3_mmT4_T5_P12ihipStream_tbEUlRKiE_EESK_SO_SP_mSQ_ST_bEUlT_E_NS1_11comp_targetILNS1_3genE9ELNS1_11target_archE1100ELNS1_3gpuE3ELNS1_3repE0EEENS1_30default_config_static_selectorELNS0_4arch9wavefront6targetE0EEEvSN_,"axG",@progbits,_ZN7rocprim17ROCPRIM_400000_NS6detail17trampoline_kernelINS0_14default_configENS1_27lower_bound_config_selectorIilEEZNS1_14transform_implILb0ES3_S5_N6thrust23THRUST_200600_302600_NS17counting_iteratorIiNS8_11use_defaultESA_SA_EEPlZNS1_13binary_searchIS3_S5_PiSB_SC_NS1_21lower_bound_search_opENS8_6detail16wrapped_functionI11custom_lessbEEEE10hipError_tPvRmT1_T2_T3_mmT4_T5_P12ihipStream_tbEUlRKiE_EESK_SO_SP_mSQ_ST_bEUlT_E_NS1_11comp_targetILNS1_3genE9ELNS1_11target_archE1100ELNS1_3gpuE3ELNS1_3repE0EEENS1_30default_config_static_selectorELNS0_4arch9wavefront6targetE0EEEvSN_,comdat
	.protected	_ZN7rocprim17ROCPRIM_400000_NS6detail17trampoline_kernelINS0_14default_configENS1_27lower_bound_config_selectorIilEEZNS1_14transform_implILb0ES3_S5_N6thrust23THRUST_200600_302600_NS17counting_iteratorIiNS8_11use_defaultESA_SA_EEPlZNS1_13binary_searchIS3_S5_PiSB_SC_NS1_21lower_bound_search_opENS8_6detail16wrapped_functionI11custom_lessbEEEE10hipError_tPvRmT1_T2_T3_mmT4_T5_P12ihipStream_tbEUlRKiE_EESK_SO_SP_mSQ_ST_bEUlT_E_NS1_11comp_targetILNS1_3genE9ELNS1_11target_archE1100ELNS1_3gpuE3ELNS1_3repE0EEENS1_30default_config_static_selectorELNS0_4arch9wavefront6targetE0EEEvSN_ ; -- Begin function _ZN7rocprim17ROCPRIM_400000_NS6detail17trampoline_kernelINS0_14default_configENS1_27lower_bound_config_selectorIilEEZNS1_14transform_implILb0ES3_S5_N6thrust23THRUST_200600_302600_NS17counting_iteratorIiNS8_11use_defaultESA_SA_EEPlZNS1_13binary_searchIS3_S5_PiSB_SC_NS1_21lower_bound_search_opENS8_6detail16wrapped_functionI11custom_lessbEEEE10hipError_tPvRmT1_T2_T3_mmT4_T5_P12ihipStream_tbEUlRKiE_EESK_SO_SP_mSQ_ST_bEUlT_E_NS1_11comp_targetILNS1_3genE9ELNS1_11target_archE1100ELNS1_3gpuE3ELNS1_3repE0EEENS1_30default_config_static_selectorELNS0_4arch9wavefront6targetE0EEEvSN_
	.globl	_ZN7rocprim17ROCPRIM_400000_NS6detail17trampoline_kernelINS0_14default_configENS1_27lower_bound_config_selectorIilEEZNS1_14transform_implILb0ES3_S5_N6thrust23THRUST_200600_302600_NS17counting_iteratorIiNS8_11use_defaultESA_SA_EEPlZNS1_13binary_searchIS3_S5_PiSB_SC_NS1_21lower_bound_search_opENS8_6detail16wrapped_functionI11custom_lessbEEEE10hipError_tPvRmT1_T2_T3_mmT4_T5_P12ihipStream_tbEUlRKiE_EESK_SO_SP_mSQ_ST_bEUlT_E_NS1_11comp_targetILNS1_3genE9ELNS1_11target_archE1100ELNS1_3gpuE3ELNS1_3repE0EEENS1_30default_config_static_selectorELNS0_4arch9wavefront6targetE0EEEvSN_
	.p2align	8
	.type	_ZN7rocprim17ROCPRIM_400000_NS6detail17trampoline_kernelINS0_14default_configENS1_27lower_bound_config_selectorIilEEZNS1_14transform_implILb0ES3_S5_N6thrust23THRUST_200600_302600_NS17counting_iteratorIiNS8_11use_defaultESA_SA_EEPlZNS1_13binary_searchIS3_S5_PiSB_SC_NS1_21lower_bound_search_opENS8_6detail16wrapped_functionI11custom_lessbEEEE10hipError_tPvRmT1_T2_T3_mmT4_T5_P12ihipStream_tbEUlRKiE_EESK_SO_SP_mSQ_ST_bEUlT_E_NS1_11comp_targetILNS1_3genE9ELNS1_11target_archE1100ELNS1_3gpuE3ELNS1_3repE0EEENS1_30default_config_static_selectorELNS0_4arch9wavefront6targetE0EEEvSN_,@function
_ZN7rocprim17ROCPRIM_400000_NS6detail17trampoline_kernelINS0_14default_configENS1_27lower_bound_config_selectorIilEEZNS1_14transform_implILb0ES3_S5_N6thrust23THRUST_200600_302600_NS17counting_iteratorIiNS8_11use_defaultESA_SA_EEPlZNS1_13binary_searchIS3_S5_PiSB_SC_NS1_21lower_bound_search_opENS8_6detail16wrapped_functionI11custom_lessbEEEE10hipError_tPvRmT1_T2_T3_mmT4_T5_P12ihipStream_tbEUlRKiE_EESK_SO_SP_mSQ_ST_bEUlT_E_NS1_11comp_targetILNS1_3genE9ELNS1_11target_archE1100ELNS1_3gpuE3ELNS1_3repE0EEENS1_30default_config_static_selectorELNS0_4arch9wavefront6targetE0EEEvSN_: ; @_ZN7rocprim17ROCPRIM_400000_NS6detail17trampoline_kernelINS0_14default_configENS1_27lower_bound_config_selectorIilEEZNS1_14transform_implILb0ES3_S5_N6thrust23THRUST_200600_302600_NS17counting_iteratorIiNS8_11use_defaultESA_SA_EEPlZNS1_13binary_searchIS3_S5_PiSB_SC_NS1_21lower_bound_search_opENS8_6detail16wrapped_functionI11custom_lessbEEEE10hipError_tPvRmT1_T2_T3_mmT4_T5_P12ihipStream_tbEUlRKiE_EESK_SO_SP_mSQ_ST_bEUlT_E_NS1_11comp_targetILNS1_3genE9ELNS1_11target_archE1100ELNS1_3gpuE3ELNS1_3repE0EEENS1_30default_config_static_selectorELNS0_4arch9wavefront6targetE0EEEvSN_
; %bb.0:
	s_clause 0x4
	s_load_b32 s12, s[0:1], 0x0
	s_load_b64 s[2:3], s[0:1], 0x8
	s_load_b32 s9, s[0:1], 0x38
	s_load_b128 s[4:7], s[0:1], 0x18
	s_load_b64 s[10:11], s[0:1], 0x28
	s_lshl_b32 s8, s15, 8
	s_mov_b32 s14, -1
	s_waitcnt lgkmcnt(0)
	s_add_i32 s12, s12, s2
	s_add_i32 s13, s9, -1
	s_mov_b32 s9, 0
	s_cmp_lg_u32 s15, s13
	s_cbranch_scc0 .LBB75_6
; %bb.1:
	v_mov_b32_e32 v1, 0
	v_mov_b32_e32 v2, 0
	s_cmp_eq_u64 s[10:11], 0
	s_cbranch_scc1 .LBB75_5
; %bb.2:
	v_mov_b32_e32 v1, 0
	v_dual_mov_b32 v2, 0 :: v_dual_mov_b32 v3, s10
	v_add3_u32 v5, s12, s8, v0
	v_mov_b32_e32 v4, s11
	s_mov_b32 s13, 0
	.p2align	6
.LBB75_3:                               ; =>This Inner Loop Header: Depth=1
	s_delay_alu instid0(VALU_DEP_3) | instskip(NEXT) | instid1(VALU_DEP_2)
	v_sub_co_u32 v6, vcc_lo, v3, v1
	v_sub_co_ci_u32_e32 v7, vcc_lo, v4, v2, vcc_lo
	s_delay_alu instid0(VALU_DEP_1) | instskip(SKIP_1) | instid1(VALU_DEP_2)
	v_lshrrev_b64 v[8:9], 1, v[6:7]
	v_lshrrev_b64 v[6:7], 6, v[6:7]
	v_add_co_u32 v8, vcc_lo, v8, v1
	s_delay_alu instid0(VALU_DEP_3) | instskip(NEXT) | instid1(VALU_DEP_2)
	v_add_co_ci_u32_e32 v9, vcc_lo, v9, v2, vcc_lo
	v_add_co_u32 v6, vcc_lo, v8, v6
	s_delay_alu instid0(VALU_DEP_2) | instskip(NEXT) | instid1(VALU_DEP_1)
	v_add_co_ci_u32_e32 v7, vcc_lo, v9, v7, vcc_lo
	v_lshlrev_b64 v[8:9], 2, v[6:7]
	s_delay_alu instid0(VALU_DEP_1) | instskip(NEXT) | instid1(VALU_DEP_2)
	v_add_co_u32 v8, vcc_lo, s6, v8
	v_add_co_ci_u32_e32 v9, vcc_lo, s7, v9, vcc_lo
	global_load_b32 v8, v[8:9], off
	v_add_co_u32 v9, vcc_lo, v6, 1
	v_add_co_ci_u32_e32 v10, vcc_lo, 0, v7, vcc_lo
	s_waitcnt vmcnt(0)
	v_cmp_lt_i32_e32 vcc_lo, v8, v5
	v_dual_cndmask_b32 v4, v7, v4 :: v_dual_cndmask_b32 v3, v6, v3
	s_delay_alu instid0(VALU_DEP_3) | instskip(NEXT) | instid1(VALU_DEP_1)
	v_dual_cndmask_b32 v2, v2, v10 :: v_dual_cndmask_b32 v1, v1, v9
	v_cmp_ge_u64_e32 vcc_lo, v[1:2], v[3:4]
	s_or_b32 s13, vcc_lo, s13
	s_delay_alu instid0(SALU_CYCLE_1)
	s_and_not1_b32 exec_lo, exec_lo, s13
	s_cbranch_execnz .LBB75_3
; %bb.4:
	s_or_b32 exec_lo, exec_lo, s13
.LBB75_5:
	s_mov_b32 s13, -1
	s_cbranch_execz .LBB75_7
	s_branch .LBB75_13
.LBB75_6:
	s_mov_b32 s13, s9
                                        ; implicit-def: $vgpr1_vgpr2
	s_and_not1_b32 vcc_lo, exec_lo, s14
	s_cbranch_vccnz .LBB75_13
.LBB75_7:
	s_load_b32 s0, s[0:1], 0x10
                                        ; implicit-def: $vgpr1_vgpr2
	s_waitcnt lgkmcnt(0)
	s_sub_i32 s0, s0, s8
	s_delay_alu instid0(SALU_CYCLE_1) | instskip(NEXT) | instid1(VALU_DEP_1)
	v_cmp_gt_u32_e64 s13, s0, v0
	s_and_saveexec_b32 s0, s13
	s_cbranch_execz .LBB75_12
; %bb.8:
	v_mov_b32_e32 v1, 0
	v_mov_b32_e32 v2, 0
	s_cmp_eq_u64 s[10:11], 0
	s_cbranch_scc1 .LBB75_12
; %bb.9:
	v_mov_b32_e32 v1, 0
	v_dual_mov_b32 v2, 0 :: v_dual_mov_b32 v3, s10
	v_add3_u32 v5, s12, s8, v0
	v_mov_b32_e32 v4, s11
	s_mov_b32 s1, 0
	.p2align	6
.LBB75_10:                              ; =>This Inner Loop Header: Depth=1
	s_delay_alu instid0(VALU_DEP_3) | instskip(NEXT) | instid1(VALU_DEP_2)
	v_sub_co_u32 v6, vcc_lo, v3, v1
	v_sub_co_ci_u32_e32 v7, vcc_lo, v4, v2, vcc_lo
	s_delay_alu instid0(VALU_DEP_1) | instskip(SKIP_1) | instid1(VALU_DEP_2)
	v_lshrrev_b64 v[8:9], 1, v[6:7]
	v_lshrrev_b64 v[6:7], 6, v[6:7]
	v_add_co_u32 v8, vcc_lo, v8, v1
	s_delay_alu instid0(VALU_DEP_3) | instskip(NEXT) | instid1(VALU_DEP_2)
	v_add_co_ci_u32_e32 v9, vcc_lo, v9, v2, vcc_lo
	v_add_co_u32 v6, vcc_lo, v8, v6
	s_delay_alu instid0(VALU_DEP_2) | instskip(NEXT) | instid1(VALU_DEP_1)
	v_add_co_ci_u32_e32 v7, vcc_lo, v9, v7, vcc_lo
	v_lshlrev_b64 v[8:9], 2, v[6:7]
	s_delay_alu instid0(VALU_DEP_1) | instskip(NEXT) | instid1(VALU_DEP_2)
	v_add_co_u32 v8, vcc_lo, s6, v8
	v_add_co_ci_u32_e32 v9, vcc_lo, s7, v9, vcc_lo
	global_load_b32 v8, v[8:9], off
	v_add_co_u32 v9, vcc_lo, v6, 1
	v_add_co_ci_u32_e32 v10, vcc_lo, 0, v7, vcc_lo
	s_waitcnt vmcnt(0)
	v_cmp_lt_i32_e32 vcc_lo, v8, v5
	v_dual_cndmask_b32 v4, v7, v4 :: v_dual_cndmask_b32 v3, v6, v3
	s_delay_alu instid0(VALU_DEP_3) | instskip(NEXT) | instid1(VALU_DEP_1)
	v_dual_cndmask_b32 v2, v2, v10 :: v_dual_cndmask_b32 v1, v1, v9
	v_cmp_ge_u64_e32 vcc_lo, v[1:2], v[3:4]
	s_or_b32 s1, vcc_lo, s1
	s_delay_alu instid0(SALU_CYCLE_1)
	s_and_not1_b32 exec_lo, exec_lo, s1
	s_cbranch_execnz .LBB75_10
; %bb.11:
	s_or_b32 exec_lo, exec_lo, s1
.LBB75_12:
	s_delay_alu instid0(SALU_CYCLE_1)
	s_or_b32 exec_lo, exec_lo, s0
.LBB75_13:
	s_and_saveexec_b32 s0, s13
	s_cbranch_execnz .LBB75_15
; %bb.14:
	s_endpgm
.LBB75_15:
	s_lshl_b64 s[0:1], s[2:3], 3
	v_lshlrev_b32_e32 v0, 3, v0
	s_add_u32 s2, s4, s0
	s_addc_u32 s3, s5, s1
	s_lshl_b64 s[0:1], s[8:9], 3
	s_delay_alu instid0(SALU_CYCLE_1)
	s_add_u32 s0, s2, s0
	s_addc_u32 s1, s3, s1
	global_store_b64 v0, v[1:2], s[0:1]
	s_nop 0
	s_sendmsg sendmsg(MSG_DEALLOC_VGPRS)
	s_endpgm
	.section	.rodata,"a",@progbits
	.p2align	6, 0x0
	.amdhsa_kernel _ZN7rocprim17ROCPRIM_400000_NS6detail17trampoline_kernelINS0_14default_configENS1_27lower_bound_config_selectorIilEEZNS1_14transform_implILb0ES3_S5_N6thrust23THRUST_200600_302600_NS17counting_iteratorIiNS8_11use_defaultESA_SA_EEPlZNS1_13binary_searchIS3_S5_PiSB_SC_NS1_21lower_bound_search_opENS8_6detail16wrapped_functionI11custom_lessbEEEE10hipError_tPvRmT1_T2_T3_mmT4_T5_P12ihipStream_tbEUlRKiE_EESK_SO_SP_mSQ_ST_bEUlT_E_NS1_11comp_targetILNS1_3genE9ELNS1_11target_archE1100ELNS1_3gpuE3ELNS1_3repE0EEENS1_30default_config_static_selectorELNS0_4arch9wavefront6targetE0EEEvSN_
		.amdhsa_group_segment_fixed_size 0
		.amdhsa_private_segment_fixed_size 0
		.amdhsa_kernarg_size 312
		.amdhsa_user_sgpr_count 15
		.amdhsa_user_sgpr_dispatch_ptr 0
		.amdhsa_user_sgpr_queue_ptr 0
		.amdhsa_user_sgpr_kernarg_segment_ptr 1
		.amdhsa_user_sgpr_dispatch_id 0
		.amdhsa_user_sgpr_private_segment_size 0
		.amdhsa_wavefront_size32 1
		.amdhsa_uses_dynamic_stack 0
		.amdhsa_enable_private_segment 0
		.amdhsa_system_sgpr_workgroup_id_x 1
		.amdhsa_system_sgpr_workgroup_id_y 0
		.amdhsa_system_sgpr_workgroup_id_z 0
		.amdhsa_system_sgpr_workgroup_info 0
		.amdhsa_system_vgpr_workitem_id 0
		.amdhsa_next_free_vgpr 11
		.amdhsa_next_free_sgpr 16
		.amdhsa_reserve_vcc 1
		.amdhsa_float_round_mode_32 0
		.amdhsa_float_round_mode_16_64 0
		.amdhsa_float_denorm_mode_32 3
		.amdhsa_float_denorm_mode_16_64 3
		.amdhsa_dx10_clamp 1
		.amdhsa_ieee_mode 1
		.amdhsa_fp16_overflow 0
		.amdhsa_workgroup_processor_mode 1
		.amdhsa_memory_ordered 1
		.amdhsa_forward_progress 0
		.amdhsa_shared_vgpr_count 0
		.amdhsa_exception_fp_ieee_invalid_op 0
		.amdhsa_exception_fp_denorm_src 0
		.amdhsa_exception_fp_ieee_div_zero 0
		.amdhsa_exception_fp_ieee_overflow 0
		.amdhsa_exception_fp_ieee_underflow 0
		.amdhsa_exception_fp_ieee_inexact 0
		.amdhsa_exception_int_div_zero 0
	.end_amdhsa_kernel
	.section	.text._ZN7rocprim17ROCPRIM_400000_NS6detail17trampoline_kernelINS0_14default_configENS1_27lower_bound_config_selectorIilEEZNS1_14transform_implILb0ES3_S5_N6thrust23THRUST_200600_302600_NS17counting_iteratorIiNS8_11use_defaultESA_SA_EEPlZNS1_13binary_searchIS3_S5_PiSB_SC_NS1_21lower_bound_search_opENS8_6detail16wrapped_functionI11custom_lessbEEEE10hipError_tPvRmT1_T2_T3_mmT4_T5_P12ihipStream_tbEUlRKiE_EESK_SO_SP_mSQ_ST_bEUlT_E_NS1_11comp_targetILNS1_3genE9ELNS1_11target_archE1100ELNS1_3gpuE3ELNS1_3repE0EEENS1_30default_config_static_selectorELNS0_4arch9wavefront6targetE0EEEvSN_,"axG",@progbits,_ZN7rocprim17ROCPRIM_400000_NS6detail17trampoline_kernelINS0_14default_configENS1_27lower_bound_config_selectorIilEEZNS1_14transform_implILb0ES3_S5_N6thrust23THRUST_200600_302600_NS17counting_iteratorIiNS8_11use_defaultESA_SA_EEPlZNS1_13binary_searchIS3_S5_PiSB_SC_NS1_21lower_bound_search_opENS8_6detail16wrapped_functionI11custom_lessbEEEE10hipError_tPvRmT1_T2_T3_mmT4_T5_P12ihipStream_tbEUlRKiE_EESK_SO_SP_mSQ_ST_bEUlT_E_NS1_11comp_targetILNS1_3genE9ELNS1_11target_archE1100ELNS1_3gpuE3ELNS1_3repE0EEENS1_30default_config_static_selectorELNS0_4arch9wavefront6targetE0EEEvSN_,comdat
.Lfunc_end75:
	.size	_ZN7rocprim17ROCPRIM_400000_NS6detail17trampoline_kernelINS0_14default_configENS1_27lower_bound_config_selectorIilEEZNS1_14transform_implILb0ES3_S5_N6thrust23THRUST_200600_302600_NS17counting_iteratorIiNS8_11use_defaultESA_SA_EEPlZNS1_13binary_searchIS3_S5_PiSB_SC_NS1_21lower_bound_search_opENS8_6detail16wrapped_functionI11custom_lessbEEEE10hipError_tPvRmT1_T2_T3_mmT4_T5_P12ihipStream_tbEUlRKiE_EESK_SO_SP_mSQ_ST_bEUlT_E_NS1_11comp_targetILNS1_3genE9ELNS1_11target_archE1100ELNS1_3gpuE3ELNS1_3repE0EEENS1_30default_config_static_selectorELNS0_4arch9wavefront6targetE0EEEvSN_, .Lfunc_end75-_ZN7rocprim17ROCPRIM_400000_NS6detail17trampoline_kernelINS0_14default_configENS1_27lower_bound_config_selectorIilEEZNS1_14transform_implILb0ES3_S5_N6thrust23THRUST_200600_302600_NS17counting_iteratorIiNS8_11use_defaultESA_SA_EEPlZNS1_13binary_searchIS3_S5_PiSB_SC_NS1_21lower_bound_search_opENS8_6detail16wrapped_functionI11custom_lessbEEEE10hipError_tPvRmT1_T2_T3_mmT4_T5_P12ihipStream_tbEUlRKiE_EESK_SO_SP_mSQ_ST_bEUlT_E_NS1_11comp_targetILNS1_3genE9ELNS1_11target_archE1100ELNS1_3gpuE3ELNS1_3repE0EEENS1_30default_config_static_selectorELNS0_4arch9wavefront6targetE0EEEvSN_
                                        ; -- End function
	.section	.AMDGPU.csdata,"",@progbits
; Kernel info:
; codeLenInByte = 624
; NumSgprs: 18
; NumVgprs: 11
; ScratchSize: 0
; MemoryBound: 0
; FloatMode: 240
; IeeeMode: 1
; LDSByteSize: 0 bytes/workgroup (compile time only)
; SGPRBlocks: 2
; VGPRBlocks: 1
; NumSGPRsForWavesPerEU: 18
; NumVGPRsForWavesPerEU: 11
; Occupancy: 16
; WaveLimiterHint : 0
; COMPUTE_PGM_RSRC2:SCRATCH_EN: 0
; COMPUTE_PGM_RSRC2:USER_SGPR: 15
; COMPUTE_PGM_RSRC2:TRAP_HANDLER: 0
; COMPUTE_PGM_RSRC2:TGID_X_EN: 1
; COMPUTE_PGM_RSRC2:TGID_Y_EN: 0
; COMPUTE_PGM_RSRC2:TGID_Z_EN: 0
; COMPUTE_PGM_RSRC2:TIDIG_COMP_CNT: 0
	.section	.text._ZN7rocprim17ROCPRIM_400000_NS6detail17trampoline_kernelINS0_14default_configENS1_27lower_bound_config_selectorIilEEZNS1_14transform_implILb0ES3_S5_N6thrust23THRUST_200600_302600_NS17counting_iteratorIiNS8_11use_defaultESA_SA_EEPlZNS1_13binary_searchIS3_S5_PiSB_SC_NS1_21lower_bound_search_opENS8_6detail16wrapped_functionI11custom_lessbEEEE10hipError_tPvRmT1_T2_T3_mmT4_T5_P12ihipStream_tbEUlRKiE_EESK_SO_SP_mSQ_ST_bEUlT_E_NS1_11comp_targetILNS1_3genE8ELNS1_11target_archE1030ELNS1_3gpuE2ELNS1_3repE0EEENS1_30default_config_static_selectorELNS0_4arch9wavefront6targetE0EEEvSN_,"axG",@progbits,_ZN7rocprim17ROCPRIM_400000_NS6detail17trampoline_kernelINS0_14default_configENS1_27lower_bound_config_selectorIilEEZNS1_14transform_implILb0ES3_S5_N6thrust23THRUST_200600_302600_NS17counting_iteratorIiNS8_11use_defaultESA_SA_EEPlZNS1_13binary_searchIS3_S5_PiSB_SC_NS1_21lower_bound_search_opENS8_6detail16wrapped_functionI11custom_lessbEEEE10hipError_tPvRmT1_T2_T3_mmT4_T5_P12ihipStream_tbEUlRKiE_EESK_SO_SP_mSQ_ST_bEUlT_E_NS1_11comp_targetILNS1_3genE8ELNS1_11target_archE1030ELNS1_3gpuE2ELNS1_3repE0EEENS1_30default_config_static_selectorELNS0_4arch9wavefront6targetE0EEEvSN_,comdat
	.protected	_ZN7rocprim17ROCPRIM_400000_NS6detail17trampoline_kernelINS0_14default_configENS1_27lower_bound_config_selectorIilEEZNS1_14transform_implILb0ES3_S5_N6thrust23THRUST_200600_302600_NS17counting_iteratorIiNS8_11use_defaultESA_SA_EEPlZNS1_13binary_searchIS3_S5_PiSB_SC_NS1_21lower_bound_search_opENS8_6detail16wrapped_functionI11custom_lessbEEEE10hipError_tPvRmT1_T2_T3_mmT4_T5_P12ihipStream_tbEUlRKiE_EESK_SO_SP_mSQ_ST_bEUlT_E_NS1_11comp_targetILNS1_3genE8ELNS1_11target_archE1030ELNS1_3gpuE2ELNS1_3repE0EEENS1_30default_config_static_selectorELNS0_4arch9wavefront6targetE0EEEvSN_ ; -- Begin function _ZN7rocprim17ROCPRIM_400000_NS6detail17trampoline_kernelINS0_14default_configENS1_27lower_bound_config_selectorIilEEZNS1_14transform_implILb0ES3_S5_N6thrust23THRUST_200600_302600_NS17counting_iteratorIiNS8_11use_defaultESA_SA_EEPlZNS1_13binary_searchIS3_S5_PiSB_SC_NS1_21lower_bound_search_opENS8_6detail16wrapped_functionI11custom_lessbEEEE10hipError_tPvRmT1_T2_T3_mmT4_T5_P12ihipStream_tbEUlRKiE_EESK_SO_SP_mSQ_ST_bEUlT_E_NS1_11comp_targetILNS1_3genE8ELNS1_11target_archE1030ELNS1_3gpuE2ELNS1_3repE0EEENS1_30default_config_static_selectorELNS0_4arch9wavefront6targetE0EEEvSN_
	.globl	_ZN7rocprim17ROCPRIM_400000_NS6detail17trampoline_kernelINS0_14default_configENS1_27lower_bound_config_selectorIilEEZNS1_14transform_implILb0ES3_S5_N6thrust23THRUST_200600_302600_NS17counting_iteratorIiNS8_11use_defaultESA_SA_EEPlZNS1_13binary_searchIS3_S5_PiSB_SC_NS1_21lower_bound_search_opENS8_6detail16wrapped_functionI11custom_lessbEEEE10hipError_tPvRmT1_T2_T3_mmT4_T5_P12ihipStream_tbEUlRKiE_EESK_SO_SP_mSQ_ST_bEUlT_E_NS1_11comp_targetILNS1_3genE8ELNS1_11target_archE1030ELNS1_3gpuE2ELNS1_3repE0EEENS1_30default_config_static_selectorELNS0_4arch9wavefront6targetE0EEEvSN_
	.p2align	8
	.type	_ZN7rocprim17ROCPRIM_400000_NS6detail17trampoline_kernelINS0_14default_configENS1_27lower_bound_config_selectorIilEEZNS1_14transform_implILb0ES3_S5_N6thrust23THRUST_200600_302600_NS17counting_iteratorIiNS8_11use_defaultESA_SA_EEPlZNS1_13binary_searchIS3_S5_PiSB_SC_NS1_21lower_bound_search_opENS8_6detail16wrapped_functionI11custom_lessbEEEE10hipError_tPvRmT1_T2_T3_mmT4_T5_P12ihipStream_tbEUlRKiE_EESK_SO_SP_mSQ_ST_bEUlT_E_NS1_11comp_targetILNS1_3genE8ELNS1_11target_archE1030ELNS1_3gpuE2ELNS1_3repE0EEENS1_30default_config_static_selectorELNS0_4arch9wavefront6targetE0EEEvSN_,@function
_ZN7rocprim17ROCPRIM_400000_NS6detail17trampoline_kernelINS0_14default_configENS1_27lower_bound_config_selectorIilEEZNS1_14transform_implILb0ES3_S5_N6thrust23THRUST_200600_302600_NS17counting_iteratorIiNS8_11use_defaultESA_SA_EEPlZNS1_13binary_searchIS3_S5_PiSB_SC_NS1_21lower_bound_search_opENS8_6detail16wrapped_functionI11custom_lessbEEEE10hipError_tPvRmT1_T2_T3_mmT4_T5_P12ihipStream_tbEUlRKiE_EESK_SO_SP_mSQ_ST_bEUlT_E_NS1_11comp_targetILNS1_3genE8ELNS1_11target_archE1030ELNS1_3gpuE2ELNS1_3repE0EEENS1_30default_config_static_selectorELNS0_4arch9wavefront6targetE0EEEvSN_: ; @_ZN7rocprim17ROCPRIM_400000_NS6detail17trampoline_kernelINS0_14default_configENS1_27lower_bound_config_selectorIilEEZNS1_14transform_implILb0ES3_S5_N6thrust23THRUST_200600_302600_NS17counting_iteratorIiNS8_11use_defaultESA_SA_EEPlZNS1_13binary_searchIS3_S5_PiSB_SC_NS1_21lower_bound_search_opENS8_6detail16wrapped_functionI11custom_lessbEEEE10hipError_tPvRmT1_T2_T3_mmT4_T5_P12ihipStream_tbEUlRKiE_EESK_SO_SP_mSQ_ST_bEUlT_E_NS1_11comp_targetILNS1_3genE8ELNS1_11target_archE1030ELNS1_3gpuE2ELNS1_3repE0EEENS1_30default_config_static_selectorELNS0_4arch9wavefront6targetE0EEEvSN_
; %bb.0:
	.section	.rodata,"a",@progbits
	.p2align	6, 0x0
	.amdhsa_kernel _ZN7rocprim17ROCPRIM_400000_NS6detail17trampoline_kernelINS0_14default_configENS1_27lower_bound_config_selectorIilEEZNS1_14transform_implILb0ES3_S5_N6thrust23THRUST_200600_302600_NS17counting_iteratorIiNS8_11use_defaultESA_SA_EEPlZNS1_13binary_searchIS3_S5_PiSB_SC_NS1_21lower_bound_search_opENS8_6detail16wrapped_functionI11custom_lessbEEEE10hipError_tPvRmT1_T2_T3_mmT4_T5_P12ihipStream_tbEUlRKiE_EESK_SO_SP_mSQ_ST_bEUlT_E_NS1_11comp_targetILNS1_3genE8ELNS1_11target_archE1030ELNS1_3gpuE2ELNS1_3repE0EEENS1_30default_config_static_selectorELNS0_4arch9wavefront6targetE0EEEvSN_
		.amdhsa_group_segment_fixed_size 0
		.amdhsa_private_segment_fixed_size 0
		.amdhsa_kernarg_size 56
		.amdhsa_user_sgpr_count 15
		.amdhsa_user_sgpr_dispatch_ptr 0
		.amdhsa_user_sgpr_queue_ptr 0
		.amdhsa_user_sgpr_kernarg_segment_ptr 1
		.amdhsa_user_sgpr_dispatch_id 0
		.amdhsa_user_sgpr_private_segment_size 0
		.amdhsa_wavefront_size32 1
		.amdhsa_uses_dynamic_stack 0
		.amdhsa_enable_private_segment 0
		.amdhsa_system_sgpr_workgroup_id_x 1
		.amdhsa_system_sgpr_workgroup_id_y 0
		.amdhsa_system_sgpr_workgroup_id_z 0
		.amdhsa_system_sgpr_workgroup_info 0
		.amdhsa_system_vgpr_workitem_id 0
		.amdhsa_next_free_vgpr 1
		.amdhsa_next_free_sgpr 1
		.amdhsa_reserve_vcc 0
		.amdhsa_float_round_mode_32 0
		.amdhsa_float_round_mode_16_64 0
		.amdhsa_float_denorm_mode_32 3
		.amdhsa_float_denorm_mode_16_64 3
		.amdhsa_dx10_clamp 1
		.amdhsa_ieee_mode 1
		.amdhsa_fp16_overflow 0
		.amdhsa_workgroup_processor_mode 1
		.amdhsa_memory_ordered 1
		.amdhsa_forward_progress 0
		.amdhsa_shared_vgpr_count 0
		.amdhsa_exception_fp_ieee_invalid_op 0
		.amdhsa_exception_fp_denorm_src 0
		.amdhsa_exception_fp_ieee_div_zero 0
		.amdhsa_exception_fp_ieee_overflow 0
		.amdhsa_exception_fp_ieee_underflow 0
		.amdhsa_exception_fp_ieee_inexact 0
		.amdhsa_exception_int_div_zero 0
	.end_amdhsa_kernel
	.section	.text._ZN7rocprim17ROCPRIM_400000_NS6detail17trampoline_kernelINS0_14default_configENS1_27lower_bound_config_selectorIilEEZNS1_14transform_implILb0ES3_S5_N6thrust23THRUST_200600_302600_NS17counting_iteratorIiNS8_11use_defaultESA_SA_EEPlZNS1_13binary_searchIS3_S5_PiSB_SC_NS1_21lower_bound_search_opENS8_6detail16wrapped_functionI11custom_lessbEEEE10hipError_tPvRmT1_T2_T3_mmT4_T5_P12ihipStream_tbEUlRKiE_EESK_SO_SP_mSQ_ST_bEUlT_E_NS1_11comp_targetILNS1_3genE8ELNS1_11target_archE1030ELNS1_3gpuE2ELNS1_3repE0EEENS1_30default_config_static_selectorELNS0_4arch9wavefront6targetE0EEEvSN_,"axG",@progbits,_ZN7rocprim17ROCPRIM_400000_NS6detail17trampoline_kernelINS0_14default_configENS1_27lower_bound_config_selectorIilEEZNS1_14transform_implILb0ES3_S5_N6thrust23THRUST_200600_302600_NS17counting_iteratorIiNS8_11use_defaultESA_SA_EEPlZNS1_13binary_searchIS3_S5_PiSB_SC_NS1_21lower_bound_search_opENS8_6detail16wrapped_functionI11custom_lessbEEEE10hipError_tPvRmT1_T2_T3_mmT4_T5_P12ihipStream_tbEUlRKiE_EESK_SO_SP_mSQ_ST_bEUlT_E_NS1_11comp_targetILNS1_3genE8ELNS1_11target_archE1030ELNS1_3gpuE2ELNS1_3repE0EEENS1_30default_config_static_selectorELNS0_4arch9wavefront6targetE0EEEvSN_,comdat
.Lfunc_end76:
	.size	_ZN7rocprim17ROCPRIM_400000_NS6detail17trampoline_kernelINS0_14default_configENS1_27lower_bound_config_selectorIilEEZNS1_14transform_implILb0ES3_S5_N6thrust23THRUST_200600_302600_NS17counting_iteratorIiNS8_11use_defaultESA_SA_EEPlZNS1_13binary_searchIS3_S5_PiSB_SC_NS1_21lower_bound_search_opENS8_6detail16wrapped_functionI11custom_lessbEEEE10hipError_tPvRmT1_T2_T3_mmT4_T5_P12ihipStream_tbEUlRKiE_EESK_SO_SP_mSQ_ST_bEUlT_E_NS1_11comp_targetILNS1_3genE8ELNS1_11target_archE1030ELNS1_3gpuE2ELNS1_3repE0EEENS1_30default_config_static_selectorELNS0_4arch9wavefront6targetE0EEEvSN_, .Lfunc_end76-_ZN7rocprim17ROCPRIM_400000_NS6detail17trampoline_kernelINS0_14default_configENS1_27lower_bound_config_selectorIilEEZNS1_14transform_implILb0ES3_S5_N6thrust23THRUST_200600_302600_NS17counting_iteratorIiNS8_11use_defaultESA_SA_EEPlZNS1_13binary_searchIS3_S5_PiSB_SC_NS1_21lower_bound_search_opENS8_6detail16wrapped_functionI11custom_lessbEEEE10hipError_tPvRmT1_T2_T3_mmT4_T5_P12ihipStream_tbEUlRKiE_EESK_SO_SP_mSQ_ST_bEUlT_E_NS1_11comp_targetILNS1_3genE8ELNS1_11target_archE1030ELNS1_3gpuE2ELNS1_3repE0EEENS1_30default_config_static_selectorELNS0_4arch9wavefront6targetE0EEEvSN_
                                        ; -- End function
	.section	.AMDGPU.csdata,"",@progbits
; Kernel info:
; codeLenInByte = 0
; NumSgprs: 0
; NumVgprs: 0
; ScratchSize: 0
; MemoryBound: 0
; FloatMode: 240
; IeeeMode: 1
; LDSByteSize: 0 bytes/workgroup (compile time only)
; SGPRBlocks: 0
; VGPRBlocks: 0
; NumSGPRsForWavesPerEU: 1
; NumVGPRsForWavesPerEU: 1
; Occupancy: 16
; WaveLimiterHint : 0
; COMPUTE_PGM_RSRC2:SCRATCH_EN: 0
; COMPUTE_PGM_RSRC2:USER_SGPR: 15
; COMPUTE_PGM_RSRC2:TRAP_HANDLER: 0
; COMPUTE_PGM_RSRC2:TGID_X_EN: 1
; COMPUTE_PGM_RSRC2:TGID_Y_EN: 0
; COMPUTE_PGM_RSRC2:TGID_Z_EN: 0
; COMPUTE_PGM_RSRC2:TIDIG_COMP_CNT: 0
	.section	.text._ZN6thrust23THRUST_200600_302600_NS11hip_rocprim14__parallel_for6kernelILj256ENS1_20__uninitialized_fill7functorINS0_10device_ptrIsEEsEEmLj1EEEvT0_T1_SA_,"axG",@progbits,_ZN6thrust23THRUST_200600_302600_NS11hip_rocprim14__parallel_for6kernelILj256ENS1_20__uninitialized_fill7functorINS0_10device_ptrIsEEsEEmLj1EEEvT0_T1_SA_,comdat
	.protected	_ZN6thrust23THRUST_200600_302600_NS11hip_rocprim14__parallel_for6kernelILj256ENS1_20__uninitialized_fill7functorINS0_10device_ptrIsEEsEEmLj1EEEvT0_T1_SA_ ; -- Begin function _ZN6thrust23THRUST_200600_302600_NS11hip_rocprim14__parallel_for6kernelILj256ENS1_20__uninitialized_fill7functorINS0_10device_ptrIsEEsEEmLj1EEEvT0_T1_SA_
	.globl	_ZN6thrust23THRUST_200600_302600_NS11hip_rocprim14__parallel_for6kernelILj256ENS1_20__uninitialized_fill7functorINS0_10device_ptrIsEEsEEmLj1EEEvT0_T1_SA_
	.p2align	8
	.type	_ZN6thrust23THRUST_200600_302600_NS11hip_rocprim14__parallel_for6kernelILj256ENS1_20__uninitialized_fill7functorINS0_10device_ptrIsEEsEEmLj1EEEvT0_T1_SA_,@function
_ZN6thrust23THRUST_200600_302600_NS11hip_rocprim14__parallel_for6kernelILj256ENS1_20__uninitialized_fill7functorINS0_10device_ptrIsEEsEEmLj1EEEvT0_T1_SA_: ; @_ZN6thrust23THRUST_200600_302600_NS11hip_rocprim14__parallel_for6kernelILj256ENS1_20__uninitialized_fill7functorINS0_10device_ptrIsEEsEEmLj1EEEvT0_T1_SA_
; %bb.0:
	s_load_b128 s[4:7], s[0:1], 0x10
	s_lshl_b32 s2, s15, 8
	s_waitcnt lgkmcnt(0)
	s_add_u32 s2, s2, s6
	s_addc_u32 s3, 0, s7
	s_sub_u32 s4, s4, s2
	s_subb_u32 s5, s5, s3
	s_delay_alu instid0(SALU_CYCLE_1) | instskip(NEXT) | instid1(VALU_DEP_1)
	v_cmp_gt_u64_e64 s5, 0x100, s[4:5]
	s_and_b32 vcc_lo, exec_lo, s5
	s_mov_b32 s5, 0
	s_cbranch_vccz .LBB77_2
; %bb.1:
	v_cmp_gt_u32_e32 vcc_lo, s4, v0
	s_and_b32 s5, vcc_lo, exec_lo
	s_cbranch_execz .LBB77_3
	s_branch .LBB77_4
.LBB77_2:
.LBB77_3:
	s_or_b32 s5, s5, exec_lo
.LBB77_4:
	s_delay_alu instid0(SALU_CYCLE_1)
	s_and_saveexec_b32 s4, s5
	s_cbranch_execnz .LBB77_6
; %bb.5:
	s_endpgm
.LBB77_6:
	s_clause 0x1
	s_load_b64 s[4:5], s[0:1], 0x0
	s_load_b32 s6, s[0:1], 0x8
	v_mov_b32_e32 v1, 0
	s_lshl_b64 s[0:1], s[2:3], 1
	s_waitcnt lgkmcnt(0)
	s_add_u32 s0, s4, s0
	v_mov_b32_e32 v2, s6
	v_lshlrev_b64 v[0:1], 1, v[0:1]
	s_addc_u32 s1, s5, s1
	s_delay_alu instid0(VALU_DEP_1) | instskip(NEXT) | instid1(VALU_DEP_2)
	v_add_co_u32 v0, vcc_lo, s0, v0
	v_add_co_ci_u32_e32 v1, vcc_lo, s1, v1, vcc_lo
	flat_store_b16 v[0:1], v2
	s_endpgm
	.section	.rodata,"a",@progbits
	.p2align	6, 0x0
	.amdhsa_kernel _ZN6thrust23THRUST_200600_302600_NS11hip_rocprim14__parallel_for6kernelILj256ENS1_20__uninitialized_fill7functorINS0_10device_ptrIsEEsEEmLj1EEEvT0_T1_SA_
		.amdhsa_group_segment_fixed_size 0
		.amdhsa_private_segment_fixed_size 0
		.amdhsa_kernarg_size 32
		.amdhsa_user_sgpr_count 15
		.amdhsa_user_sgpr_dispatch_ptr 0
		.amdhsa_user_sgpr_queue_ptr 0
		.amdhsa_user_sgpr_kernarg_segment_ptr 1
		.amdhsa_user_sgpr_dispatch_id 0
		.amdhsa_user_sgpr_private_segment_size 0
		.amdhsa_wavefront_size32 1
		.amdhsa_uses_dynamic_stack 0
		.amdhsa_enable_private_segment 0
		.amdhsa_system_sgpr_workgroup_id_x 1
		.amdhsa_system_sgpr_workgroup_id_y 0
		.amdhsa_system_sgpr_workgroup_id_z 0
		.amdhsa_system_sgpr_workgroup_info 0
		.amdhsa_system_vgpr_workitem_id 0
		.amdhsa_next_free_vgpr 3
		.amdhsa_next_free_sgpr 16
		.amdhsa_reserve_vcc 1
		.amdhsa_float_round_mode_32 0
		.amdhsa_float_round_mode_16_64 0
		.amdhsa_float_denorm_mode_32 3
		.amdhsa_float_denorm_mode_16_64 3
		.amdhsa_dx10_clamp 1
		.amdhsa_ieee_mode 1
		.amdhsa_fp16_overflow 0
		.amdhsa_workgroup_processor_mode 1
		.amdhsa_memory_ordered 1
		.amdhsa_forward_progress 0
		.amdhsa_shared_vgpr_count 0
		.amdhsa_exception_fp_ieee_invalid_op 0
		.amdhsa_exception_fp_denorm_src 0
		.amdhsa_exception_fp_ieee_div_zero 0
		.amdhsa_exception_fp_ieee_overflow 0
		.amdhsa_exception_fp_ieee_underflow 0
		.amdhsa_exception_fp_ieee_inexact 0
		.amdhsa_exception_int_div_zero 0
	.end_amdhsa_kernel
	.section	.text._ZN6thrust23THRUST_200600_302600_NS11hip_rocprim14__parallel_for6kernelILj256ENS1_20__uninitialized_fill7functorINS0_10device_ptrIsEEsEEmLj1EEEvT0_T1_SA_,"axG",@progbits,_ZN6thrust23THRUST_200600_302600_NS11hip_rocprim14__parallel_for6kernelILj256ENS1_20__uninitialized_fill7functorINS0_10device_ptrIsEEsEEmLj1EEEvT0_T1_SA_,comdat
.Lfunc_end77:
	.size	_ZN6thrust23THRUST_200600_302600_NS11hip_rocprim14__parallel_for6kernelILj256ENS1_20__uninitialized_fill7functorINS0_10device_ptrIsEEsEEmLj1EEEvT0_T1_SA_, .Lfunc_end77-_ZN6thrust23THRUST_200600_302600_NS11hip_rocprim14__parallel_for6kernelILj256ENS1_20__uninitialized_fill7functorINS0_10device_ptrIsEEsEEmLj1EEEvT0_T1_SA_
                                        ; -- End function
	.section	.AMDGPU.csdata,"",@progbits
; Kernel info:
; codeLenInByte = 176
; NumSgprs: 18
; NumVgprs: 3
; ScratchSize: 0
; MemoryBound: 0
; FloatMode: 240
; IeeeMode: 1
; LDSByteSize: 0 bytes/workgroup (compile time only)
; SGPRBlocks: 2
; VGPRBlocks: 0
; NumSGPRsForWavesPerEU: 18
; NumVGPRsForWavesPerEU: 3
; Occupancy: 16
; WaveLimiterHint : 0
; COMPUTE_PGM_RSRC2:SCRATCH_EN: 0
; COMPUTE_PGM_RSRC2:USER_SGPR: 15
; COMPUTE_PGM_RSRC2:TRAP_HANDLER: 0
; COMPUTE_PGM_RSRC2:TGID_X_EN: 1
; COMPUTE_PGM_RSRC2:TGID_Y_EN: 0
; COMPUTE_PGM_RSRC2:TGID_Z_EN: 0
; COMPUTE_PGM_RSRC2:TIDIG_COMP_CNT: 0
	.section	.text._Z18lower_bound_kernelIsEvmPT_Pl,"axG",@progbits,_Z18lower_bound_kernelIsEvmPT_Pl,comdat
	.protected	_Z18lower_bound_kernelIsEvmPT_Pl ; -- Begin function _Z18lower_bound_kernelIsEvmPT_Pl
	.globl	_Z18lower_bound_kernelIsEvmPT_Pl
	.p2align	8
	.type	_Z18lower_bound_kernelIsEvmPT_Pl,@function
_Z18lower_bound_kernelIsEvmPT_Pl:       ; @_Z18lower_bound_kernelIsEvmPT_Pl
; %bb.0:
	s_clause 0x1
	s_load_b128 s[4:7], s[0:1], 0x0
	s_load_b64 s[2:3], s[0:1], 0x10
	s_mov_b64 s[8:9], 0
	s_waitcnt lgkmcnt(0)
	v_cmp_lt_i64_e64 s0, s[4:5], 1
	s_delay_alu instid0(VALU_DEP_1) | instskip(NEXT) | instid1(SALU_CYCLE_1)
	s_and_b32 s0, exec_lo, s0
	s_mov_b32 vcc_lo, s0
	s_cbranch_vccnz .LBB78_3
; %bb.1:
	v_mov_b32_e32 v0, 0
	s_mov_b64 s[10:11], s[4:5]
	.p2align	6
.LBB78_2:                               ; =>This Inner Loop Header: Depth=1
	s_delay_alu instid0(SALU_CYCLE_1) | instskip(SKIP_1) | instid1(SALU_CYCLE_1)
	s_sub_u32 s1, s10, s8
	s_subb_u32 s13, s11, s9
	s_lshr_b32 s12, s13, 31
	s_delay_alu instid0(SALU_CYCLE_1) | instskip(SKIP_1) | instid1(SALU_CYCLE_1)
	s_add_u32 s12, s1, s12
	s_addc_u32 s13, s13, 0
	s_ashr_i64 s[12:13], s[12:13], 1
	s_delay_alu instid0(SALU_CYCLE_1) | instskip(SKIP_1) | instid1(SALU_CYCLE_1)
	s_add_u32 s12, s12, s8
	s_addc_u32 s13, s13, s9
	s_lshl_b64 s[14:15], s[12:13], 1
	s_delay_alu instid0(SALU_CYCLE_1)
	s_add_u32 s14, s6, s14
	s_addc_u32 s15, s7, s15
	s_add_u32 s1, s12, 1
	global_load_i16 v1, v0, s[14:15]
	s_addc_u32 s15, s13, 0
	s_waitcnt vmcnt(0)
	v_readfirstlane_b32 s14, v1
	s_delay_alu instid0(VALU_DEP_1) | instskip(SKIP_4) | instid1(SALU_CYCLE_1)
	s_cmp_lt_i32 s14, 0
	s_cselect_b32 s9, s15, s9
	s_cselect_b32 s8, s1, s8
	s_cselect_b32 s11, s11, s13
	s_cselect_b32 s10, s10, s12
	v_cmp_lt_i64_e64 s1, s[8:9], s[10:11]
	s_delay_alu instid0(VALU_DEP_1)
	s_and_b32 vcc_lo, exec_lo, s1
	s_cbranch_vccnz .LBB78_2
.LBB78_3:
	v_cmp_gt_i64_e64 s10, s[4:5], 0
	v_dual_mov_b32 v1, s8 :: v_dual_mov_b32 v2, s9
	s_mov_b64 s[8:9], 0
	s_delay_alu instid0(VALU_DEP_2) | instskip(SKIP_1) | instid1(VALU_DEP_1)
	v_cndmask_b32_e64 v0, 0, 1, s10
	s_and_not1_b32 vcc_lo, exec_lo, s10
	v_cmp_ne_u32_e64 s1, 1, v0
	v_mov_b32_e32 v0, 0
	global_store_b64 v0, v[1:2], s[2:3]
	s_cbranch_vccnz .LBB78_6
; %bb.4:
	s_mov_b64 s[10:11], s[4:5]
	.p2align	6
.LBB78_5:                               ; =>This Inner Loop Header: Depth=1
	s_delay_alu instid0(SALU_CYCLE_1) | instskip(SKIP_1) | instid1(SALU_CYCLE_1)
	s_sub_u32 s12, s10, s8
	s_subb_u32 s13, s11, s9
	s_lshr_b32 s14, s13, 31
	s_delay_alu instid0(SALU_CYCLE_1) | instskip(SKIP_1) | instid1(SALU_CYCLE_1)
	s_add_u32 s12, s12, s14
	s_addc_u32 s13, s13, 0
	s_ashr_i64 s[12:13], s[12:13], 1
	s_delay_alu instid0(SALU_CYCLE_1) | instskip(SKIP_1) | instid1(SALU_CYCLE_1)
	s_add_u32 s12, s12, s8
	s_addc_u32 s13, s13, s9
	s_lshl_b64 s[14:15], s[12:13], 1
	s_delay_alu instid0(SALU_CYCLE_1)
	s_add_u32 s14, s6, s14
	s_addc_u32 s15, s7, s15
	global_load_i16 v1, v0, s[14:15]
	s_add_u32 s14, s12, 1
	s_addc_u32 s16, s13, 0
	s_waitcnt vmcnt(0)
	v_readfirstlane_b32 s15, v1
	s_delay_alu instid0(VALU_DEP_1) | instskip(SKIP_4) | instid1(SALU_CYCLE_1)
	s_cmp_lt_i32 s15, 1
	s_cselect_b32 s9, s16, s9
	s_cselect_b32 s8, s14, s8
	;; [unrolled: 1-line block ×4, first 2 shown]
	v_cmp_lt_i64_e64 s12, s[8:9], s[10:11]
	s_delay_alu instid0(VALU_DEP_1)
	s_and_b32 vcc_lo, exec_lo, s12
	s_cbranch_vccnz .LBB78_5
.LBB78_6:
	v_dual_mov_b32 v0, 0 :: v_dual_mov_b32 v1, s8
	v_mov_b32_e32 v2, s9
	s_and_b32 vcc_lo, exec_lo, s1
	s_mov_b64 s[8:9], 0
	global_store_b64 v0, v[1:2], s[2:3] offset:8
	s_cbranch_vccnz .LBB78_9
; %bb.7:
	s_mov_b64 s[10:11], s[4:5]
	.p2align	6
.LBB78_8:                               ; =>This Inner Loop Header: Depth=1
	s_delay_alu instid0(SALU_CYCLE_1) | instskip(SKIP_1) | instid1(SALU_CYCLE_1)
	s_sub_u32 s12, s10, s8
	s_subb_u32 s13, s11, s9
	s_lshr_b32 s14, s13, 31
	s_delay_alu instid0(SALU_CYCLE_1) | instskip(SKIP_1) | instid1(SALU_CYCLE_1)
	s_add_u32 s12, s12, s14
	s_addc_u32 s13, s13, 0
	s_ashr_i64 s[12:13], s[12:13], 1
	s_delay_alu instid0(SALU_CYCLE_1) | instskip(SKIP_1) | instid1(SALU_CYCLE_1)
	s_add_u32 s12, s12, s8
	s_addc_u32 s13, s13, s9
	s_lshl_b64 s[14:15], s[12:13], 1
	s_delay_alu instid0(SALU_CYCLE_1)
	s_add_u32 s14, s6, s14
	s_addc_u32 s15, s7, s15
	global_load_i16 v1, v0, s[14:15]
	s_add_u32 s14, s12, 1
	s_addc_u32 s16, s13, 0
	s_waitcnt vmcnt(0)
	v_readfirstlane_b32 s15, v1
	s_delay_alu instid0(VALU_DEP_1) | instskip(SKIP_4) | instid1(SALU_CYCLE_1)
	s_cmp_lt_i32 s15, 2
	s_cselect_b32 s9, s16, s9
	s_cselect_b32 s8, s14, s8
	;; [unrolled: 1-line block ×4, first 2 shown]
	v_cmp_lt_i64_e64 s12, s[8:9], s[10:11]
	s_delay_alu instid0(VALU_DEP_1)
	s_and_b32 vcc_lo, exec_lo, s12
	s_cbranch_vccnz .LBB78_8
.LBB78_9:
	v_dual_mov_b32 v0, 0 :: v_dual_mov_b32 v1, s8
	v_mov_b32_e32 v2, s9
	s_and_b32 vcc_lo, exec_lo, s1
	s_mov_b64 s[8:9], 0
	global_store_b64 v0, v[1:2], s[2:3] offset:16
	s_cbranch_vccnz .LBB78_12
; %bb.10:
	s_mov_b64 s[10:11], s[4:5]
	.p2align	6
.LBB78_11:                              ; =>This Inner Loop Header: Depth=1
	s_delay_alu instid0(SALU_CYCLE_1) | instskip(SKIP_1) | instid1(SALU_CYCLE_1)
	s_sub_u32 s12, s10, s8
	s_subb_u32 s13, s11, s9
	s_lshr_b32 s14, s13, 31
	s_delay_alu instid0(SALU_CYCLE_1) | instskip(SKIP_1) | instid1(SALU_CYCLE_1)
	s_add_u32 s12, s12, s14
	s_addc_u32 s13, s13, 0
	s_ashr_i64 s[12:13], s[12:13], 1
	s_delay_alu instid0(SALU_CYCLE_1) | instskip(SKIP_1) | instid1(SALU_CYCLE_1)
	s_add_u32 s12, s12, s8
	s_addc_u32 s13, s13, s9
	s_lshl_b64 s[14:15], s[12:13], 1
	s_delay_alu instid0(SALU_CYCLE_1)
	s_add_u32 s14, s6, s14
	s_addc_u32 s15, s7, s15
	global_load_i16 v1, v0, s[14:15]
	s_add_u32 s14, s12, 1
	s_addc_u32 s16, s13, 0
	s_waitcnt vmcnt(0)
	v_readfirstlane_b32 s15, v1
	s_delay_alu instid0(VALU_DEP_1) | instskip(SKIP_4) | instid1(SALU_CYCLE_1)
	s_cmp_lt_i32 s15, 3
	s_cselect_b32 s9, s16, s9
	s_cselect_b32 s8, s14, s8
	;; [unrolled: 1-line block ×4, first 2 shown]
	v_cmp_lt_i64_e64 s12, s[8:9], s[10:11]
	s_delay_alu instid0(VALU_DEP_1)
	s_and_b32 vcc_lo, exec_lo, s12
	s_cbranch_vccnz .LBB78_11
.LBB78_12:
	v_dual_mov_b32 v0, 0 :: v_dual_mov_b32 v1, s8
	v_mov_b32_e32 v2, s9
	s_and_b32 vcc_lo, exec_lo, s1
	s_mov_b64 s[8:9], 0
	global_store_b64 v0, v[1:2], s[2:3] offset:24
	s_cbranch_vccnz .LBB78_15
; %bb.13:
	s_mov_b64 s[10:11], s[4:5]
	.p2align	6
.LBB78_14:                              ; =>This Inner Loop Header: Depth=1
	s_delay_alu instid0(SALU_CYCLE_1) | instskip(SKIP_1) | instid1(SALU_CYCLE_1)
	s_sub_u32 s12, s10, s8
	s_subb_u32 s13, s11, s9
	s_lshr_b32 s14, s13, 31
	s_delay_alu instid0(SALU_CYCLE_1) | instskip(SKIP_1) | instid1(SALU_CYCLE_1)
	s_add_u32 s12, s12, s14
	s_addc_u32 s13, s13, 0
	s_ashr_i64 s[12:13], s[12:13], 1
	s_delay_alu instid0(SALU_CYCLE_1) | instskip(SKIP_1) | instid1(SALU_CYCLE_1)
	s_add_u32 s12, s12, s8
	s_addc_u32 s13, s13, s9
	s_lshl_b64 s[14:15], s[12:13], 1
	s_delay_alu instid0(SALU_CYCLE_1)
	s_add_u32 s14, s6, s14
	s_addc_u32 s15, s7, s15
	global_load_i16 v1, v0, s[14:15]
	s_add_u32 s14, s12, 1
	s_addc_u32 s16, s13, 0
	s_waitcnt vmcnt(0)
	v_readfirstlane_b32 s15, v1
	s_delay_alu instid0(VALU_DEP_1) | instskip(SKIP_4) | instid1(SALU_CYCLE_1)
	s_cmp_lt_i32 s15, 4
	s_cselect_b32 s9, s16, s9
	s_cselect_b32 s8, s14, s8
	s_cselect_b32 s11, s11, s13
	s_cselect_b32 s10, s10, s12
	v_cmp_lt_i64_e64 s12, s[8:9], s[10:11]
	s_delay_alu instid0(VALU_DEP_1)
	s_and_b32 vcc_lo, exec_lo, s12
	s_cbranch_vccnz .LBB78_14
.LBB78_15:
	v_dual_mov_b32 v0, 0 :: v_dual_mov_b32 v1, s8
	v_mov_b32_e32 v2, s9
	s_and_b32 vcc_lo, exec_lo, s1
	s_mov_b64 s[8:9], 0
	global_store_b64 v0, v[1:2], s[2:3] offset:32
	s_cbranch_vccnz .LBB78_18
; %bb.16:
	s_mov_b64 s[10:11], s[4:5]
	.p2align	6
.LBB78_17:                              ; =>This Inner Loop Header: Depth=1
	s_delay_alu instid0(SALU_CYCLE_1) | instskip(SKIP_1) | instid1(SALU_CYCLE_1)
	s_sub_u32 s12, s10, s8
	s_subb_u32 s13, s11, s9
	s_lshr_b32 s14, s13, 31
	s_delay_alu instid0(SALU_CYCLE_1) | instskip(SKIP_1) | instid1(SALU_CYCLE_1)
	s_add_u32 s12, s12, s14
	s_addc_u32 s13, s13, 0
	s_ashr_i64 s[12:13], s[12:13], 1
	s_delay_alu instid0(SALU_CYCLE_1) | instskip(SKIP_1) | instid1(SALU_CYCLE_1)
	s_add_u32 s12, s12, s8
	s_addc_u32 s13, s13, s9
	s_lshl_b64 s[14:15], s[12:13], 1
	s_delay_alu instid0(SALU_CYCLE_1)
	s_add_u32 s14, s6, s14
	s_addc_u32 s15, s7, s15
	global_load_i16 v1, v0, s[14:15]
	s_add_u32 s14, s12, 1
	s_addc_u32 s16, s13, 0
	s_waitcnt vmcnt(0)
	v_readfirstlane_b32 s15, v1
	s_delay_alu instid0(VALU_DEP_1) | instskip(SKIP_4) | instid1(SALU_CYCLE_1)
	s_cmp_lt_i32 s15, 5
	s_cselect_b32 s9, s16, s9
	s_cselect_b32 s8, s14, s8
	;; [unrolled: 1-line block ×4, first 2 shown]
	v_cmp_lt_i64_e64 s12, s[8:9], s[10:11]
	s_delay_alu instid0(VALU_DEP_1)
	s_and_b32 vcc_lo, exec_lo, s12
	s_cbranch_vccnz .LBB78_17
.LBB78_18:
	v_dual_mov_b32 v0, 0 :: v_dual_mov_b32 v1, s8
	v_mov_b32_e32 v2, s9
	s_and_b32 vcc_lo, exec_lo, s1
	s_mov_b64 s[8:9], 0
	global_store_b64 v0, v[1:2], s[2:3] offset:40
	s_cbranch_vccnz .LBB78_21
; %bb.19:
	s_mov_b64 s[10:11], s[4:5]
	.p2align	6
.LBB78_20:                              ; =>This Inner Loop Header: Depth=1
	s_delay_alu instid0(SALU_CYCLE_1) | instskip(SKIP_1) | instid1(SALU_CYCLE_1)
	s_sub_u32 s12, s10, s8
	s_subb_u32 s13, s11, s9
	s_lshr_b32 s14, s13, 31
	s_delay_alu instid0(SALU_CYCLE_1) | instskip(SKIP_1) | instid1(SALU_CYCLE_1)
	s_add_u32 s12, s12, s14
	s_addc_u32 s13, s13, 0
	s_ashr_i64 s[12:13], s[12:13], 1
	s_delay_alu instid0(SALU_CYCLE_1) | instskip(SKIP_1) | instid1(SALU_CYCLE_1)
	s_add_u32 s12, s12, s8
	s_addc_u32 s13, s13, s9
	s_lshl_b64 s[14:15], s[12:13], 1
	s_delay_alu instid0(SALU_CYCLE_1)
	s_add_u32 s14, s6, s14
	s_addc_u32 s15, s7, s15
	global_load_i16 v1, v0, s[14:15]
	s_add_u32 s14, s12, 1
	s_addc_u32 s16, s13, 0
	s_waitcnt vmcnt(0)
	v_readfirstlane_b32 s15, v1
	s_delay_alu instid0(VALU_DEP_1) | instskip(SKIP_4) | instid1(SALU_CYCLE_1)
	s_cmp_lt_i32 s15, 6
	s_cselect_b32 s9, s16, s9
	s_cselect_b32 s8, s14, s8
	;; [unrolled: 1-line block ×4, first 2 shown]
	v_cmp_lt_i64_e64 s12, s[8:9], s[10:11]
	s_delay_alu instid0(VALU_DEP_1)
	s_and_b32 vcc_lo, exec_lo, s12
	s_cbranch_vccnz .LBB78_20
.LBB78_21:
	v_dual_mov_b32 v0, 0 :: v_dual_mov_b32 v1, s8
	v_mov_b32_e32 v2, s9
	s_and_b32 vcc_lo, exec_lo, s1
	s_mov_b64 s[8:9], 0
	global_store_b64 v0, v[1:2], s[2:3] offset:48
	s_cbranch_vccnz .LBB78_24
; %bb.22:
	s_mov_b64 s[10:11], s[4:5]
	.p2align	6
.LBB78_23:                              ; =>This Inner Loop Header: Depth=1
	s_delay_alu instid0(SALU_CYCLE_1) | instskip(SKIP_1) | instid1(SALU_CYCLE_1)
	s_sub_u32 s1, s10, s8
	s_subb_u32 s13, s11, s9
	s_lshr_b32 s12, s13, 31
	s_delay_alu instid0(SALU_CYCLE_1) | instskip(SKIP_1) | instid1(SALU_CYCLE_1)
	s_add_u32 s12, s1, s12
	s_addc_u32 s13, s13, 0
	s_ashr_i64 s[12:13], s[12:13], 1
	s_delay_alu instid0(SALU_CYCLE_1) | instskip(SKIP_1) | instid1(SALU_CYCLE_1)
	s_add_u32 s12, s12, s8
	s_addc_u32 s13, s13, s9
	s_lshl_b64 s[14:15], s[12:13], 1
	s_delay_alu instid0(SALU_CYCLE_1)
	s_add_u32 s14, s6, s14
	s_addc_u32 s15, s7, s15
	s_add_u32 s1, s12, 1
	global_load_i16 v1, v0, s[14:15]
	s_addc_u32 s15, s13, 0
	s_waitcnt vmcnt(0)
	v_readfirstlane_b32 s14, v1
	s_delay_alu instid0(VALU_DEP_1) | instskip(SKIP_4) | instid1(SALU_CYCLE_1)
	s_cmp_lt_i32 s14, 7
	s_cselect_b32 s9, s15, s9
	s_cselect_b32 s8, s1, s8
	;; [unrolled: 1-line block ×4, first 2 shown]
	v_cmp_lt_i64_e64 s1, s[8:9], s[10:11]
	s_delay_alu instid0(VALU_DEP_1)
	s_and_b32 vcc_lo, exec_lo, s1
	s_cbranch_vccnz .LBB78_23
.LBB78_24:
	v_dual_mov_b32 v0, 0 :: v_dual_mov_b32 v1, s8
	v_mov_b32_e32 v2, s9
	s_mov_b32 vcc_lo, s0
	global_store_b64 v0, v[1:2], s[2:3] offset:56
	s_cbranch_vccz .LBB78_26
; %bb.25:
	v_mov_b32_e32 v1, v0
	s_mov_b64 s[0:1], 0
	global_store_b64 v0, v[0:1], s[2:3] offset:64
	s_cbranch_execz .LBB78_27
	s_branch .LBB78_31
.LBB78_26:
                                        ; implicit-def: $sgpr0_sgpr1
.LBB78_27:
	v_mov_b32_e32 v0, 0
	s_mov_b64 s[0:1], 0
	s_mov_b64 s[8:9], s[4:5]
	.p2align	6
.LBB78_28:                              ; =>This Inner Loop Header: Depth=1
	s_delay_alu instid0(SALU_CYCLE_1) | instskip(SKIP_1) | instid1(SALU_CYCLE_1)
	s_sub_u32 s10, s8, s0
	s_subb_u32 s11, s9, s1
	s_lshr_b32 s12, s11, 31
	s_delay_alu instid0(SALU_CYCLE_1) | instskip(SKIP_1) | instid1(SALU_CYCLE_1)
	s_add_u32 s10, s10, s12
	s_addc_u32 s11, s11, 0
	s_ashr_i64 s[10:11], s[10:11], 1
	s_delay_alu instid0(SALU_CYCLE_1) | instskip(SKIP_1) | instid1(SALU_CYCLE_1)
	s_add_u32 s10, s10, s0
	s_addc_u32 s11, s11, s1
	s_lshl_b64 s[12:13], s[10:11], 1
	s_delay_alu instid0(SALU_CYCLE_1)
	s_add_u32 s12, s6, s12
	s_addc_u32 s13, s7, s13
	global_load_i16 v1, v0, s[12:13]
	s_add_u32 s12, s10, 1
	s_addc_u32 s14, s11, 0
	s_waitcnt vmcnt(0)
	v_readfirstlane_b32 s13, v1
	s_delay_alu instid0(VALU_DEP_1) | instskip(SKIP_4) | instid1(SALU_CYCLE_1)
	s_cmp_lt_i32 s13, 8
	s_cselect_b32 s1, s14, s1
	s_cselect_b32 s0, s12, s0
	;; [unrolled: 1-line block ×4, first 2 shown]
	v_cmp_lt_i64_e64 s10, s[0:1], s[8:9]
	s_delay_alu instid0(VALU_DEP_1)
	s_and_b32 vcc_lo, exec_lo, s10
	s_cbranch_vccnz .LBB78_28
; %bb.29:
	v_mov_b32_e32 v2, s1
	v_dual_mov_b32 v0, 0 :: v_dual_mov_b32 v1, s0
	s_mov_b64 s[0:1], 0
	global_store_b64 v0, v[1:2], s[2:3] offset:64
	.p2align	6
.LBB78_30:                              ; =>This Inner Loop Header: Depth=1
	s_sub_u32 s8, s4, s0
	s_subb_u32 s9, s5, s1
	s_delay_alu instid0(SALU_CYCLE_1) | instskip(NEXT) | instid1(SALU_CYCLE_1)
	s_lshr_b32 s10, s9, 31
	s_add_u32 s8, s8, s10
	s_addc_u32 s9, s9, 0
	s_delay_alu instid0(SALU_CYCLE_1) | instskip(NEXT) | instid1(SALU_CYCLE_1)
	s_ashr_i64 s[8:9], s[8:9], 1
	s_add_u32 s8, s8, s0
	s_addc_u32 s9, s9, s1
	s_delay_alu instid0(SALU_CYCLE_1) | instskip(NEXT) | instid1(SALU_CYCLE_1)
	s_lshl_b64 s[10:11], s[8:9], 1
	s_add_u32 s10, s6, s10
	s_addc_u32 s11, s7, s11
	global_load_i16 v1, v0, s[10:11]
	s_add_u32 s10, s8, 1
	s_addc_u32 s12, s9, 0
	s_waitcnt vmcnt(0)
	v_readfirstlane_b32 s11, v1
	s_delay_alu instid0(VALU_DEP_1) | instskip(SKIP_4) | instid1(SALU_CYCLE_1)
	s_cmp_lt_i32 s11, 9
	s_cselect_b32 s1, s12, s1
	s_cselect_b32 s0, s10, s0
	s_cselect_b32 s5, s5, s9
	s_cselect_b32 s4, s4, s8
	v_cmp_ge_i64_e64 s8, s[0:1], s[4:5]
	s_delay_alu instid0(VALU_DEP_1)
	s_and_b32 vcc_lo, exec_lo, s8
	s_cbranch_vccz .LBB78_30
.LBB78_31:
	v_mov_b32_e32 v0, s0
	v_dual_mov_b32 v2, 0 :: v_dual_mov_b32 v1, s1
	global_store_b64 v2, v[0:1], s[2:3] offset:72
	s_nop 0
	s_sendmsg sendmsg(MSG_DEALLOC_VGPRS)
	s_endpgm
	.section	.rodata,"a",@progbits
	.p2align	6, 0x0
	.amdhsa_kernel _Z18lower_bound_kernelIsEvmPT_Pl
		.amdhsa_group_segment_fixed_size 0
		.amdhsa_private_segment_fixed_size 0
		.amdhsa_kernarg_size 24
		.amdhsa_user_sgpr_count 15
		.amdhsa_user_sgpr_dispatch_ptr 0
		.amdhsa_user_sgpr_queue_ptr 0
		.amdhsa_user_sgpr_kernarg_segment_ptr 1
		.amdhsa_user_sgpr_dispatch_id 0
		.amdhsa_user_sgpr_private_segment_size 0
		.amdhsa_wavefront_size32 1
		.amdhsa_uses_dynamic_stack 0
		.amdhsa_enable_private_segment 0
		.amdhsa_system_sgpr_workgroup_id_x 1
		.amdhsa_system_sgpr_workgroup_id_y 0
		.amdhsa_system_sgpr_workgroup_id_z 0
		.amdhsa_system_sgpr_workgroup_info 0
		.amdhsa_system_vgpr_workitem_id 0
		.amdhsa_next_free_vgpr 3
		.amdhsa_next_free_sgpr 17
		.amdhsa_reserve_vcc 1
		.amdhsa_float_round_mode_32 0
		.amdhsa_float_round_mode_16_64 0
		.amdhsa_float_denorm_mode_32 3
		.amdhsa_float_denorm_mode_16_64 3
		.amdhsa_dx10_clamp 1
		.amdhsa_ieee_mode 1
		.amdhsa_fp16_overflow 0
		.amdhsa_workgroup_processor_mode 1
		.amdhsa_memory_ordered 1
		.amdhsa_forward_progress 0
		.amdhsa_shared_vgpr_count 0
		.amdhsa_exception_fp_ieee_invalid_op 0
		.amdhsa_exception_fp_denorm_src 0
		.amdhsa_exception_fp_ieee_div_zero 0
		.amdhsa_exception_fp_ieee_overflow 0
		.amdhsa_exception_fp_ieee_underflow 0
		.amdhsa_exception_fp_ieee_inexact 0
		.amdhsa_exception_int_div_zero 0
	.end_amdhsa_kernel
	.section	.text._Z18lower_bound_kernelIsEvmPT_Pl,"axG",@progbits,_Z18lower_bound_kernelIsEvmPT_Pl,comdat
.Lfunc_end78:
	.size	_Z18lower_bound_kernelIsEvmPT_Pl, .Lfunc_end78-_Z18lower_bound_kernelIsEvmPT_Pl
                                        ; -- End function
	.section	.AMDGPU.csdata,"",@progbits
; Kernel info:
; codeLenInByte = 1736
; NumSgprs: 19
; NumVgprs: 3
; ScratchSize: 0
; MemoryBound: 0
; FloatMode: 240
; IeeeMode: 1
; LDSByteSize: 0 bytes/workgroup (compile time only)
; SGPRBlocks: 2
; VGPRBlocks: 0
; NumSGPRsForWavesPerEU: 19
; NumVGPRsForWavesPerEU: 3
; Occupancy: 16
; WaveLimiterHint : 0
; COMPUTE_PGM_RSRC2:SCRATCH_EN: 0
; COMPUTE_PGM_RSRC2:USER_SGPR: 15
; COMPUTE_PGM_RSRC2:TRAP_HANDLER: 0
; COMPUTE_PGM_RSRC2:TGID_X_EN: 1
; COMPUTE_PGM_RSRC2:TGID_Y_EN: 0
; COMPUTE_PGM_RSRC2:TGID_Z_EN: 0
; COMPUTE_PGM_RSRC2:TIDIG_COMP_CNT: 0
	.section	.text._ZN7rocprim17ROCPRIM_400000_NS6detail17trampoline_kernelINS0_14default_configENS1_27lower_bound_config_selectorIslEEZNS1_14transform_implILb0ES3_S5_N6thrust23THRUST_200600_302600_NS17counting_iteratorIsNS8_11use_defaultESA_SA_EEPlZNS1_13binary_searchIS3_S5_PsSB_SC_NS1_21lower_bound_search_opENS8_6detail16wrapped_functionI11custom_lessbEEEE10hipError_tPvRmT1_T2_T3_mmT4_T5_P12ihipStream_tbEUlRKsE_EESK_SO_SP_mSQ_ST_bEUlT_E_NS1_11comp_targetILNS1_3genE0ELNS1_11target_archE4294967295ELNS1_3gpuE0ELNS1_3repE0EEENS1_30default_config_static_selectorELNS0_4arch9wavefront6targetE0EEEvSN_,"axG",@progbits,_ZN7rocprim17ROCPRIM_400000_NS6detail17trampoline_kernelINS0_14default_configENS1_27lower_bound_config_selectorIslEEZNS1_14transform_implILb0ES3_S5_N6thrust23THRUST_200600_302600_NS17counting_iteratorIsNS8_11use_defaultESA_SA_EEPlZNS1_13binary_searchIS3_S5_PsSB_SC_NS1_21lower_bound_search_opENS8_6detail16wrapped_functionI11custom_lessbEEEE10hipError_tPvRmT1_T2_T3_mmT4_T5_P12ihipStream_tbEUlRKsE_EESK_SO_SP_mSQ_ST_bEUlT_E_NS1_11comp_targetILNS1_3genE0ELNS1_11target_archE4294967295ELNS1_3gpuE0ELNS1_3repE0EEENS1_30default_config_static_selectorELNS0_4arch9wavefront6targetE0EEEvSN_,comdat
	.protected	_ZN7rocprim17ROCPRIM_400000_NS6detail17trampoline_kernelINS0_14default_configENS1_27lower_bound_config_selectorIslEEZNS1_14transform_implILb0ES3_S5_N6thrust23THRUST_200600_302600_NS17counting_iteratorIsNS8_11use_defaultESA_SA_EEPlZNS1_13binary_searchIS3_S5_PsSB_SC_NS1_21lower_bound_search_opENS8_6detail16wrapped_functionI11custom_lessbEEEE10hipError_tPvRmT1_T2_T3_mmT4_T5_P12ihipStream_tbEUlRKsE_EESK_SO_SP_mSQ_ST_bEUlT_E_NS1_11comp_targetILNS1_3genE0ELNS1_11target_archE4294967295ELNS1_3gpuE0ELNS1_3repE0EEENS1_30default_config_static_selectorELNS0_4arch9wavefront6targetE0EEEvSN_ ; -- Begin function _ZN7rocprim17ROCPRIM_400000_NS6detail17trampoline_kernelINS0_14default_configENS1_27lower_bound_config_selectorIslEEZNS1_14transform_implILb0ES3_S5_N6thrust23THRUST_200600_302600_NS17counting_iteratorIsNS8_11use_defaultESA_SA_EEPlZNS1_13binary_searchIS3_S5_PsSB_SC_NS1_21lower_bound_search_opENS8_6detail16wrapped_functionI11custom_lessbEEEE10hipError_tPvRmT1_T2_T3_mmT4_T5_P12ihipStream_tbEUlRKsE_EESK_SO_SP_mSQ_ST_bEUlT_E_NS1_11comp_targetILNS1_3genE0ELNS1_11target_archE4294967295ELNS1_3gpuE0ELNS1_3repE0EEENS1_30default_config_static_selectorELNS0_4arch9wavefront6targetE0EEEvSN_
	.globl	_ZN7rocprim17ROCPRIM_400000_NS6detail17trampoline_kernelINS0_14default_configENS1_27lower_bound_config_selectorIslEEZNS1_14transform_implILb0ES3_S5_N6thrust23THRUST_200600_302600_NS17counting_iteratorIsNS8_11use_defaultESA_SA_EEPlZNS1_13binary_searchIS3_S5_PsSB_SC_NS1_21lower_bound_search_opENS8_6detail16wrapped_functionI11custom_lessbEEEE10hipError_tPvRmT1_T2_T3_mmT4_T5_P12ihipStream_tbEUlRKsE_EESK_SO_SP_mSQ_ST_bEUlT_E_NS1_11comp_targetILNS1_3genE0ELNS1_11target_archE4294967295ELNS1_3gpuE0ELNS1_3repE0EEENS1_30default_config_static_selectorELNS0_4arch9wavefront6targetE0EEEvSN_
	.p2align	8
	.type	_ZN7rocprim17ROCPRIM_400000_NS6detail17trampoline_kernelINS0_14default_configENS1_27lower_bound_config_selectorIslEEZNS1_14transform_implILb0ES3_S5_N6thrust23THRUST_200600_302600_NS17counting_iteratorIsNS8_11use_defaultESA_SA_EEPlZNS1_13binary_searchIS3_S5_PsSB_SC_NS1_21lower_bound_search_opENS8_6detail16wrapped_functionI11custom_lessbEEEE10hipError_tPvRmT1_T2_T3_mmT4_T5_P12ihipStream_tbEUlRKsE_EESK_SO_SP_mSQ_ST_bEUlT_E_NS1_11comp_targetILNS1_3genE0ELNS1_11target_archE4294967295ELNS1_3gpuE0ELNS1_3repE0EEENS1_30default_config_static_selectorELNS0_4arch9wavefront6targetE0EEEvSN_,@function
_ZN7rocprim17ROCPRIM_400000_NS6detail17trampoline_kernelINS0_14default_configENS1_27lower_bound_config_selectorIslEEZNS1_14transform_implILb0ES3_S5_N6thrust23THRUST_200600_302600_NS17counting_iteratorIsNS8_11use_defaultESA_SA_EEPlZNS1_13binary_searchIS3_S5_PsSB_SC_NS1_21lower_bound_search_opENS8_6detail16wrapped_functionI11custom_lessbEEEE10hipError_tPvRmT1_T2_T3_mmT4_T5_P12ihipStream_tbEUlRKsE_EESK_SO_SP_mSQ_ST_bEUlT_E_NS1_11comp_targetILNS1_3genE0ELNS1_11target_archE4294967295ELNS1_3gpuE0ELNS1_3repE0EEENS1_30default_config_static_selectorELNS0_4arch9wavefront6targetE0EEEvSN_: ; @_ZN7rocprim17ROCPRIM_400000_NS6detail17trampoline_kernelINS0_14default_configENS1_27lower_bound_config_selectorIslEEZNS1_14transform_implILb0ES3_S5_N6thrust23THRUST_200600_302600_NS17counting_iteratorIsNS8_11use_defaultESA_SA_EEPlZNS1_13binary_searchIS3_S5_PsSB_SC_NS1_21lower_bound_search_opENS8_6detail16wrapped_functionI11custom_lessbEEEE10hipError_tPvRmT1_T2_T3_mmT4_T5_P12ihipStream_tbEUlRKsE_EESK_SO_SP_mSQ_ST_bEUlT_E_NS1_11comp_targetILNS1_3genE0ELNS1_11target_archE4294967295ELNS1_3gpuE0ELNS1_3repE0EEENS1_30default_config_static_selectorELNS0_4arch9wavefront6targetE0EEEvSN_
; %bb.0:
	.section	.rodata,"a",@progbits
	.p2align	6, 0x0
	.amdhsa_kernel _ZN7rocprim17ROCPRIM_400000_NS6detail17trampoline_kernelINS0_14default_configENS1_27lower_bound_config_selectorIslEEZNS1_14transform_implILb0ES3_S5_N6thrust23THRUST_200600_302600_NS17counting_iteratorIsNS8_11use_defaultESA_SA_EEPlZNS1_13binary_searchIS3_S5_PsSB_SC_NS1_21lower_bound_search_opENS8_6detail16wrapped_functionI11custom_lessbEEEE10hipError_tPvRmT1_T2_T3_mmT4_T5_P12ihipStream_tbEUlRKsE_EESK_SO_SP_mSQ_ST_bEUlT_E_NS1_11comp_targetILNS1_3genE0ELNS1_11target_archE4294967295ELNS1_3gpuE0ELNS1_3repE0EEENS1_30default_config_static_selectorELNS0_4arch9wavefront6targetE0EEEvSN_
		.amdhsa_group_segment_fixed_size 0
		.amdhsa_private_segment_fixed_size 0
		.amdhsa_kernarg_size 56
		.amdhsa_user_sgpr_count 15
		.amdhsa_user_sgpr_dispatch_ptr 0
		.amdhsa_user_sgpr_queue_ptr 0
		.amdhsa_user_sgpr_kernarg_segment_ptr 1
		.amdhsa_user_sgpr_dispatch_id 0
		.amdhsa_user_sgpr_private_segment_size 0
		.amdhsa_wavefront_size32 1
		.amdhsa_uses_dynamic_stack 0
		.amdhsa_enable_private_segment 0
		.amdhsa_system_sgpr_workgroup_id_x 1
		.amdhsa_system_sgpr_workgroup_id_y 0
		.amdhsa_system_sgpr_workgroup_id_z 0
		.amdhsa_system_sgpr_workgroup_info 0
		.amdhsa_system_vgpr_workitem_id 0
		.amdhsa_next_free_vgpr 1
		.amdhsa_next_free_sgpr 1
		.amdhsa_reserve_vcc 0
		.amdhsa_float_round_mode_32 0
		.amdhsa_float_round_mode_16_64 0
		.amdhsa_float_denorm_mode_32 3
		.amdhsa_float_denorm_mode_16_64 3
		.amdhsa_dx10_clamp 1
		.amdhsa_ieee_mode 1
		.amdhsa_fp16_overflow 0
		.amdhsa_workgroup_processor_mode 1
		.amdhsa_memory_ordered 1
		.amdhsa_forward_progress 0
		.amdhsa_shared_vgpr_count 0
		.amdhsa_exception_fp_ieee_invalid_op 0
		.amdhsa_exception_fp_denorm_src 0
		.amdhsa_exception_fp_ieee_div_zero 0
		.amdhsa_exception_fp_ieee_overflow 0
		.amdhsa_exception_fp_ieee_underflow 0
		.amdhsa_exception_fp_ieee_inexact 0
		.amdhsa_exception_int_div_zero 0
	.end_amdhsa_kernel
	.section	.text._ZN7rocprim17ROCPRIM_400000_NS6detail17trampoline_kernelINS0_14default_configENS1_27lower_bound_config_selectorIslEEZNS1_14transform_implILb0ES3_S5_N6thrust23THRUST_200600_302600_NS17counting_iteratorIsNS8_11use_defaultESA_SA_EEPlZNS1_13binary_searchIS3_S5_PsSB_SC_NS1_21lower_bound_search_opENS8_6detail16wrapped_functionI11custom_lessbEEEE10hipError_tPvRmT1_T2_T3_mmT4_T5_P12ihipStream_tbEUlRKsE_EESK_SO_SP_mSQ_ST_bEUlT_E_NS1_11comp_targetILNS1_3genE0ELNS1_11target_archE4294967295ELNS1_3gpuE0ELNS1_3repE0EEENS1_30default_config_static_selectorELNS0_4arch9wavefront6targetE0EEEvSN_,"axG",@progbits,_ZN7rocprim17ROCPRIM_400000_NS6detail17trampoline_kernelINS0_14default_configENS1_27lower_bound_config_selectorIslEEZNS1_14transform_implILb0ES3_S5_N6thrust23THRUST_200600_302600_NS17counting_iteratorIsNS8_11use_defaultESA_SA_EEPlZNS1_13binary_searchIS3_S5_PsSB_SC_NS1_21lower_bound_search_opENS8_6detail16wrapped_functionI11custom_lessbEEEE10hipError_tPvRmT1_T2_T3_mmT4_T5_P12ihipStream_tbEUlRKsE_EESK_SO_SP_mSQ_ST_bEUlT_E_NS1_11comp_targetILNS1_3genE0ELNS1_11target_archE4294967295ELNS1_3gpuE0ELNS1_3repE0EEENS1_30default_config_static_selectorELNS0_4arch9wavefront6targetE0EEEvSN_,comdat
.Lfunc_end79:
	.size	_ZN7rocprim17ROCPRIM_400000_NS6detail17trampoline_kernelINS0_14default_configENS1_27lower_bound_config_selectorIslEEZNS1_14transform_implILb0ES3_S5_N6thrust23THRUST_200600_302600_NS17counting_iteratorIsNS8_11use_defaultESA_SA_EEPlZNS1_13binary_searchIS3_S5_PsSB_SC_NS1_21lower_bound_search_opENS8_6detail16wrapped_functionI11custom_lessbEEEE10hipError_tPvRmT1_T2_T3_mmT4_T5_P12ihipStream_tbEUlRKsE_EESK_SO_SP_mSQ_ST_bEUlT_E_NS1_11comp_targetILNS1_3genE0ELNS1_11target_archE4294967295ELNS1_3gpuE0ELNS1_3repE0EEENS1_30default_config_static_selectorELNS0_4arch9wavefront6targetE0EEEvSN_, .Lfunc_end79-_ZN7rocprim17ROCPRIM_400000_NS6detail17trampoline_kernelINS0_14default_configENS1_27lower_bound_config_selectorIslEEZNS1_14transform_implILb0ES3_S5_N6thrust23THRUST_200600_302600_NS17counting_iteratorIsNS8_11use_defaultESA_SA_EEPlZNS1_13binary_searchIS3_S5_PsSB_SC_NS1_21lower_bound_search_opENS8_6detail16wrapped_functionI11custom_lessbEEEE10hipError_tPvRmT1_T2_T3_mmT4_T5_P12ihipStream_tbEUlRKsE_EESK_SO_SP_mSQ_ST_bEUlT_E_NS1_11comp_targetILNS1_3genE0ELNS1_11target_archE4294967295ELNS1_3gpuE0ELNS1_3repE0EEENS1_30default_config_static_selectorELNS0_4arch9wavefront6targetE0EEEvSN_
                                        ; -- End function
	.section	.AMDGPU.csdata,"",@progbits
; Kernel info:
; codeLenInByte = 0
; NumSgprs: 0
; NumVgprs: 0
; ScratchSize: 0
; MemoryBound: 0
; FloatMode: 240
; IeeeMode: 1
; LDSByteSize: 0 bytes/workgroup (compile time only)
; SGPRBlocks: 0
; VGPRBlocks: 0
; NumSGPRsForWavesPerEU: 1
; NumVGPRsForWavesPerEU: 1
; Occupancy: 16
; WaveLimiterHint : 0
; COMPUTE_PGM_RSRC2:SCRATCH_EN: 0
; COMPUTE_PGM_RSRC2:USER_SGPR: 15
; COMPUTE_PGM_RSRC2:TRAP_HANDLER: 0
; COMPUTE_PGM_RSRC2:TGID_X_EN: 1
; COMPUTE_PGM_RSRC2:TGID_Y_EN: 0
; COMPUTE_PGM_RSRC2:TGID_Z_EN: 0
; COMPUTE_PGM_RSRC2:TIDIG_COMP_CNT: 0
	.section	.text._ZN7rocprim17ROCPRIM_400000_NS6detail17trampoline_kernelINS0_14default_configENS1_27lower_bound_config_selectorIslEEZNS1_14transform_implILb0ES3_S5_N6thrust23THRUST_200600_302600_NS17counting_iteratorIsNS8_11use_defaultESA_SA_EEPlZNS1_13binary_searchIS3_S5_PsSB_SC_NS1_21lower_bound_search_opENS8_6detail16wrapped_functionI11custom_lessbEEEE10hipError_tPvRmT1_T2_T3_mmT4_T5_P12ihipStream_tbEUlRKsE_EESK_SO_SP_mSQ_ST_bEUlT_E_NS1_11comp_targetILNS1_3genE5ELNS1_11target_archE942ELNS1_3gpuE9ELNS1_3repE0EEENS1_30default_config_static_selectorELNS0_4arch9wavefront6targetE0EEEvSN_,"axG",@progbits,_ZN7rocprim17ROCPRIM_400000_NS6detail17trampoline_kernelINS0_14default_configENS1_27lower_bound_config_selectorIslEEZNS1_14transform_implILb0ES3_S5_N6thrust23THRUST_200600_302600_NS17counting_iteratorIsNS8_11use_defaultESA_SA_EEPlZNS1_13binary_searchIS3_S5_PsSB_SC_NS1_21lower_bound_search_opENS8_6detail16wrapped_functionI11custom_lessbEEEE10hipError_tPvRmT1_T2_T3_mmT4_T5_P12ihipStream_tbEUlRKsE_EESK_SO_SP_mSQ_ST_bEUlT_E_NS1_11comp_targetILNS1_3genE5ELNS1_11target_archE942ELNS1_3gpuE9ELNS1_3repE0EEENS1_30default_config_static_selectorELNS0_4arch9wavefront6targetE0EEEvSN_,comdat
	.protected	_ZN7rocprim17ROCPRIM_400000_NS6detail17trampoline_kernelINS0_14default_configENS1_27lower_bound_config_selectorIslEEZNS1_14transform_implILb0ES3_S5_N6thrust23THRUST_200600_302600_NS17counting_iteratorIsNS8_11use_defaultESA_SA_EEPlZNS1_13binary_searchIS3_S5_PsSB_SC_NS1_21lower_bound_search_opENS8_6detail16wrapped_functionI11custom_lessbEEEE10hipError_tPvRmT1_T2_T3_mmT4_T5_P12ihipStream_tbEUlRKsE_EESK_SO_SP_mSQ_ST_bEUlT_E_NS1_11comp_targetILNS1_3genE5ELNS1_11target_archE942ELNS1_3gpuE9ELNS1_3repE0EEENS1_30default_config_static_selectorELNS0_4arch9wavefront6targetE0EEEvSN_ ; -- Begin function _ZN7rocprim17ROCPRIM_400000_NS6detail17trampoline_kernelINS0_14default_configENS1_27lower_bound_config_selectorIslEEZNS1_14transform_implILb0ES3_S5_N6thrust23THRUST_200600_302600_NS17counting_iteratorIsNS8_11use_defaultESA_SA_EEPlZNS1_13binary_searchIS3_S5_PsSB_SC_NS1_21lower_bound_search_opENS8_6detail16wrapped_functionI11custom_lessbEEEE10hipError_tPvRmT1_T2_T3_mmT4_T5_P12ihipStream_tbEUlRKsE_EESK_SO_SP_mSQ_ST_bEUlT_E_NS1_11comp_targetILNS1_3genE5ELNS1_11target_archE942ELNS1_3gpuE9ELNS1_3repE0EEENS1_30default_config_static_selectorELNS0_4arch9wavefront6targetE0EEEvSN_
	.globl	_ZN7rocprim17ROCPRIM_400000_NS6detail17trampoline_kernelINS0_14default_configENS1_27lower_bound_config_selectorIslEEZNS1_14transform_implILb0ES3_S5_N6thrust23THRUST_200600_302600_NS17counting_iteratorIsNS8_11use_defaultESA_SA_EEPlZNS1_13binary_searchIS3_S5_PsSB_SC_NS1_21lower_bound_search_opENS8_6detail16wrapped_functionI11custom_lessbEEEE10hipError_tPvRmT1_T2_T3_mmT4_T5_P12ihipStream_tbEUlRKsE_EESK_SO_SP_mSQ_ST_bEUlT_E_NS1_11comp_targetILNS1_3genE5ELNS1_11target_archE942ELNS1_3gpuE9ELNS1_3repE0EEENS1_30default_config_static_selectorELNS0_4arch9wavefront6targetE0EEEvSN_
	.p2align	8
	.type	_ZN7rocprim17ROCPRIM_400000_NS6detail17trampoline_kernelINS0_14default_configENS1_27lower_bound_config_selectorIslEEZNS1_14transform_implILb0ES3_S5_N6thrust23THRUST_200600_302600_NS17counting_iteratorIsNS8_11use_defaultESA_SA_EEPlZNS1_13binary_searchIS3_S5_PsSB_SC_NS1_21lower_bound_search_opENS8_6detail16wrapped_functionI11custom_lessbEEEE10hipError_tPvRmT1_T2_T3_mmT4_T5_P12ihipStream_tbEUlRKsE_EESK_SO_SP_mSQ_ST_bEUlT_E_NS1_11comp_targetILNS1_3genE5ELNS1_11target_archE942ELNS1_3gpuE9ELNS1_3repE0EEENS1_30default_config_static_selectorELNS0_4arch9wavefront6targetE0EEEvSN_,@function
_ZN7rocprim17ROCPRIM_400000_NS6detail17trampoline_kernelINS0_14default_configENS1_27lower_bound_config_selectorIslEEZNS1_14transform_implILb0ES3_S5_N6thrust23THRUST_200600_302600_NS17counting_iteratorIsNS8_11use_defaultESA_SA_EEPlZNS1_13binary_searchIS3_S5_PsSB_SC_NS1_21lower_bound_search_opENS8_6detail16wrapped_functionI11custom_lessbEEEE10hipError_tPvRmT1_T2_T3_mmT4_T5_P12ihipStream_tbEUlRKsE_EESK_SO_SP_mSQ_ST_bEUlT_E_NS1_11comp_targetILNS1_3genE5ELNS1_11target_archE942ELNS1_3gpuE9ELNS1_3repE0EEENS1_30default_config_static_selectorELNS0_4arch9wavefront6targetE0EEEvSN_: ; @_ZN7rocprim17ROCPRIM_400000_NS6detail17trampoline_kernelINS0_14default_configENS1_27lower_bound_config_selectorIslEEZNS1_14transform_implILb0ES3_S5_N6thrust23THRUST_200600_302600_NS17counting_iteratorIsNS8_11use_defaultESA_SA_EEPlZNS1_13binary_searchIS3_S5_PsSB_SC_NS1_21lower_bound_search_opENS8_6detail16wrapped_functionI11custom_lessbEEEE10hipError_tPvRmT1_T2_T3_mmT4_T5_P12ihipStream_tbEUlRKsE_EESK_SO_SP_mSQ_ST_bEUlT_E_NS1_11comp_targetILNS1_3genE5ELNS1_11target_archE942ELNS1_3gpuE9ELNS1_3repE0EEENS1_30default_config_static_selectorELNS0_4arch9wavefront6targetE0EEEvSN_
; %bb.0:
	.section	.rodata,"a",@progbits
	.p2align	6, 0x0
	.amdhsa_kernel _ZN7rocprim17ROCPRIM_400000_NS6detail17trampoline_kernelINS0_14default_configENS1_27lower_bound_config_selectorIslEEZNS1_14transform_implILb0ES3_S5_N6thrust23THRUST_200600_302600_NS17counting_iteratorIsNS8_11use_defaultESA_SA_EEPlZNS1_13binary_searchIS3_S5_PsSB_SC_NS1_21lower_bound_search_opENS8_6detail16wrapped_functionI11custom_lessbEEEE10hipError_tPvRmT1_T2_T3_mmT4_T5_P12ihipStream_tbEUlRKsE_EESK_SO_SP_mSQ_ST_bEUlT_E_NS1_11comp_targetILNS1_3genE5ELNS1_11target_archE942ELNS1_3gpuE9ELNS1_3repE0EEENS1_30default_config_static_selectorELNS0_4arch9wavefront6targetE0EEEvSN_
		.amdhsa_group_segment_fixed_size 0
		.amdhsa_private_segment_fixed_size 0
		.amdhsa_kernarg_size 56
		.amdhsa_user_sgpr_count 15
		.amdhsa_user_sgpr_dispatch_ptr 0
		.amdhsa_user_sgpr_queue_ptr 0
		.amdhsa_user_sgpr_kernarg_segment_ptr 1
		.amdhsa_user_sgpr_dispatch_id 0
		.amdhsa_user_sgpr_private_segment_size 0
		.amdhsa_wavefront_size32 1
		.amdhsa_uses_dynamic_stack 0
		.amdhsa_enable_private_segment 0
		.amdhsa_system_sgpr_workgroup_id_x 1
		.amdhsa_system_sgpr_workgroup_id_y 0
		.amdhsa_system_sgpr_workgroup_id_z 0
		.amdhsa_system_sgpr_workgroup_info 0
		.amdhsa_system_vgpr_workitem_id 0
		.amdhsa_next_free_vgpr 1
		.amdhsa_next_free_sgpr 1
		.amdhsa_reserve_vcc 0
		.amdhsa_float_round_mode_32 0
		.amdhsa_float_round_mode_16_64 0
		.amdhsa_float_denorm_mode_32 3
		.amdhsa_float_denorm_mode_16_64 3
		.amdhsa_dx10_clamp 1
		.amdhsa_ieee_mode 1
		.amdhsa_fp16_overflow 0
		.amdhsa_workgroup_processor_mode 1
		.amdhsa_memory_ordered 1
		.amdhsa_forward_progress 0
		.amdhsa_shared_vgpr_count 0
		.amdhsa_exception_fp_ieee_invalid_op 0
		.amdhsa_exception_fp_denorm_src 0
		.amdhsa_exception_fp_ieee_div_zero 0
		.amdhsa_exception_fp_ieee_overflow 0
		.amdhsa_exception_fp_ieee_underflow 0
		.amdhsa_exception_fp_ieee_inexact 0
		.amdhsa_exception_int_div_zero 0
	.end_amdhsa_kernel
	.section	.text._ZN7rocprim17ROCPRIM_400000_NS6detail17trampoline_kernelINS0_14default_configENS1_27lower_bound_config_selectorIslEEZNS1_14transform_implILb0ES3_S5_N6thrust23THRUST_200600_302600_NS17counting_iteratorIsNS8_11use_defaultESA_SA_EEPlZNS1_13binary_searchIS3_S5_PsSB_SC_NS1_21lower_bound_search_opENS8_6detail16wrapped_functionI11custom_lessbEEEE10hipError_tPvRmT1_T2_T3_mmT4_T5_P12ihipStream_tbEUlRKsE_EESK_SO_SP_mSQ_ST_bEUlT_E_NS1_11comp_targetILNS1_3genE5ELNS1_11target_archE942ELNS1_3gpuE9ELNS1_3repE0EEENS1_30default_config_static_selectorELNS0_4arch9wavefront6targetE0EEEvSN_,"axG",@progbits,_ZN7rocprim17ROCPRIM_400000_NS6detail17trampoline_kernelINS0_14default_configENS1_27lower_bound_config_selectorIslEEZNS1_14transform_implILb0ES3_S5_N6thrust23THRUST_200600_302600_NS17counting_iteratorIsNS8_11use_defaultESA_SA_EEPlZNS1_13binary_searchIS3_S5_PsSB_SC_NS1_21lower_bound_search_opENS8_6detail16wrapped_functionI11custom_lessbEEEE10hipError_tPvRmT1_T2_T3_mmT4_T5_P12ihipStream_tbEUlRKsE_EESK_SO_SP_mSQ_ST_bEUlT_E_NS1_11comp_targetILNS1_3genE5ELNS1_11target_archE942ELNS1_3gpuE9ELNS1_3repE0EEENS1_30default_config_static_selectorELNS0_4arch9wavefront6targetE0EEEvSN_,comdat
.Lfunc_end80:
	.size	_ZN7rocprim17ROCPRIM_400000_NS6detail17trampoline_kernelINS0_14default_configENS1_27lower_bound_config_selectorIslEEZNS1_14transform_implILb0ES3_S5_N6thrust23THRUST_200600_302600_NS17counting_iteratorIsNS8_11use_defaultESA_SA_EEPlZNS1_13binary_searchIS3_S5_PsSB_SC_NS1_21lower_bound_search_opENS8_6detail16wrapped_functionI11custom_lessbEEEE10hipError_tPvRmT1_T2_T3_mmT4_T5_P12ihipStream_tbEUlRKsE_EESK_SO_SP_mSQ_ST_bEUlT_E_NS1_11comp_targetILNS1_3genE5ELNS1_11target_archE942ELNS1_3gpuE9ELNS1_3repE0EEENS1_30default_config_static_selectorELNS0_4arch9wavefront6targetE0EEEvSN_, .Lfunc_end80-_ZN7rocprim17ROCPRIM_400000_NS6detail17trampoline_kernelINS0_14default_configENS1_27lower_bound_config_selectorIslEEZNS1_14transform_implILb0ES3_S5_N6thrust23THRUST_200600_302600_NS17counting_iteratorIsNS8_11use_defaultESA_SA_EEPlZNS1_13binary_searchIS3_S5_PsSB_SC_NS1_21lower_bound_search_opENS8_6detail16wrapped_functionI11custom_lessbEEEE10hipError_tPvRmT1_T2_T3_mmT4_T5_P12ihipStream_tbEUlRKsE_EESK_SO_SP_mSQ_ST_bEUlT_E_NS1_11comp_targetILNS1_3genE5ELNS1_11target_archE942ELNS1_3gpuE9ELNS1_3repE0EEENS1_30default_config_static_selectorELNS0_4arch9wavefront6targetE0EEEvSN_
                                        ; -- End function
	.section	.AMDGPU.csdata,"",@progbits
; Kernel info:
; codeLenInByte = 0
; NumSgprs: 0
; NumVgprs: 0
; ScratchSize: 0
; MemoryBound: 0
; FloatMode: 240
; IeeeMode: 1
; LDSByteSize: 0 bytes/workgroup (compile time only)
; SGPRBlocks: 0
; VGPRBlocks: 0
; NumSGPRsForWavesPerEU: 1
; NumVGPRsForWavesPerEU: 1
; Occupancy: 16
; WaveLimiterHint : 0
; COMPUTE_PGM_RSRC2:SCRATCH_EN: 0
; COMPUTE_PGM_RSRC2:USER_SGPR: 15
; COMPUTE_PGM_RSRC2:TRAP_HANDLER: 0
; COMPUTE_PGM_RSRC2:TGID_X_EN: 1
; COMPUTE_PGM_RSRC2:TGID_Y_EN: 0
; COMPUTE_PGM_RSRC2:TGID_Z_EN: 0
; COMPUTE_PGM_RSRC2:TIDIG_COMP_CNT: 0
	.section	.text._ZN7rocprim17ROCPRIM_400000_NS6detail17trampoline_kernelINS0_14default_configENS1_27lower_bound_config_selectorIslEEZNS1_14transform_implILb0ES3_S5_N6thrust23THRUST_200600_302600_NS17counting_iteratorIsNS8_11use_defaultESA_SA_EEPlZNS1_13binary_searchIS3_S5_PsSB_SC_NS1_21lower_bound_search_opENS8_6detail16wrapped_functionI11custom_lessbEEEE10hipError_tPvRmT1_T2_T3_mmT4_T5_P12ihipStream_tbEUlRKsE_EESK_SO_SP_mSQ_ST_bEUlT_E_NS1_11comp_targetILNS1_3genE4ELNS1_11target_archE910ELNS1_3gpuE8ELNS1_3repE0EEENS1_30default_config_static_selectorELNS0_4arch9wavefront6targetE0EEEvSN_,"axG",@progbits,_ZN7rocprim17ROCPRIM_400000_NS6detail17trampoline_kernelINS0_14default_configENS1_27lower_bound_config_selectorIslEEZNS1_14transform_implILb0ES3_S5_N6thrust23THRUST_200600_302600_NS17counting_iteratorIsNS8_11use_defaultESA_SA_EEPlZNS1_13binary_searchIS3_S5_PsSB_SC_NS1_21lower_bound_search_opENS8_6detail16wrapped_functionI11custom_lessbEEEE10hipError_tPvRmT1_T2_T3_mmT4_T5_P12ihipStream_tbEUlRKsE_EESK_SO_SP_mSQ_ST_bEUlT_E_NS1_11comp_targetILNS1_3genE4ELNS1_11target_archE910ELNS1_3gpuE8ELNS1_3repE0EEENS1_30default_config_static_selectorELNS0_4arch9wavefront6targetE0EEEvSN_,comdat
	.protected	_ZN7rocprim17ROCPRIM_400000_NS6detail17trampoline_kernelINS0_14default_configENS1_27lower_bound_config_selectorIslEEZNS1_14transform_implILb0ES3_S5_N6thrust23THRUST_200600_302600_NS17counting_iteratorIsNS8_11use_defaultESA_SA_EEPlZNS1_13binary_searchIS3_S5_PsSB_SC_NS1_21lower_bound_search_opENS8_6detail16wrapped_functionI11custom_lessbEEEE10hipError_tPvRmT1_T2_T3_mmT4_T5_P12ihipStream_tbEUlRKsE_EESK_SO_SP_mSQ_ST_bEUlT_E_NS1_11comp_targetILNS1_3genE4ELNS1_11target_archE910ELNS1_3gpuE8ELNS1_3repE0EEENS1_30default_config_static_selectorELNS0_4arch9wavefront6targetE0EEEvSN_ ; -- Begin function _ZN7rocprim17ROCPRIM_400000_NS6detail17trampoline_kernelINS0_14default_configENS1_27lower_bound_config_selectorIslEEZNS1_14transform_implILb0ES3_S5_N6thrust23THRUST_200600_302600_NS17counting_iteratorIsNS8_11use_defaultESA_SA_EEPlZNS1_13binary_searchIS3_S5_PsSB_SC_NS1_21lower_bound_search_opENS8_6detail16wrapped_functionI11custom_lessbEEEE10hipError_tPvRmT1_T2_T3_mmT4_T5_P12ihipStream_tbEUlRKsE_EESK_SO_SP_mSQ_ST_bEUlT_E_NS1_11comp_targetILNS1_3genE4ELNS1_11target_archE910ELNS1_3gpuE8ELNS1_3repE0EEENS1_30default_config_static_selectorELNS0_4arch9wavefront6targetE0EEEvSN_
	.globl	_ZN7rocprim17ROCPRIM_400000_NS6detail17trampoline_kernelINS0_14default_configENS1_27lower_bound_config_selectorIslEEZNS1_14transform_implILb0ES3_S5_N6thrust23THRUST_200600_302600_NS17counting_iteratorIsNS8_11use_defaultESA_SA_EEPlZNS1_13binary_searchIS3_S5_PsSB_SC_NS1_21lower_bound_search_opENS8_6detail16wrapped_functionI11custom_lessbEEEE10hipError_tPvRmT1_T2_T3_mmT4_T5_P12ihipStream_tbEUlRKsE_EESK_SO_SP_mSQ_ST_bEUlT_E_NS1_11comp_targetILNS1_3genE4ELNS1_11target_archE910ELNS1_3gpuE8ELNS1_3repE0EEENS1_30default_config_static_selectorELNS0_4arch9wavefront6targetE0EEEvSN_
	.p2align	8
	.type	_ZN7rocprim17ROCPRIM_400000_NS6detail17trampoline_kernelINS0_14default_configENS1_27lower_bound_config_selectorIslEEZNS1_14transform_implILb0ES3_S5_N6thrust23THRUST_200600_302600_NS17counting_iteratorIsNS8_11use_defaultESA_SA_EEPlZNS1_13binary_searchIS3_S5_PsSB_SC_NS1_21lower_bound_search_opENS8_6detail16wrapped_functionI11custom_lessbEEEE10hipError_tPvRmT1_T2_T3_mmT4_T5_P12ihipStream_tbEUlRKsE_EESK_SO_SP_mSQ_ST_bEUlT_E_NS1_11comp_targetILNS1_3genE4ELNS1_11target_archE910ELNS1_3gpuE8ELNS1_3repE0EEENS1_30default_config_static_selectorELNS0_4arch9wavefront6targetE0EEEvSN_,@function
_ZN7rocprim17ROCPRIM_400000_NS6detail17trampoline_kernelINS0_14default_configENS1_27lower_bound_config_selectorIslEEZNS1_14transform_implILb0ES3_S5_N6thrust23THRUST_200600_302600_NS17counting_iteratorIsNS8_11use_defaultESA_SA_EEPlZNS1_13binary_searchIS3_S5_PsSB_SC_NS1_21lower_bound_search_opENS8_6detail16wrapped_functionI11custom_lessbEEEE10hipError_tPvRmT1_T2_T3_mmT4_T5_P12ihipStream_tbEUlRKsE_EESK_SO_SP_mSQ_ST_bEUlT_E_NS1_11comp_targetILNS1_3genE4ELNS1_11target_archE910ELNS1_3gpuE8ELNS1_3repE0EEENS1_30default_config_static_selectorELNS0_4arch9wavefront6targetE0EEEvSN_: ; @_ZN7rocprim17ROCPRIM_400000_NS6detail17trampoline_kernelINS0_14default_configENS1_27lower_bound_config_selectorIslEEZNS1_14transform_implILb0ES3_S5_N6thrust23THRUST_200600_302600_NS17counting_iteratorIsNS8_11use_defaultESA_SA_EEPlZNS1_13binary_searchIS3_S5_PsSB_SC_NS1_21lower_bound_search_opENS8_6detail16wrapped_functionI11custom_lessbEEEE10hipError_tPvRmT1_T2_T3_mmT4_T5_P12ihipStream_tbEUlRKsE_EESK_SO_SP_mSQ_ST_bEUlT_E_NS1_11comp_targetILNS1_3genE4ELNS1_11target_archE910ELNS1_3gpuE8ELNS1_3repE0EEENS1_30default_config_static_selectorELNS0_4arch9wavefront6targetE0EEEvSN_
; %bb.0:
	.section	.rodata,"a",@progbits
	.p2align	6, 0x0
	.amdhsa_kernel _ZN7rocprim17ROCPRIM_400000_NS6detail17trampoline_kernelINS0_14default_configENS1_27lower_bound_config_selectorIslEEZNS1_14transform_implILb0ES3_S5_N6thrust23THRUST_200600_302600_NS17counting_iteratorIsNS8_11use_defaultESA_SA_EEPlZNS1_13binary_searchIS3_S5_PsSB_SC_NS1_21lower_bound_search_opENS8_6detail16wrapped_functionI11custom_lessbEEEE10hipError_tPvRmT1_T2_T3_mmT4_T5_P12ihipStream_tbEUlRKsE_EESK_SO_SP_mSQ_ST_bEUlT_E_NS1_11comp_targetILNS1_3genE4ELNS1_11target_archE910ELNS1_3gpuE8ELNS1_3repE0EEENS1_30default_config_static_selectorELNS0_4arch9wavefront6targetE0EEEvSN_
		.amdhsa_group_segment_fixed_size 0
		.amdhsa_private_segment_fixed_size 0
		.amdhsa_kernarg_size 56
		.amdhsa_user_sgpr_count 15
		.amdhsa_user_sgpr_dispatch_ptr 0
		.amdhsa_user_sgpr_queue_ptr 0
		.amdhsa_user_sgpr_kernarg_segment_ptr 1
		.amdhsa_user_sgpr_dispatch_id 0
		.amdhsa_user_sgpr_private_segment_size 0
		.amdhsa_wavefront_size32 1
		.amdhsa_uses_dynamic_stack 0
		.amdhsa_enable_private_segment 0
		.amdhsa_system_sgpr_workgroup_id_x 1
		.amdhsa_system_sgpr_workgroup_id_y 0
		.amdhsa_system_sgpr_workgroup_id_z 0
		.amdhsa_system_sgpr_workgroup_info 0
		.amdhsa_system_vgpr_workitem_id 0
		.amdhsa_next_free_vgpr 1
		.amdhsa_next_free_sgpr 1
		.amdhsa_reserve_vcc 0
		.amdhsa_float_round_mode_32 0
		.amdhsa_float_round_mode_16_64 0
		.amdhsa_float_denorm_mode_32 3
		.amdhsa_float_denorm_mode_16_64 3
		.amdhsa_dx10_clamp 1
		.amdhsa_ieee_mode 1
		.amdhsa_fp16_overflow 0
		.amdhsa_workgroup_processor_mode 1
		.amdhsa_memory_ordered 1
		.amdhsa_forward_progress 0
		.amdhsa_shared_vgpr_count 0
		.amdhsa_exception_fp_ieee_invalid_op 0
		.amdhsa_exception_fp_denorm_src 0
		.amdhsa_exception_fp_ieee_div_zero 0
		.amdhsa_exception_fp_ieee_overflow 0
		.amdhsa_exception_fp_ieee_underflow 0
		.amdhsa_exception_fp_ieee_inexact 0
		.amdhsa_exception_int_div_zero 0
	.end_amdhsa_kernel
	.section	.text._ZN7rocprim17ROCPRIM_400000_NS6detail17trampoline_kernelINS0_14default_configENS1_27lower_bound_config_selectorIslEEZNS1_14transform_implILb0ES3_S5_N6thrust23THRUST_200600_302600_NS17counting_iteratorIsNS8_11use_defaultESA_SA_EEPlZNS1_13binary_searchIS3_S5_PsSB_SC_NS1_21lower_bound_search_opENS8_6detail16wrapped_functionI11custom_lessbEEEE10hipError_tPvRmT1_T2_T3_mmT4_T5_P12ihipStream_tbEUlRKsE_EESK_SO_SP_mSQ_ST_bEUlT_E_NS1_11comp_targetILNS1_3genE4ELNS1_11target_archE910ELNS1_3gpuE8ELNS1_3repE0EEENS1_30default_config_static_selectorELNS0_4arch9wavefront6targetE0EEEvSN_,"axG",@progbits,_ZN7rocprim17ROCPRIM_400000_NS6detail17trampoline_kernelINS0_14default_configENS1_27lower_bound_config_selectorIslEEZNS1_14transform_implILb0ES3_S5_N6thrust23THRUST_200600_302600_NS17counting_iteratorIsNS8_11use_defaultESA_SA_EEPlZNS1_13binary_searchIS3_S5_PsSB_SC_NS1_21lower_bound_search_opENS8_6detail16wrapped_functionI11custom_lessbEEEE10hipError_tPvRmT1_T2_T3_mmT4_T5_P12ihipStream_tbEUlRKsE_EESK_SO_SP_mSQ_ST_bEUlT_E_NS1_11comp_targetILNS1_3genE4ELNS1_11target_archE910ELNS1_3gpuE8ELNS1_3repE0EEENS1_30default_config_static_selectorELNS0_4arch9wavefront6targetE0EEEvSN_,comdat
.Lfunc_end81:
	.size	_ZN7rocprim17ROCPRIM_400000_NS6detail17trampoline_kernelINS0_14default_configENS1_27lower_bound_config_selectorIslEEZNS1_14transform_implILb0ES3_S5_N6thrust23THRUST_200600_302600_NS17counting_iteratorIsNS8_11use_defaultESA_SA_EEPlZNS1_13binary_searchIS3_S5_PsSB_SC_NS1_21lower_bound_search_opENS8_6detail16wrapped_functionI11custom_lessbEEEE10hipError_tPvRmT1_T2_T3_mmT4_T5_P12ihipStream_tbEUlRKsE_EESK_SO_SP_mSQ_ST_bEUlT_E_NS1_11comp_targetILNS1_3genE4ELNS1_11target_archE910ELNS1_3gpuE8ELNS1_3repE0EEENS1_30default_config_static_selectorELNS0_4arch9wavefront6targetE0EEEvSN_, .Lfunc_end81-_ZN7rocprim17ROCPRIM_400000_NS6detail17trampoline_kernelINS0_14default_configENS1_27lower_bound_config_selectorIslEEZNS1_14transform_implILb0ES3_S5_N6thrust23THRUST_200600_302600_NS17counting_iteratorIsNS8_11use_defaultESA_SA_EEPlZNS1_13binary_searchIS3_S5_PsSB_SC_NS1_21lower_bound_search_opENS8_6detail16wrapped_functionI11custom_lessbEEEE10hipError_tPvRmT1_T2_T3_mmT4_T5_P12ihipStream_tbEUlRKsE_EESK_SO_SP_mSQ_ST_bEUlT_E_NS1_11comp_targetILNS1_3genE4ELNS1_11target_archE910ELNS1_3gpuE8ELNS1_3repE0EEENS1_30default_config_static_selectorELNS0_4arch9wavefront6targetE0EEEvSN_
                                        ; -- End function
	.section	.AMDGPU.csdata,"",@progbits
; Kernel info:
; codeLenInByte = 0
; NumSgprs: 0
; NumVgprs: 0
; ScratchSize: 0
; MemoryBound: 0
; FloatMode: 240
; IeeeMode: 1
; LDSByteSize: 0 bytes/workgroup (compile time only)
; SGPRBlocks: 0
; VGPRBlocks: 0
; NumSGPRsForWavesPerEU: 1
; NumVGPRsForWavesPerEU: 1
; Occupancy: 16
; WaveLimiterHint : 0
; COMPUTE_PGM_RSRC2:SCRATCH_EN: 0
; COMPUTE_PGM_RSRC2:USER_SGPR: 15
; COMPUTE_PGM_RSRC2:TRAP_HANDLER: 0
; COMPUTE_PGM_RSRC2:TGID_X_EN: 1
; COMPUTE_PGM_RSRC2:TGID_Y_EN: 0
; COMPUTE_PGM_RSRC2:TGID_Z_EN: 0
; COMPUTE_PGM_RSRC2:TIDIG_COMP_CNT: 0
	.section	.text._ZN7rocprim17ROCPRIM_400000_NS6detail17trampoline_kernelINS0_14default_configENS1_27lower_bound_config_selectorIslEEZNS1_14transform_implILb0ES3_S5_N6thrust23THRUST_200600_302600_NS17counting_iteratorIsNS8_11use_defaultESA_SA_EEPlZNS1_13binary_searchIS3_S5_PsSB_SC_NS1_21lower_bound_search_opENS8_6detail16wrapped_functionI11custom_lessbEEEE10hipError_tPvRmT1_T2_T3_mmT4_T5_P12ihipStream_tbEUlRKsE_EESK_SO_SP_mSQ_ST_bEUlT_E_NS1_11comp_targetILNS1_3genE3ELNS1_11target_archE908ELNS1_3gpuE7ELNS1_3repE0EEENS1_30default_config_static_selectorELNS0_4arch9wavefront6targetE0EEEvSN_,"axG",@progbits,_ZN7rocprim17ROCPRIM_400000_NS6detail17trampoline_kernelINS0_14default_configENS1_27lower_bound_config_selectorIslEEZNS1_14transform_implILb0ES3_S5_N6thrust23THRUST_200600_302600_NS17counting_iteratorIsNS8_11use_defaultESA_SA_EEPlZNS1_13binary_searchIS3_S5_PsSB_SC_NS1_21lower_bound_search_opENS8_6detail16wrapped_functionI11custom_lessbEEEE10hipError_tPvRmT1_T2_T3_mmT4_T5_P12ihipStream_tbEUlRKsE_EESK_SO_SP_mSQ_ST_bEUlT_E_NS1_11comp_targetILNS1_3genE3ELNS1_11target_archE908ELNS1_3gpuE7ELNS1_3repE0EEENS1_30default_config_static_selectorELNS0_4arch9wavefront6targetE0EEEvSN_,comdat
	.protected	_ZN7rocprim17ROCPRIM_400000_NS6detail17trampoline_kernelINS0_14default_configENS1_27lower_bound_config_selectorIslEEZNS1_14transform_implILb0ES3_S5_N6thrust23THRUST_200600_302600_NS17counting_iteratorIsNS8_11use_defaultESA_SA_EEPlZNS1_13binary_searchIS3_S5_PsSB_SC_NS1_21lower_bound_search_opENS8_6detail16wrapped_functionI11custom_lessbEEEE10hipError_tPvRmT1_T2_T3_mmT4_T5_P12ihipStream_tbEUlRKsE_EESK_SO_SP_mSQ_ST_bEUlT_E_NS1_11comp_targetILNS1_3genE3ELNS1_11target_archE908ELNS1_3gpuE7ELNS1_3repE0EEENS1_30default_config_static_selectorELNS0_4arch9wavefront6targetE0EEEvSN_ ; -- Begin function _ZN7rocprim17ROCPRIM_400000_NS6detail17trampoline_kernelINS0_14default_configENS1_27lower_bound_config_selectorIslEEZNS1_14transform_implILb0ES3_S5_N6thrust23THRUST_200600_302600_NS17counting_iteratorIsNS8_11use_defaultESA_SA_EEPlZNS1_13binary_searchIS3_S5_PsSB_SC_NS1_21lower_bound_search_opENS8_6detail16wrapped_functionI11custom_lessbEEEE10hipError_tPvRmT1_T2_T3_mmT4_T5_P12ihipStream_tbEUlRKsE_EESK_SO_SP_mSQ_ST_bEUlT_E_NS1_11comp_targetILNS1_3genE3ELNS1_11target_archE908ELNS1_3gpuE7ELNS1_3repE0EEENS1_30default_config_static_selectorELNS0_4arch9wavefront6targetE0EEEvSN_
	.globl	_ZN7rocprim17ROCPRIM_400000_NS6detail17trampoline_kernelINS0_14default_configENS1_27lower_bound_config_selectorIslEEZNS1_14transform_implILb0ES3_S5_N6thrust23THRUST_200600_302600_NS17counting_iteratorIsNS8_11use_defaultESA_SA_EEPlZNS1_13binary_searchIS3_S5_PsSB_SC_NS1_21lower_bound_search_opENS8_6detail16wrapped_functionI11custom_lessbEEEE10hipError_tPvRmT1_T2_T3_mmT4_T5_P12ihipStream_tbEUlRKsE_EESK_SO_SP_mSQ_ST_bEUlT_E_NS1_11comp_targetILNS1_3genE3ELNS1_11target_archE908ELNS1_3gpuE7ELNS1_3repE0EEENS1_30default_config_static_selectorELNS0_4arch9wavefront6targetE0EEEvSN_
	.p2align	8
	.type	_ZN7rocprim17ROCPRIM_400000_NS6detail17trampoline_kernelINS0_14default_configENS1_27lower_bound_config_selectorIslEEZNS1_14transform_implILb0ES3_S5_N6thrust23THRUST_200600_302600_NS17counting_iteratorIsNS8_11use_defaultESA_SA_EEPlZNS1_13binary_searchIS3_S5_PsSB_SC_NS1_21lower_bound_search_opENS8_6detail16wrapped_functionI11custom_lessbEEEE10hipError_tPvRmT1_T2_T3_mmT4_T5_P12ihipStream_tbEUlRKsE_EESK_SO_SP_mSQ_ST_bEUlT_E_NS1_11comp_targetILNS1_3genE3ELNS1_11target_archE908ELNS1_3gpuE7ELNS1_3repE0EEENS1_30default_config_static_selectorELNS0_4arch9wavefront6targetE0EEEvSN_,@function
_ZN7rocprim17ROCPRIM_400000_NS6detail17trampoline_kernelINS0_14default_configENS1_27lower_bound_config_selectorIslEEZNS1_14transform_implILb0ES3_S5_N6thrust23THRUST_200600_302600_NS17counting_iteratorIsNS8_11use_defaultESA_SA_EEPlZNS1_13binary_searchIS3_S5_PsSB_SC_NS1_21lower_bound_search_opENS8_6detail16wrapped_functionI11custom_lessbEEEE10hipError_tPvRmT1_T2_T3_mmT4_T5_P12ihipStream_tbEUlRKsE_EESK_SO_SP_mSQ_ST_bEUlT_E_NS1_11comp_targetILNS1_3genE3ELNS1_11target_archE908ELNS1_3gpuE7ELNS1_3repE0EEENS1_30default_config_static_selectorELNS0_4arch9wavefront6targetE0EEEvSN_: ; @_ZN7rocprim17ROCPRIM_400000_NS6detail17trampoline_kernelINS0_14default_configENS1_27lower_bound_config_selectorIslEEZNS1_14transform_implILb0ES3_S5_N6thrust23THRUST_200600_302600_NS17counting_iteratorIsNS8_11use_defaultESA_SA_EEPlZNS1_13binary_searchIS3_S5_PsSB_SC_NS1_21lower_bound_search_opENS8_6detail16wrapped_functionI11custom_lessbEEEE10hipError_tPvRmT1_T2_T3_mmT4_T5_P12ihipStream_tbEUlRKsE_EESK_SO_SP_mSQ_ST_bEUlT_E_NS1_11comp_targetILNS1_3genE3ELNS1_11target_archE908ELNS1_3gpuE7ELNS1_3repE0EEENS1_30default_config_static_selectorELNS0_4arch9wavefront6targetE0EEEvSN_
; %bb.0:
	.section	.rodata,"a",@progbits
	.p2align	6, 0x0
	.amdhsa_kernel _ZN7rocprim17ROCPRIM_400000_NS6detail17trampoline_kernelINS0_14default_configENS1_27lower_bound_config_selectorIslEEZNS1_14transform_implILb0ES3_S5_N6thrust23THRUST_200600_302600_NS17counting_iteratorIsNS8_11use_defaultESA_SA_EEPlZNS1_13binary_searchIS3_S5_PsSB_SC_NS1_21lower_bound_search_opENS8_6detail16wrapped_functionI11custom_lessbEEEE10hipError_tPvRmT1_T2_T3_mmT4_T5_P12ihipStream_tbEUlRKsE_EESK_SO_SP_mSQ_ST_bEUlT_E_NS1_11comp_targetILNS1_3genE3ELNS1_11target_archE908ELNS1_3gpuE7ELNS1_3repE0EEENS1_30default_config_static_selectorELNS0_4arch9wavefront6targetE0EEEvSN_
		.amdhsa_group_segment_fixed_size 0
		.amdhsa_private_segment_fixed_size 0
		.amdhsa_kernarg_size 56
		.amdhsa_user_sgpr_count 15
		.amdhsa_user_sgpr_dispatch_ptr 0
		.amdhsa_user_sgpr_queue_ptr 0
		.amdhsa_user_sgpr_kernarg_segment_ptr 1
		.amdhsa_user_sgpr_dispatch_id 0
		.amdhsa_user_sgpr_private_segment_size 0
		.amdhsa_wavefront_size32 1
		.amdhsa_uses_dynamic_stack 0
		.amdhsa_enable_private_segment 0
		.amdhsa_system_sgpr_workgroup_id_x 1
		.amdhsa_system_sgpr_workgroup_id_y 0
		.amdhsa_system_sgpr_workgroup_id_z 0
		.amdhsa_system_sgpr_workgroup_info 0
		.amdhsa_system_vgpr_workitem_id 0
		.amdhsa_next_free_vgpr 1
		.amdhsa_next_free_sgpr 1
		.amdhsa_reserve_vcc 0
		.amdhsa_float_round_mode_32 0
		.amdhsa_float_round_mode_16_64 0
		.amdhsa_float_denorm_mode_32 3
		.amdhsa_float_denorm_mode_16_64 3
		.amdhsa_dx10_clamp 1
		.amdhsa_ieee_mode 1
		.amdhsa_fp16_overflow 0
		.amdhsa_workgroup_processor_mode 1
		.amdhsa_memory_ordered 1
		.amdhsa_forward_progress 0
		.amdhsa_shared_vgpr_count 0
		.amdhsa_exception_fp_ieee_invalid_op 0
		.amdhsa_exception_fp_denorm_src 0
		.amdhsa_exception_fp_ieee_div_zero 0
		.amdhsa_exception_fp_ieee_overflow 0
		.amdhsa_exception_fp_ieee_underflow 0
		.amdhsa_exception_fp_ieee_inexact 0
		.amdhsa_exception_int_div_zero 0
	.end_amdhsa_kernel
	.section	.text._ZN7rocprim17ROCPRIM_400000_NS6detail17trampoline_kernelINS0_14default_configENS1_27lower_bound_config_selectorIslEEZNS1_14transform_implILb0ES3_S5_N6thrust23THRUST_200600_302600_NS17counting_iteratorIsNS8_11use_defaultESA_SA_EEPlZNS1_13binary_searchIS3_S5_PsSB_SC_NS1_21lower_bound_search_opENS8_6detail16wrapped_functionI11custom_lessbEEEE10hipError_tPvRmT1_T2_T3_mmT4_T5_P12ihipStream_tbEUlRKsE_EESK_SO_SP_mSQ_ST_bEUlT_E_NS1_11comp_targetILNS1_3genE3ELNS1_11target_archE908ELNS1_3gpuE7ELNS1_3repE0EEENS1_30default_config_static_selectorELNS0_4arch9wavefront6targetE0EEEvSN_,"axG",@progbits,_ZN7rocprim17ROCPRIM_400000_NS6detail17trampoline_kernelINS0_14default_configENS1_27lower_bound_config_selectorIslEEZNS1_14transform_implILb0ES3_S5_N6thrust23THRUST_200600_302600_NS17counting_iteratorIsNS8_11use_defaultESA_SA_EEPlZNS1_13binary_searchIS3_S5_PsSB_SC_NS1_21lower_bound_search_opENS8_6detail16wrapped_functionI11custom_lessbEEEE10hipError_tPvRmT1_T2_T3_mmT4_T5_P12ihipStream_tbEUlRKsE_EESK_SO_SP_mSQ_ST_bEUlT_E_NS1_11comp_targetILNS1_3genE3ELNS1_11target_archE908ELNS1_3gpuE7ELNS1_3repE0EEENS1_30default_config_static_selectorELNS0_4arch9wavefront6targetE0EEEvSN_,comdat
.Lfunc_end82:
	.size	_ZN7rocprim17ROCPRIM_400000_NS6detail17trampoline_kernelINS0_14default_configENS1_27lower_bound_config_selectorIslEEZNS1_14transform_implILb0ES3_S5_N6thrust23THRUST_200600_302600_NS17counting_iteratorIsNS8_11use_defaultESA_SA_EEPlZNS1_13binary_searchIS3_S5_PsSB_SC_NS1_21lower_bound_search_opENS8_6detail16wrapped_functionI11custom_lessbEEEE10hipError_tPvRmT1_T2_T3_mmT4_T5_P12ihipStream_tbEUlRKsE_EESK_SO_SP_mSQ_ST_bEUlT_E_NS1_11comp_targetILNS1_3genE3ELNS1_11target_archE908ELNS1_3gpuE7ELNS1_3repE0EEENS1_30default_config_static_selectorELNS0_4arch9wavefront6targetE0EEEvSN_, .Lfunc_end82-_ZN7rocprim17ROCPRIM_400000_NS6detail17trampoline_kernelINS0_14default_configENS1_27lower_bound_config_selectorIslEEZNS1_14transform_implILb0ES3_S5_N6thrust23THRUST_200600_302600_NS17counting_iteratorIsNS8_11use_defaultESA_SA_EEPlZNS1_13binary_searchIS3_S5_PsSB_SC_NS1_21lower_bound_search_opENS8_6detail16wrapped_functionI11custom_lessbEEEE10hipError_tPvRmT1_T2_T3_mmT4_T5_P12ihipStream_tbEUlRKsE_EESK_SO_SP_mSQ_ST_bEUlT_E_NS1_11comp_targetILNS1_3genE3ELNS1_11target_archE908ELNS1_3gpuE7ELNS1_3repE0EEENS1_30default_config_static_selectorELNS0_4arch9wavefront6targetE0EEEvSN_
                                        ; -- End function
	.section	.AMDGPU.csdata,"",@progbits
; Kernel info:
; codeLenInByte = 0
; NumSgprs: 0
; NumVgprs: 0
; ScratchSize: 0
; MemoryBound: 0
; FloatMode: 240
; IeeeMode: 1
; LDSByteSize: 0 bytes/workgroup (compile time only)
; SGPRBlocks: 0
; VGPRBlocks: 0
; NumSGPRsForWavesPerEU: 1
; NumVGPRsForWavesPerEU: 1
; Occupancy: 16
; WaveLimiterHint : 0
; COMPUTE_PGM_RSRC2:SCRATCH_EN: 0
; COMPUTE_PGM_RSRC2:USER_SGPR: 15
; COMPUTE_PGM_RSRC2:TRAP_HANDLER: 0
; COMPUTE_PGM_RSRC2:TGID_X_EN: 1
; COMPUTE_PGM_RSRC2:TGID_Y_EN: 0
; COMPUTE_PGM_RSRC2:TGID_Z_EN: 0
; COMPUTE_PGM_RSRC2:TIDIG_COMP_CNT: 0
	.section	.text._ZN7rocprim17ROCPRIM_400000_NS6detail17trampoline_kernelINS0_14default_configENS1_27lower_bound_config_selectorIslEEZNS1_14transform_implILb0ES3_S5_N6thrust23THRUST_200600_302600_NS17counting_iteratorIsNS8_11use_defaultESA_SA_EEPlZNS1_13binary_searchIS3_S5_PsSB_SC_NS1_21lower_bound_search_opENS8_6detail16wrapped_functionI11custom_lessbEEEE10hipError_tPvRmT1_T2_T3_mmT4_T5_P12ihipStream_tbEUlRKsE_EESK_SO_SP_mSQ_ST_bEUlT_E_NS1_11comp_targetILNS1_3genE2ELNS1_11target_archE906ELNS1_3gpuE6ELNS1_3repE0EEENS1_30default_config_static_selectorELNS0_4arch9wavefront6targetE0EEEvSN_,"axG",@progbits,_ZN7rocprim17ROCPRIM_400000_NS6detail17trampoline_kernelINS0_14default_configENS1_27lower_bound_config_selectorIslEEZNS1_14transform_implILb0ES3_S5_N6thrust23THRUST_200600_302600_NS17counting_iteratorIsNS8_11use_defaultESA_SA_EEPlZNS1_13binary_searchIS3_S5_PsSB_SC_NS1_21lower_bound_search_opENS8_6detail16wrapped_functionI11custom_lessbEEEE10hipError_tPvRmT1_T2_T3_mmT4_T5_P12ihipStream_tbEUlRKsE_EESK_SO_SP_mSQ_ST_bEUlT_E_NS1_11comp_targetILNS1_3genE2ELNS1_11target_archE906ELNS1_3gpuE6ELNS1_3repE0EEENS1_30default_config_static_selectorELNS0_4arch9wavefront6targetE0EEEvSN_,comdat
	.protected	_ZN7rocprim17ROCPRIM_400000_NS6detail17trampoline_kernelINS0_14default_configENS1_27lower_bound_config_selectorIslEEZNS1_14transform_implILb0ES3_S5_N6thrust23THRUST_200600_302600_NS17counting_iteratorIsNS8_11use_defaultESA_SA_EEPlZNS1_13binary_searchIS3_S5_PsSB_SC_NS1_21lower_bound_search_opENS8_6detail16wrapped_functionI11custom_lessbEEEE10hipError_tPvRmT1_T2_T3_mmT4_T5_P12ihipStream_tbEUlRKsE_EESK_SO_SP_mSQ_ST_bEUlT_E_NS1_11comp_targetILNS1_3genE2ELNS1_11target_archE906ELNS1_3gpuE6ELNS1_3repE0EEENS1_30default_config_static_selectorELNS0_4arch9wavefront6targetE0EEEvSN_ ; -- Begin function _ZN7rocprim17ROCPRIM_400000_NS6detail17trampoline_kernelINS0_14default_configENS1_27lower_bound_config_selectorIslEEZNS1_14transform_implILb0ES3_S5_N6thrust23THRUST_200600_302600_NS17counting_iteratorIsNS8_11use_defaultESA_SA_EEPlZNS1_13binary_searchIS3_S5_PsSB_SC_NS1_21lower_bound_search_opENS8_6detail16wrapped_functionI11custom_lessbEEEE10hipError_tPvRmT1_T2_T3_mmT4_T5_P12ihipStream_tbEUlRKsE_EESK_SO_SP_mSQ_ST_bEUlT_E_NS1_11comp_targetILNS1_3genE2ELNS1_11target_archE906ELNS1_3gpuE6ELNS1_3repE0EEENS1_30default_config_static_selectorELNS0_4arch9wavefront6targetE0EEEvSN_
	.globl	_ZN7rocprim17ROCPRIM_400000_NS6detail17trampoline_kernelINS0_14default_configENS1_27lower_bound_config_selectorIslEEZNS1_14transform_implILb0ES3_S5_N6thrust23THRUST_200600_302600_NS17counting_iteratorIsNS8_11use_defaultESA_SA_EEPlZNS1_13binary_searchIS3_S5_PsSB_SC_NS1_21lower_bound_search_opENS8_6detail16wrapped_functionI11custom_lessbEEEE10hipError_tPvRmT1_T2_T3_mmT4_T5_P12ihipStream_tbEUlRKsE_EESK_SO_SP_mSQ_ST_bEUlT_E_NS1_11comp_targetILNS1_3genE2ELNS1_11target_archE906ELNS1_3gpuE6ELNS1_3repE0EEENS1_30default_config_static_selectorELNS0_4arch9wavefront6targetE0EEEvSN_
	.p2align	8
	.type	_ZN7rocprim17ROCPRIM_400000_NS6detail17trampoline_kernelINS0_14default_configENS1_27lower_bound_config_selectorIslEEZNS1_14transform_implILb0ES3_S5_N6thrust23THRUST_200600_302600_NS17counting_iteratorIsNS8_11use_defaultESA_SA_EEPlZNS1_13binary_searchIS3_S5_PsSB_SC_NS1_21lower_bound_search_opENS8_6detail16wrapped_functionI11custom_lessbEEEE10hipError_tPvRmT1_T2_T3_mmT4_T5_P12ihipStream_tbEUlRKsE_EESK_SO_SP_mSQ_ST_bEUlT_E_NS1_11comp_targetILNS1_3genE2ELNS1_11target_archE906ELNS1_3gpuE6ELNS1_3repE0EEENS1_30default_config_static_selectorELNS0_4arch9wavefront6targetE0EEEvSN_,@function
_ZN7rocprim17ROCPRIM_400000_NS6detail17trampoline_kernelINS0_14default_configENS1_27lower_bound_config_selectorIslEEZNS1_14transform_implILb0ES3_S5_N6thrust23THRUST_200600_302600_NS17counting_iteratorIsNS8_11use_defaultESA_SA_EEPlZNS1_13binary_searchIS3_S5_PsSB_SC_NS1_21lower_bound_search_opENS8_6detail16wrapped_functionI11custom_lessbEEEE10hipError_tPvRmT1_T2_T3_mmT4_T5_P12ihipStream_tbEUlRKsE_EESK_SO_SP_mSQ_ST_bEUlT_E_NS1_11comp_targetILNS1_3genE2ELNS1_11target_archE906ELNS1_3gpuE6ELNS1_3repE0EEENS1_30default_config_static_selectorELNS0_4arch9wavefront6targetE0EEEvSN_: ; @_ZN7rocprim17ROCPRIM_400000_NS6detail17trampoline_kernelINS0_14default_configENS1_27lower_bound_config_selectorIslEEZNS1_14transform_implILb0ES3_S5_N6thrust23THRUST_200600_302600_NS17counting_iteratorIsNS8_11use_defaultESA_SA_EEPlZNS1_13binary_searchIS3_S5_PsSB_SC_NS1_21lower_bound_search_opENS8_6detail16wrapped_functionI11custom_lessbEEEE10hipError_tPvRmT1_T2_T3_mmT4_T5_P12ihipStream_tbEUlRKsE_EESK_SO_SP_mSQ_ST_bEUlT_E_NS1_11comp_targetILNS1_3genE2ELNS1_11target_archE906ELNS1_3gpuE6ELNS1_3repE0EEENS1_30default_config_static_selectorELNS0_4arch9wavefront6targetE0EEEvSN_
; %bb.0:
	.section	.rodata,"a",@progbits
	.p2align	6, 0x0
	.amdhsa_kernel _ZN7rocprim17ROCPRIM_400000_NS6detail17trampoline_kernelINS0_14default_configENS1_27lower_bound_config_selectorIslEEZNS1_14transform_implILb0ES3_S5_N6thrust23THRUST_200600_302600_NS17counting_iteratorIsNS8_11use_defaultESA_SA_EEPlZNS1_13binary_searchIS3_S5_PsSB_SC_NS1_21lower_bound_search_opENS8_6detail16wrapped_functionI11custom_lessbEEEE10hipError_tPvRmT1_T2_T3_mmT4_T5_P12ihipStream_tbEUlRKsE_EESK_SO_SP_mSQ_ST_bEUlT_E_NS1_11comp_targetILNS1_3genE2ELNS1_11target_archE906ELNS1_3gpuE6ELNS1_3repE0EEENS1_30default_config_static_selectorELNS0_4arch9wavefront6targetE0EEEvSN_
		.amdhsa_group_segment_fixed_size 0
		.amdhsa_private_segment_fixed_size 0
		.amdhsa_kernarg_size 56
		.amdhsa_user_sgpr_count 15
		.amdhsa_user_sgpr_dispatch_ptr 0
		.amdhsa_user_sgpr_queue_ptr 0
		.amdhsa_user_sgpr_kernarg_segment_ptr 1
		.amdhsa_user_sgpr_dispatch_id 0
		.amdhsa_user_sgpr_private_segment_size 0
		.amdhsa_wavefront_size32 1
		.amdhsa_uses_dynamic_stack 0
		.amdhsa_enable_private_segment 0
		.amdhsa_system_sgpr_workgroup_id_x 1
		.amdhsa_system_sgpr_workgroup_id_y 0
		.amdhsa_system_sgpr_workgroup_id_z 0
		.amdhsa_system_sgpr_workgroup_info 0
		.amdhsa_system_vgpr_workitem_id 0
		.amdhsa_next_free_vgpr 1
		.amdhsa_next_free_sgpr 1
		.amdhsa_reserve_vcc 0
		.amdhsa_float_round_mode_32 0
		.amdhsa_float_round_mode_16_64 0
		.amdhsa_float_denorm_mode_32 3
		.amdhsa_float_denorm_mode_16_64 3
		.amdhsa_dx10_clamp 1
		.amdhsa_ieee_mode 1
		.amdhsa_fp16_overflow 0
		.amdhsa_workgroup_processor_mode 1
		.amdhsa_memory_ordered 1
		.amdhsa_forward_progress 0
		.amdhsa_shared_vgpr_count 0
		.amdhsa_exception_fp_ieee_invalid_op 0
		.amdhsa_exception_fp_denorm_src 0
		.amdhsa_exception_fp_ieee_div_zero 0
		.amdhsa_exception_fp_ieee_overflow 0
		.amdhsa_exception_fp_ieee_underflow 0
		.amdhsa_exception_fp_ieee_inexact 0
		.amdhsa_exception_int_div_zero 0
	.end_amdhsa_kernel
	.section	.text._ZN7rocprim17ROCPRIM_400000_NS6detail17trampoline_kernelINS0_14default_configENS1_27lower_bound_config_selectorIslEEZNS1_14transform_implILb0ES3_S5_N6thrust23THRUST_200600_302600_NS17counting_iteratorIsNS8_11use_defaultESA_SA_EEPlZNS1_13binary_searchIS3_S5_PsSB_SC_NS1_21lower_bound_search_opENS8_6detail16wrapped_functionI11custom_lessbEEEE10hipError_tPvRmT1_T2_T3_mmT4_T5_P12ihipStream_tbEUlRKsE_EESK_SO_SP_mSQ_ST_bEUlT_E_NS1_11comp_targetILNS1_3genE2ELNS1_11target_archE906ELNS1_3gpuE6ELNS1_3repE0EEENS1_30default_config_static_selectorELNS0_4arch9wavefront6targetE0EEEvSN_,"axG",@progbits,_ZN7rocprim17ROCPRIM_400000_NS6detail17trampoline_kernelINS0_14default_configENS1_27lower_bound_config_selectorIslEEZNS1_14transform_implILb0ES3_S5_N6thrust23THRUST_200600_302600_NS17counting_iteratorIsNS8_11use_defaultESA_SA_EEPlZNS1_13binary_searchIS3_S5_PsSB_SC_NS1_21lower_bound_search_opENS8_6detail16wrapped_functionI11custom_lessbEEEE10hipError_tPvRmT1_T2_T3_mmT4_T5_P12ihipStream_tbEUlRKsE_EESK_SO_SP_mSQ_ST_bEUlT_E_NS1_11comp_targetILNS1_3genE2ELNS1_11target_archE906ELNS1_3gpuE6ELNS1_3repE0EEENS1_30default_config_static_selectorELNS0_4arch9wavefront6targetE0EEEvSN_,comdat
.Lfunc_end83:
	.size	_ZN7rocprim17ROCPRIM_400000_NS6detail17trampoline_kernelINS0_14default_configENS1_27lower_bound_config_selectorIslEEZNS1_14transform_implILb0ES3_S5_N6thrust23THRUST_200600_302600_NS17counting_iteratorIsNS8_11use_defaultESA_SA_EEPlZNS1_13binary_searchIS3_S5_PsSB_SC_NS1_21lower_bound_search_opENS8_6detail16wrapped_functionI11custom_lessbEEEE10hipError_tPvRmT1_T2_T3_mmT4_T5_P12ihipStream_tbEUlRKsE_EESK_SO_SP_mSQ_ST_bEUlT_E_NS1_11comp_targetILNS1_3genE2ELNS1_11target_archE906ELNS1_3gpuE6ELNS1_3repE0EEENS1_30default_config_static_selectorELNS0_4arch9wavefront6targetE0EEEvSN_, .Lfunc_end83-_ZN7rocprim17ROCPRIM_400000_NS6detail17trampoline_kernelINS0_14default_configENS1_27lower_bound_config_selectorIslEEZNS1_14transform_implILb0ES3_S5_N6thrust23THRUST_200600_302600_NS17counting_iteratorIsNS8_11use_defaultESA_SA_EEPlZNS1_13binary_searchIS3_S5_PsSB_SC_NS1_21lower_bound_search_opENS8_6detail16wrapped_functionI11custom_lessbEEEE10hipError_tPvRmT1_T2_T3_mmT4_T5_P12ihipStream_tbEUlRKsE_EESK_SO_SP_mSQ_ST_bEUlT_E_NS1_11comp_targetILNS1_3genE2ELNS1_11target_archE906ELNS1_3gpuE6ELNS1_3repE0EEENS1_30default_config_static_selectorELNS0_4arch9wavefront6targetE0EEEvSN_
                                        ; -- End function
	.section	.AMDGPU.csdata,"",@progbits
; Kernel info:
; codeLenInByte = 0
; NumSgprs: 0
; NumVgprs: 0
; ScratchSize: 0
; MemoryBound: 0
; FloatMode: 240
; IeeeMode: 1
; LDSByteSize: 0 bytes/workgroup (compile time only)
; SGPRBlocks: 0
; VGPRBlocks: 0
; NumSGPRsForWavesPerEU: 1
; NumVGPRsForWavesPerEU: 1
; Occupancy: 16
; WaveLimiterHint : 0
; COMPUTE_PGM_RSRC2:SCRATCH_EN: 0
; COMPUTE_PGM_RSRC2:USER_SGPR: 15
; COMPUTE_PGM_RSRC2:TRAP_HANDLER: 0
; COMPUTE_PGM_RSRC2:TGID_X_EN: 1
; COMPUTE_PGM_RSRC2:TGID_Y_EN: 0
; COMPUTE_PGM_RSRC2:TGID_Z_EN: 0
; COMPUTE_PGM_RSRC2:TIDIG_COMP_CNT: 0
	.section	.text._ZN7rocprim17ROCPRIM_400000_NS6detail17trampoline_kernelINS0_14default_configENS1_27lower_bound_config_selectorIslEEZNS1_14transform_implILb0ES3_S5_N6thrust23THRUST_200600_302600_NS17counting_iteratorIsNS8_11use_defaultESA_SA_EEPlZNS1_13binary_searchIS3_S5_PsSB_SC_NS1_21lower_bound_search_opENS8_6detail16wrapped_functionI11custom_lessbEEEE10hipError_tPvRmT1_T2_T3_mmT4_T5_P12ihipStream_tbEUlRKsE_EESK_SO_SP_mSQ_ST_bEUlT_E_NS1_11comp_targetILNS1_3genE10ELNS1_11target_archE1201ELNS1_3gpuE5ELNS1_3repE0EEENS1_30default_config_static_selectorELNS0_4arch9wavefront6targetE0EEEvSN_,"axG",@progbits,_ZN7rocprim17ROCPRIM_400000_NS6detail17trampoline_kernelINS0_14default_configENS1_27lower_bound_config_selectorIslEEZNS1_14transform_implILb0ES3_S5_N6thrust23THRUST_200600_302600_NS17counting_iteratorIsNS8_11use_defaultESA_SA_EEPlZNS1_13binary_searchIS3_S5_PsSB_SC_NS1_21lower_bound_search_opENS8_6detail16wrapped_functionI11custom_lessbEEEE10hipError_tPvRmT1_T2_T3_mmT4_T5_P12ihipStream_tbEUlRKsE_EESK_SO_SP_mSQ_ST_bEUlT_E_NS1_11comp_targetILNS1_3genE10ELNS1_11target_archE1201ELNS1_3gpuE5ELNS1_3repE0EEENS1_30default_config_static_selectorELNS0_4arch9wavefront6targetE0EEEvSN_,comdat
	.protected	_ZN7rocprim17ROCPRIM_400000_NS6detail17trampoline_kernelINS0_14default_configENS1_27lower_bound_config_selectorIslEEZNS1_14transform_implILb0ES3_S5_N6thrust23THRUST_200600_302600_NS17counting_iteratorIsNS8_11use_defaultESA_SA_EEPlZNS1_13binary_searchIS3_S5_PsSB_SC_NS1_21lower_bound_search_opENS8_6detail16wrapped_functionI11custom_lessbEEEE10hipError_tPvRmT1_T2_T3_mmT4_T5_P12ihipStream_tbEUlRKsE_EESK_SO_SP_mSQ_ST_bEUlT_E_NS1_11comp_targetILNS1_3genE10ELNS1_11target_archE1201ELNS1_3gpuE5ELNS1_3repE0EEENS1_30default_config_static_selectorELNS0_4arch9wavefront6targetE0EEEvSN_ ; -- Begin function _ZN7rocprim17ROCPRIM_400000_NS6detail17trampoline_kernelINS0_14default_configENS1_27lower_bound_config_selectorIslEEZNS1_14transform_implILb0ES3_S5_N6thrust23THRUST_200600_302600_NS17counting_iteratorIsNS8_11use_defaultESA_SA_EEPlZNS1_13binary_searchIS3_S5_PsSB_SC_NS1_21lower_bound_search_opENS8_6detail16wrapped_functionI11custom_lessbEEEE10hipError_tPvRmT1_T2_T3_mmT4_T5_P12ihipStream_tbEUlRKsE_EESK_SO_SP_mSQ_ST_bEUlT_E_NS1_11comp_targetILNS1_3genE10ELNS1_11target_archE1201ELNS1_3gpuE5ELNS1_3repE0EEENS1_30default_config_static_selectorELNS0_4arch9wavefront6targetE0EEEvSN_
	.globl	_ZN7rocprim17ROCPRIM_400000_NS6detail17trampoline_kernelINS0_14default_configENS1_27lower_bound_config_selectorIslEEZNS1_14transform_implILb0ES3_S5_N6thrust23THRUST_200600_302600_NS17counting_iteratorIsNS8_11use_defaultESA_SA_EEPlZNS1_13binary_searchIS3_S5_PsSB_SC_NS1_21lower_bound_search_opENS8_6detail16wrapped_functionI11custom_lessbEEEE10hipError_tPvRmT1_T2_T3_mmT4_T5_P12ihipStream_tbEUlRKsE_EESK_SO_SP_mSQ_ST_bEUlT_E_NS1_11comp_targetILNS1_3genE10ELNS1_11target_archE1201ELNS1_3gpuE5ELNS1_3repE0EEENS1_30default_config_static_selectorELNS0_4arch9wavefront6targetE0EEEvSN_
	.p2align	8
	.type	_ZN7rocprim17ROCPRIM_400000_NS6detail17trampoline_kernelINS0_14default_configENS1_27lower_bound_config_selectorIslEEZNS1_14transform_implILb0ES3_S5_N6thrust23THRUST_200600_302600_NS17counting_iteratorIsNS8_11use_defaultESA_SA_EEPlZNS1_13binary_searchIS3_S5_PsSB_SC_NS1_21lower_bound_search_opENS8_6detail16wrapped_functionI11custom_lessbEEEE10hipError_tPvRmT1_T2_T3_mmT4_T5_P12ihipStream_tbEUlRKsE_EESK_SO_SP_mSQ_ST_bEUlT_E_NS1_11comp_targetILNS1_3genE10ELNS1_11target_archE1201ELNS1_3gpuE5ELNS1_3repE0EEENS1_30default_config_static_selectorELNS0_4arch9wavefront6targetE0EEEvSN_,@function
_ZN7rocprim17ROCPRIM_400000_NS6detail17trampoline_kernelINS0_14default_configENS1_27lower_bound_config_selectorIslEEZNS1_14transform_implILb0ES3_S5_N6thrust23THRUST_200600_302600_NS17counting_iteratorIsNS8_11use_defaultESA_SA_EEPlZNS1_13binary_searchIS3_S5_PsSB_SC_NS1_21lower_bound_search_opENS8_6detail16wrapped_functionI11custom_lessbEEEE10hipError_tPvRmT1_T2_T3_mmT4_T5_P12ihipStream_tbEUlRKsE_EESK_SO_SP_mSQ_ST_bEUlT_E_NS1_11comp_targetILNS1_3genE10ELNS1_11target_archE1201ELNS1_3gpuE5ELNS1_3repE0EEENS1_30default_config_static_selectorELNS0_4arch9wavefront6targetE0EEEvSN_: ; @_ZN7rocprim17ROCPRIM_400000_NS6detail17trampoline_kernelINS0_14default_configENS1_27lower_bound_config_selectorIslEEZNS1_14transform_implILb0ES3_S5_N6thrust23THRUST_200600_302600_NS17counting_iteratorIsNS8_11use_defaultESA_SA_EEPlZNS1_13binary_searchIS3_S5_PsSB_SC_NS1_21lower_bound_search_opENS8_6detail16wrapped_functionI11custom_lessbEEEE10hipError_tPvRmT1_T2_T3_mmT4_T5_P12ihipStream_tbEUlRKsE_EESK_SO_SP_mSQ_ST_bEUlT_E_NS1_11comp_targetILNS1_3genE10ELNS1_11target_archE1201ELNS1_3gpuE5ELNS1_3repE0EEENS1_30default_config_static_selectorELNS0_4arch9wavefront6targetE0EEEvSN_
; %bb.0:
	.section	.rodata,"a",@progbits
	.p2align	6, 0x0
	.amdhsa_kernel _ZN7rocprim17ROCPRIM_400000_NS6detail17trampoline_kernelINS0_14default_configENS1_27lower_bound_config_selectorIslEEZNS1_14transform_implILb0ES3_S5_N6thrust23THRUST_200600_302600_NS17counting_iteratorIsNS8_11use_defaultESA_SA_EEPlZNS1_13binary_searchIS3_S5_PsSB_SC_NS1_21lower_bound_search_opENS8_6detail16wrapped_functionI11custom_lessbEEEE10hipError_tPvRmT1_T2_T3_mmT4_T5_P12ihipStream_tbEUlRKsE_EESK_SO_SP_mSQ_ST_bEUlT_E_NS1_11comp_targetILNS1_3genE10ELNS1_11target_archE1201ELNS1_3gpuE5ELNS1_3repE0EEENS1_30default_config_static_selectorELNS0_4arch9wavefront6targetE0EEEvSN_
		.amdhsa_group_segment_fixed_size 0
		.amdhsa_private_segment_fixed_size 0
		.amdhsa_kernarg_size 56
		.amdhsa_user_sgpr_count 15
		.amdhsa_user_sgpr_dispatch_ptr 0
		.amdhsa_user_sgpr_queue_ptr 0
		.amdhsa_user_sgpr_kernarg_segment_ptr 1
		.amdhsa_user_sgpr_dispatch_id 0
		.amdhsa_user_sgpr_private_segment_size 0
		.amdhsa_wavefront_size32 1
		.amdhsa_uses_dynamic_stack 0
		.amdhsa_enable_private_segment 0
		.amdhsa_system_sgpr_workgroup_id_x 1
		.amdhsa_system_sgpr_workgroup_id_y 0
		.amdhsa_system_sgpr_workgroup_id_z 0
		.amdhsa_system_sgpr_workgroup_info 0
		.amdhsa_system_vgpr_workitem_id 0
		.amdhsa_next_free_vgpr 1
		.amdhsa_next_free_sgpr 1
		.amdhsa_reserve_vcc 0
		.amdhsa_float_round_mode_32 0
		.amdhsa_float_round_mode_16_64 0
		.amdhsa_float_denorm_mode_32 3
		.amdhsa_float_denorm_mode_16_64 3
		.amdhsa_dx10_clamp 1
		.amdhsa_ieee_mode 1
		.amdhsa_fp16_overflow 0
		.amdhsa_workgroup_processor_mode 1
		.amdhsa_memory_ordered 1
		.amdhsa_forward_progress 0
		.amdhsa_shared_vgpr_count 0
		.amdhsa_exception_fp_ieee_invalid_op 0
		.amdhsa_exception_fp_denorm_src 0
		.amdhsa_exception_fp_ieee_div_zero 0
		.amdhsa_exception_fp_ieee_overflow 0
		.amdhsa_exception_fp_ieee_underflow 0
		.amdhsa_exception_fp_ieee_inexact 0
		.amdhsa_exception_int_div_zero 0
	.end_amdhsa_kernel
	.section	.text._ZN7rocprim17ROCPRIM_400000_NS6detail17trampoline_kernelINS0_14default_configENS1_27lower_bound_config_selectorIslEEZNS1_14transform_implILb0ES3_S5_N6thrust23THRUST_200600_302600_NS17counting_iteratorIsNS8_11use_defaultESA_SA_EEPlZNS1_13binary_searchIS3_S5_PsSB_SC_NS1_21lower_bound_search_opENS8_6detail16wrapped_functionI11custom_lessbEEEE10hipError_tPvRmT1_T2_T3_mmT4_T5_P12ihipStream_tbEUlRKsE_EESK_SO_SP_mSQ_ST_bEUlT_E_NS1_11comp_targetILNS1_3genE10ELNS1_11target_archE1201ELNS1_3gpuE5ELNS1_3repE0EEENS1_30default_config_static_selectorELNS0_4arch9wavefront6targetE0EEEvSN_,"axG",@progbits,_ZN7rocprim17ROCPRIM_400000_NS6detail17trampoline_kernelINS0_14default_configENS1_27lower_bound_config_selectorIslEEZNS1_14transform_implILb0ES3_S5_N6thrust23THRUST_200600_302600_NS17counting_iteratorIsNS8_11use_defaultESA_SA_EEPlZNS1_13binary_searchIS3_S5_PsSB_SC_NS1_21lower_bound_search_opENS8_6detail16wrapped_functionI11custom_lessbEEEE10hipError_tPvRmT1_T2_T3_mmT4_T5_P12ihipStream_tbEUlRKsE_EESK_SO_SP_mSQ_ST_bEUlT_E_NS1_11comp_targetILNS1_3genE10ELNS1_11target_archE1201ELNS1_3gpuE5ELNS1_3repE0EEENS1_30default_config_static_selectorELNS0_4arch9wavefront6targetE0EEEvSN_,comdat
.Lfunc_end84:
	.size	_ZN7rocprim17ROCPRIM_400000_NS6detail17trampoline_kernelINS0_14default_configENS1_27lower_bound_config_selectorIslEEZNS1_14transform_implILb0ES3_S5_N6thrust23THRUST_200600_302600_NS17counting_iteratorIsNS8_11use_defaultESA_SA_EEPlZNS1_13binary_searchIS3_S5_PsSB_SC_NS1_21lower_bound_search_opENS8_6detail16wrapped_functionI11custom_lessbEEEE10hipError_tPvRmT1_T2_T3_mmT4_T5_P12ihipStream_tbEUlRKsE_EESK_SO_SP_mSQ_ST_bEUlT_E_NS1_11comp_targetILNS1_3genE10ELNS1_11target_archE1201ELNS1_3gpuE5ELNS1_3repE0EEENS1_30default_config_static_selectorELNS0_4arch9wavefront6targetE0EEEvSN_, .Lfunc_end84-_ZN7rocprim17ROCPRIM_400000_NS6detail17trampoline_kernelINS0_14default_configENS1_27lower_bound_config_selectorIslEEZNS1_14transform_implILb0ES3_S5_N6thrust23THRUST_200600_302600_NS17counting_iteratorIsNS8_11use_defaultESA_SA_EEPlZNS1_13binary_searchIS3_S5_PsSB_SC_NS1_21lower_bound_search_opENS8_6detail16wrapped_functionI11custom_lessbEEEE10hipError_tPvRmT1_T2_T3_mmT4_T5_P12ihipStream_tbEUlRKsE_EESK_SO_SP_mSQ_ST_bEUlT_E_NS1_11comp_targetILNS1_3genE10ELNS1_11target_archE1201ELNS1_3gpuE5ELNS1_3repE0EEENS1_30default_config_static_selectorELNS0_4arch9wavefront6targetE0EEEvSN_
                                        ; -- End function
	.section	.AMDGPU.csdata,"",@progbits
; Kernel info:
; codeLenInByte = 0
; NumSgprs: 0
; NumVgprs: 0
; ScratchSize: 0
; MemoryBound: 0
; FloatMode: 240
; IeeeMode: 1
; LDSByteSize: 0 bytes/workgroup (compile time only)
; SGPRBlocks: 0
; VGPRBlocks: 0
; NumSGPRsForWavesPerEU: 1
; NumVGPRsForWavesPerEU: 1
; Occupancy: 16
; WaveLimiterHint : 0
; COMPUTE_PGM_RSRC2:SCRATCH_EN: 0
; COMPUTE_PGM_RSRC2:USER_SGPR: 15
; COMPUTE_PGM_RSRC2:TRAP_HANDLER: 0
; COMPUTE_PGM_RSRC2:TGID_X_EN: 1
; COMPUTE_PGM_RSRC2:TGID_Y_EN: 0
; COMPUTE_PGM_RSRC2:TGID_Z_EN: 0
; COMPUTE_PGM_RSRC2:TIDIG_COMP_CNT: 0
	.section	.text._ZN7rocprim17ROCPRIM_400000_NS6detail17trampoline_kernelINS0_14default_configENS1_27lower_bound_config_selectorIslEEZNS1_14transform_implILb0ES3_S5_N6thrust23THRUST_200600_302600_NS17counting_iteratorIsNS8_11use_defaultESA_SA_EEPlZNS1_13binary_searchIS3_S5_PsSB_SC_NS1_21lower_bound_search_opENS8_6detail16wrapped_functionI11custom_lessbEEEE10hipError_tPvRmT1_T2_T3_mmT4_T5_P12ihipStream_tbEUlRKsE_EESK_SO_SP_mSQ_ST_bEUlT_E_NS1_11comp_targetILNS1_3genE10ELNS1_11target_archE1200ELNS1_3gpuE4ELNS1_3repE0EEENS1_30default_config_static_selectorELNS0_4arch9wavefront6targetE0EEEvSN_,"axG",@progbits,_ZN7rocprim17ROCPRIM_400000_NS6detail17trampoline_kernelINS0_14default_configENS1_27lower_bound_config_selectorIslEEZNS1_14transform_implILb0ES3_S5_N6thrust23THRUST_200600_302600_NS17counting_iteratorIsNS8_11use_defaultESA_SA_EEPlZNS1_13binary_searchIS3_S5_PsSB_SC_NS1_21lower_bound_search_opENS8_6detail16wrapped_functionI11custom_lessbEEEE10hipError_tPvRmT1_T2_T3_mmT4_T5_P12ihipStream_tbEUlRKsE_EESK_SO_SP_mSQ_ST_bEUlT_E_NS1_11comp_targetILNS1_3genE10ELNS1_11target_archE1200ELNS1_3gpuE4ELNS1_3repE0EEENS1_30default_config_static_selectorELNS0_4arch9wavefront6targetE0EEEvSN_,comdat
	.protected	_ZN7rocprim17ROCPRIM_400000_NS6detail17trampoline_kernelINS0_14default_configENS1_27lower_bound_config_selectorIslEEZNS1_14transform_implILb0ES3_S5_N6thrust23THRUST_200600_302600_NS17counting_iteratorIsNS8_11use_defaultESA_SA_EEPlZNS1_13binary_searchIS3_S5_PsSB_SC_NS1_21lower_bound_search_opENS8_6detail16wrapped_functionI11custom_lessbEEEE10hipError_tPvRmT1_T2_T3_mmT4_T5_P12ihipStream_tbEUlRKsE_EESK_SO_SP_mSQ_ST_bEUlT_E_NS1_11comp_targetILNS1_3genE10ELNS1_11target_archE1200ELNS1_3gpuE4ELNS1_3repE0EEENS1_30default_config_static_selectorELNS0_4arch9wavefront6targetE0EEEvSN_ ; -- Begin function _ZN7rocprim17ROCPRIM_400000_NS6detail17trampoline_kernelINS0_14default_configENS1_27lower_bound_config_selectorIslEEZNS1_14transform_implILb0ES3_S5_N6thrust23THRUST_200600_302600_NS17counting_iteratorIsNS8_11use_defaultESA_SA_EEPlZNS1_13binary_searchIS3_S5_PsSB_SC_NS1_21lower_bound_search_opENS8_6detail16wrapped_functionI11custom_lessbEEEE10hipError_tPvRmT1_T2_T3_mmT4_T5_P12ihipStream_tbEUlRKsE_EESK_SO_SP_mSQ_ST_bEUlT_E_NS1_11comp_targetILNS1_3genE10ELNS1_11target_archE1200ELNS1_3gpuE4ELNS1_3repE0EEENS1_30default_config_static_selectorELNS0_4arch9wavefront6targetE0EEEvSN_
	.globl	_ZN7rocprim17ROCPRIM_400000_NS6detail17trampoline_kernelINS0_14default_configENS1_27lower_bound_config_selectorIslEEZNS1_14transform_implILb0ES3_S5_N6thrust23THRUST_200600_302600_NS17counting_iteratorIsNS8_11use_defaultESA_SA_EEPlZNS1_13binary_searchIS3_S5_PsSB_SC_NS1_21lower_bound_search_opENS8_6detail16wrapped_functionI11custom_lessbEEEE10hipError_tPvRmT1_T2_T3_mmT4_T5_P12ihipStream_tbEUlRKsE_EESK_SO_SP_mSQ_ST_bEUlT_E_NS1_11comp_targetILNS1_3genE10ELNS1_11target_archE1200ELNS1_3gpuE4ELNS1_3repE0EEENS1_30default_config_static_selectorELNS0_4arch9wavefront6targetE0EEEvSN_
	.p2align	8
	.type	_ZN7rocprim17ROCPRIM_400000_NS6detail17trampoline_kernelINS0_14default_configENS1_27lower_bound_config_selectorIslEEZNS1_14transform_implILb0ES3_S5_N6thrust23THRUST_200600_302600_NS17counting_iteratorIsNS8_11use_defaultESA_SA_EEPlZNS1_13binary_searchIS3_S5_PsSB_SC_NS1_21lower_bound_search_opENS8_6detail16wrapped_functionI11custom_lessbEEEE10hipError_tPvRmT1_T2_T3_mmT4_T5_P12ihipStream_tbEUlRKsE_EESK_SO_SP_mSQ_ST_bEUlT_E_NS1_11comp_targetILNS1_3genE10ELNS1_11target_archE1200ELNS1_3gpuE4ELNS1_3repE0EEENS1_30default_config_static_selectorELNS0_4arch9wavefront6targetE0EEEvSN_,@function
_ZN7rocprim17ROCPRIM_400000_NS6detail17trampoline_kernelINS0_14default_configENS1_27lower_bound_config_selectorIslEEZNS1_14transform_implILb0ES3_S5_N6thrust23THRUST_200600_302600_NS17counting_iteratorIsNS8_11use_defaultESA_SA_EEPlZNS1_13binary_searchIS3_S5_PsSB_SC_NS1_21lower_bound_search_opENS8_6detail16wrapped_functionI11custom_lessbEEEE10hipError_tPvRmT1_T2_T3_mmT4_T5_P12ihipStream_tbEUlRKsE_EESK_SO_SP_mSQ_ST_bEUlT_E_NS1_11comp_targetILNS1_3genE10ELNS1_11target_archE1200ELNS1_3gpuE4ELNS1_3repE0EEENS1_30default_config_static_selectorELNS0_4arch9wavefront6targetE0EEEvSN_: ; @_ZN7rocprim17ROCPRIM_400000_NS6detail17trampoline_kernelINS0_14default_configENS1_27lower_bound_config_selectorIslEEZNS1_14transform_implILb0ES3_S5_N6thrust23THRUST_200600_302600_NS17counting_iteratorIsNS8_11use_defaultESA_SA_EEPlZNS1_13binary_searchIS3_S5_PsSB_SC_NS1_21lower_bound_search_opENS8_6detail16wrapped_functionI11custom_lessbEEEE10hipError_tPvRmT1_T2_T3_mmT4_T5_P12ihipStream_tbEUlRKsE_EESK_SO_SP_mSQ_ST_bEUlT_E_NS1_11comp_targetILNS1_3genE10ELNS1_11target_archE1200ELNS1_3gpuE4ELNS1_3repE0EEENS1_30default_config_static_selectorELNS0_4arch9wavefront6targetE0EEEvSN_
; %bb.0:
	.section	.rodata,"a",@progbits
	.p2align	6, 0x0
	.amdhsa_kernel _ZN7rocprim17ROCPRIM_400000_NS6detail17trampoline_kernelINS0_14default_configENS1_27lower_bound_config_selectorIslEEZNS1_14transform_implILb0ES3_S5_N6thrust23THRUST_200600_302600_NS17counting_iteratorIsNS8_11use_defaultESA_SA_EEPlZNS1_13binary_searchIS3_S5_PsSB_SC_NS1_21lower_bound_search_opENS8_6detail16wrapped_functionI11custom_lessbEEEE10hipError_tPvRmT1_T2_T3_mmT4_T5_P12ihipStream_tbEUlRKsE_EESK_SO_SP_mSQ_ST_bEUlT_E_NS1_11comp_targetILNS1_3genE10ELNS1_11target_archE1200ELNS1_3gpuE4ELNS1_3repE0EEENS1_30default_config_static_selectorELNS0_4arch9wavefront6targetE0EEEvSN_
		.amdhsa_group_segment_fixed_size 0
		.amdhsa_private_segment_fixed_size 0
		.amdhsa_kernarg_size 56
		.amdhsa_user_sgpr_count 15
		.amdhsa_user_sgpr_dispatch_ptr 0
		.amdhsa_user_sgpr_queue_ptr 0
		.amdhsa_user_sgpr_kernarg_segment_ptr 1
		.amdhsa_user_sgpr_dispatch_id 0
		.amdhsa_user_sgpr_private_segment_size 0
		.amdhsa_wavefront_size32 1
		.amdhsa_uses_dynamic_stack 0
		.amdhsa_enable_private_segment 0
		.amdhsa_system_sgpr_workgroup_id_x 1
		.amdhsa_system_sgpr_workgroup_id_y 0
		.amdhsa_system_sgpr_workgroup_id_z 0
		.amdhsa_system_sgpr_workgroup_info 0
		.amdhsa_system_vgpr_workitem_id 0
		.amdhsa_next_free_vgpr 1
		.amdhsa_next_free_sgpr 1
		.amdhsa_reserve_vcc 0
		.amdhsa_float_round_mode_32 0
		.amdhsa_float_round_mode_16_64 0
		.amdhsa_float_denorm_mode_32 3
		.amdhsa_float_denorm_mode_16_64 3
		.amdhsa_dx10_clamp 1
		.amdhsa_ieee_mode 1
		.amdhsa_fp16_overflow 0
		.amdhsa_workgroup_processor_mode 1
		.amdhsa_memory_ordered 1
		.amdhsa_forward_progress 0
		.amdhsa_shared_vgpr_count 0
		.amdhsa_exception_fp_ieee_invalid_op 0
		.amdhsa_exception_fp_denorm_src 0
		.amdhsa_exception_fp_ieee_div_zero 0
		.amdhsa_exception_fp_ieee_overflow 0
		.amdhsa_exception_fp_ieee_underflow 0
		.amdhsa_exception_fp_ieee_inexact 0
		.amdhsa_exception_int_div_zero 0
	.end_amdhsa_kernel
	.section	.text._ZN7rocprim17ROCPRIM_400000_NS6detail17trampoline_kernelINS0_14default_configENS1_27lower_bound_config_selectorIslEEZNS1_14transform_implILb0ES3_S5_N6thrust23THRUST_200600_302600_NS17counting_iteratorIsNS8_11use_defaultESA_SA_EEPlZNS1_13binary_searchIS3_S5_PsSB_SC_NS1_21lower_bound_search_opENS8_6detail16wrapped_functionI11custom_lessbEEEE10hipError_tPvRmT1_T2_T3_mmT4_T5_P12ihipStream_tbEUlRKsE_EESK_SO_SP_mSQ_ST_bEUlT_E_NS1_11comp_targetILNS1_3genE10ELNS1_11target_archE1200ELNS1_3gpuE4ELNS1_3repE0EEENS1_30default_config_static_selectorELNS0_4arch9wavefront6targetE0EEEvSN_,"axG",@progbits,_ZN7rocprim17ROCPRIM_400000_NS6detail17trampoline_kernelINS0_14default_configENS1_27lower_bound_config_selectorIslEEZNS1_14transform_implILb0ES3_S5_N6thrust23THRUST_200600_302600_NS17counting_iteratorIsNS8_11use_defaultESA_SA_EEPlZNS1_13binary_searchIS3_S5_PsSB_SC_NS1_21lower_bound_search_opENS8_6detail16wrapped_functionI11custom_lessbEEEE10hipError_tPvRmT1_T2_T3_mmT4_T5_P12ihipStream_tbEUlRKsE_EESK_SO_SP_mSQ_ST_bEUlT_E_NS1_11comp_targetILNS1_3genE10ELNS1_11target_archE1200ELNS1_3gpuE4ELNS1_3repE0EEENS1_30default_config_static_selectorELNS0_4arch9wavefront6targetE0EEEvSN_,comdat
.Lfunc_end85:
	.size	_ZN7rocprim17ROCPRIM_400000_NS6detail17trampoline_kernelINS0_14default_configENS1_27lower_bound_config_selectorIslEEZNS1_14transform_implILb0ES3_S5_N6thrust23THRUST_200600_302600_NS17counting_iteratorIsNS8_11use_defaultESA_SA_EEPlZNS1_13binary_searchIS3_S5_PsSB_SC_NS1_21lower_bound_search_opENS8_6detail16wrapped_functionI11custom_lessbEEEE10hipError_tPvRmT1_T2_T3_mmT4_T5_P12ihipStream_tbEUlRKsE_EESK_SO_SP_mSQ_ST_bEUlT_E_NS1_11comp_targetILNS1_3genE10ELNS1_11target_archE1200ELNS1_3gpuE4ELNS1_3repE0EEENS1_30default_config_static_selectorELNS0_4arch9wavefront6targetE0EEEvSN_, .Lfunc_end85-_ZN7rocprim17ROCPRIM_400000_NS6detail17trampoline_kernelINS0_14default_configENS1_27lower_bound_config_selectorIslEEZNS1_14transform_implILb0ES3_S5_N6thrust23THRUST_200600_302600_NS17counting_iteratorIsNS8_11use_defaultESA_SA_EEPlZNS1_13binary_searchIS3_S5_PsSB_SC_NS1_21lower_bound_search_opENS8_6detail16wrapped_functionI11custom_lessbEEEE10hipError_tPvRmT1_T2_T3_mmT4_T5_P12ihipStream_tbEUlRKsE_EESK_SO_SP_mSQ_ST_bEUlT_E_NS1_11comp_targetILNS1_3genE10ELNS1_11target_archE1200ELNS1_3gpuE4ELNS1_3repE0EEENS1_30default_config_static_selectorELNS0_4arch9wavefront6targetE0EEEvSN_
                                        ; -- End function
	.section	.AMDGPU.csdata,"",@progbits
; Kernel info:
; codeLenInByte = 0
; NumSgprs: 0
; NumVgprs: 0
; ScratchSize: 0
; MemoryBound: 0
; FloatMode: 240
; IeeeMode: 1
; LDSByteSize: 0 bytes/workgroup (compile time only)
; SGPRBlocks: 0
; VGPRBlocks: 0
; NumSGPRsForWavesPerEU: 1
; NumVGPRsForWavesPerEU: 1
; Occupancy: 16
; WaveLimiterHint : 0
; COMPUTE_PGM_RSRC2:SCRATCH_EN: 0
; COMPUTE_PGM_RSRC2:USER_SGPR: 15
; COMPUTE_PGM_RSRC2:TRAP_HANDLER: 0
; COMPUTE_PGM_RSRC2:TGID_X_EN: 1
; COMPUTE_PGM_RSRC2:TGID_Y_EN: 0
; COMPUTE_PGM_RSRC2:TGID_Z_EN: 0
; COMPUTE_PGM_RSRC2:TIDIG_COMP_CNT: 0
	.section	.text._ZN7rocprim17ROCPRIM_400000_NS6detail17trampoline_kernelINS0_14default_configENS1_27lower_bound_config_selectorIslEEZNS1_14transform_implILb0ES3_S5_N6thrust23THRUST_200600_302600_NS17counting_iteratorIsNS8_11use_defaultESA_SA_EEPlZNS1_13binary_searchIS3_S5_PsSB_SC_NS1_21lower_bound_search_opENS8_6detail16wrapped_functionI11custom_lessbEEEE10hipError_tPvRmT1_T2_T3_mmT4_T5_P12ihipStream_tbEUlRKsE_EESK_SO_SP_mSQ_ST_bEUlT_E_NS1_11comp_targetILNS1_3genE9ELNS1_11target_archE1100ELNS1_3gpuE3ELNS1_3repE0EEENS1_30default_config_static_selectorELNS0_4arch9wavefront6targetE0EEEvSN_,"axG",@progbits,_ZN7rocprim17ROCPRIM_400000_NS6detail17trampoline_kernelINS0_14default_configENS1_27lower_bound_config_selectorIslEEZNS1_14transform_implILb0ES3_S5_N6thrust23THRUST_200600_302600_NS17counting_iteratorIsNS8_11use_defaultESA_SA_EEPlZNS1_13binary_searchIS3_S5_PsSB_SC_NS1_21lower_bound_search_opENS8_6detail16wrapped_functionI11custom_lessbEEEE10hipError_tPvRmT1_T2_T3_mmT4_T5_P12ihipStream_tbEUlRKsE_EESK_SO_SP_mSQ_ST_bEUlT_E_NS1_11comp_targetILNS1_3genE9ELNS1_11target_archE1100ELNS1_3gpuE3ELNS1_3repE0EEENS1_30default_config_static_selectorELNS0_4arch9wavefront6targetE0EEEvSN_,comdat
	.protected	_ZN7rocprim17ROCPRIM_400000_NS6detail17trampoline_kernelINS0_14default_configENS1_27lower_bound_config_selectorIslEEZNS1_14transform_implILb0ES3_S5_N6thrust23THRUST_200600_302600_NS17counting_iteratorIsNS8_11use_defaultESA_SA_EEPlZNS1_13binary_searchIS3_S5_PsSB_SC_NS1_21lower_bound_search_opENS8_6detail16wrapped_functionI11custom_lessbEEEE10hipError_tPvRmT1_T2_T3_mmT4_T5_P12ihipStream_tbEUlRKsE_EESK_SO_SP_mSQ_ST_bEUlT_E_NS1_11comp_targetILNS1_3genE9ELNS1_11target_archE1100ELNS1_3gpuE3ELNS1_3repE0EEENS1_30default_config_static_selectorELNS0_4arch9wavefront6targetE0EEEvSN_ ; -- Begin function _ZN7rocprim17ROCPRIM_400000_NS6detail17trampoline_kernelINS0_14default_configENS1_27lower_bound_config_selectorIslEEZNS1_14transform_implILb0ES3_S5_N6thrust23THRUST_200600_302600_NS17counting_iteratorIsNS8_11use_defaultESA_SA_EEPlZNS1_13binary_searchIS3_S5_PsSB_SC_NS1_21lower_bound_search_opENS8_6detail16wrapped_functionI11custom_lessbEEEE10hipError_tPvRmT1_T2_T3_mmT4_T5_P12ihipStream_tbEUlRKsE_EESK_SO_SP_mSQ_ST_bEUlT_E_NS1_11comp_targetILNS1_3genE9ELNS1_11target_archE1100ELNS1_3gpuE3ELNS1_3repE0EEENS1_30default_config_static_selectorELNS0_4arch9wavefront6targetE0EEEvSN_
	.globl	_ZN7rocprim17ROCPRIM_400000_NS6detail17trampoline_kernelINS0_14default_configENS1_27lower_bound_config_selectorIslEEZNS1_14transform_implILb0ES3_S5_N6thrust23THRUST_200600_302600_NS17counting_iteratorIsNS8_11use_defaultESA_SA_EEPlZNS1_13binary_searchIS3_S5_PsSB_SC_NS1_21lower_bound_search_opENS8_6detail16wrapped_functionI11custom_lessbEEEE10hipError_tPvRmT1_T2_T3_mmT4_T5_P12ihipStream_tbEUlRKsE_EESK_SO_SP_mSQ_ST_bEUlT_E_NS1_11comp_targetILNS1_3genE9ELNS1_11target_archE1100ELNS1_3gpuE3ELNS1_3repE0EEENS1_30default_config_static_selectorELNS0_4arch9wavefront6targetE0EEEvSN_
	.p2align	8
	.type	_ZN7rocprim17ROCPRIM_400000_NS6detail17trampoline_kernelINS0_14default_configENS1_27lower_bound_config_selectorIslEEZNS1_14transform_implILb0ES3_S5_N6thrust23THRUST_200600_302600_NS17counting_iteratorIsNS8_11use_defaultESA_SA_EEPlZNS1_13binary_searchIS3_S5_PsSB_SC_NS1_21lower_bound_search_opENS8_6detail16wrapped_functionI11custom_lessbEEEE10hipError_tPvRmT1_T2_T3_mmT4_T5_P12ihipStream_tbEUlRKsE_EESK_SO_SP_mSQ_ST_bEUlT_E_NS1_11comp_targetILNS1_3genE9ELNS1_11target_archE1100ELNS1_3gpuE3ELNS1_3repE0EEENS1_30default_config_static_selectorELNS0_4arch9wavefront6targetE0EEEvSN_,@function
_ZN7rocprim17ROCPRIM_400000_NS6detail17trampoline_kernelINS0_14default_configENS1_27lower_bound_config_selectorIslEEZNS1_14transform_implILb0ES3_S5_N6thrust23THRUST_200600_302600_NS17counting_iteratorIsNS8_11use_defaultESA_SA_EEPlZNS1_13binary_searchIS3_S5_PsSB_SC_NS1_21lower_bound_search_opENS8_6detail16wrapped_functionI11custom_lessbEEEE10hipError_tPvRmT1_T2_T3_mmT4_T5_P12ihipStream_tbEUlRKsE_EESK_SO_SP_mSQ_ST_bEUlT_E_NS1_11comp_targetILNS1_3genE9ELNS1_11target_archE1100ELNS1_3gpuE3ELNS1_3repE0EEENS1_30default_config_static_selectorELNS0_4arch9wavefront6targetE0EEEvSN_: ; @_ZN7rocprim17ROCPRIM_400000_NS6detail17trampoline_kernelINS0_14default_configENS1_27lower_bound_config_selectorIslEEZNS1_14transform_implILb0ES3_S5_N6thrust23THRUST_200600_302600_NS17counting_iteratorIsNS8_11use_defaultESA_SA_EEPlZNS1_13binary_searchIS3_S5_PsSB_SC_NS1_21lower_bound_search_opENS8_6detail16wrapped_functionI11custom_lessbEEEE10hipError_tPvRmT1_T2_T3_mmT4_T5_P12ihipStream_tbEUlRKsE_EESK_SO_SP_mSQ_ST_bEUlT_E_NS1_11comp_targetILNS1_3genE9ELNS1_11target_archE1100ELNS1_3gpuE3ELNS1_3repE0EEENS1_30default_config_static_selectorELNS0_4arch9wavefront6targetE0EEEvSN_
; %bb.0:
	s_clause 0x4
	s_load_b64 s[2:3], s[0:1], 0x8
	s_load_b32 s6, s[0:1], 0x0
	s_load_b128 s[16:19], s[0:1], 0x18
	s_load_b32 s7, s[0:1], 0x38
	s_load_b64 s[20:21], s[0:1], 0x28
	s_waitcnt lgkmcnt(0)
	s_lshl_b64 s[4:5], s[2:3], 3
	s_add_i32 s2, s6, s2
	s_add_u32 s22, s16, s4
	s_addc_u32 s23, s17, s5
	s_add_i32 s7, s7, -1
	s_lshl_b32 s16, s15, 10
	s_mov_b32 s17, 0
	s_cmp_lg_u32 s15, s7
	s_mov_b32 s3, -1
	s_cbranch_scc0 .LBB86_51
; %bb.1:
	v_or_b32_e32 v3, s16, v0
	v_mov_b32_e32 v1, 0
	v_mov_b32_e32 v2, 0
	s_cmp_lg_u64 s[20:21], 0
	s_cselect_b32 s3, -1, 0
	v_add_nc_u16 v33, s2, v3
	s_cmp_eq_u64 s[20:21], 0
	s_cbranch_scc1 .LBB86_5
; %bb.2:
	v_mov_b32_e32 v1, 0
	v_dual_mov_b32 v2, 0 :: v_dual_mov_b32 v3, s20
	v_mov_b32_e32 v4, s21
	s_mov_b32 s4, 0
	.p2align	6
.LBB86_3:                               ; =>This Inner Loop Header: Depth=1
	s_delay_alu instid0(VALU_DEP_2) | instskip(NEXT) | instid1(VALU_DEP_2)
	v_sub_co_u32 v5, vcc_lo, v3, v1
	v_sub_co_ci_u32_e32 v6, vcc_lo, v4, v2, vcc_lo
	s_delay_alu instid0(VALU_DEP_1) | instskip(SKIP_1) | instid1(VALU_DEP_2)
	v_lshrrev_b64 v[7:8], 1, v[5:6]
	v_lshrrev_b64 v[5:6], 6, v[5:6]
	v_add_co_u32 v7, vcc_lo, v7, v1
	s_delay_alu instid0(VALU_DEP_3) | instskip(NEXT) | instid1(VALU_DEP_2)
	v_add_co_ci_u32_e32 v8, vcc_lo, v8, v2, vcc_lo
	v_add_co_u32 v5, vcc_lo, v7, v5
	s_delay_alu instid0(VALU_DEP_2) | instskip(NEXT) | instid1(VALU_DEP_1)
	v_add_co_ci_u32_e32 v6, vcc_lo, v8, v6, vcc_lo
	v_lshlrev_b64 v[7:8], 1, v[5:6]
	s_delay_alu instid0(VALU_DEP_1) | instskip(NEXT) | instid1(VALU_DEP_2)
	v_add_co_u32 v7, vcc_lo, s18, v7
	v_add_co_ci_u32_e32 v8, vcc_lo, s19, v8, vcc_lo
	global_load_u16 v7, v[7:8], off
	v_add_co_u32 v8, vcc_lo, v5, 1
	v_add_co_ci_u32_e32 v9, vcc_lo, 0, v6, vcc_lo
	s_waitcnt vmcnt(0)
	v_cmp_lt_i16_e32 vcc_lo, v7, v33
	v_dual_cndmask_b32 v4, v6, v4 :: v_dual_cndmask_b32 v3, v5, v3
	s_delay_alu instid0(VALU_DEP_3) | instskip(NEXT) | instid1(VALU_DEP_1)
	v_dual_cndmask_b32 v2, v2, v9 :: v_dual_cndmask_b32 v1, v1, v8
	v_cmp_ge_u64_e32 vcc_lo, v[1:2], v[3:4]
	s_or_b32 s4, vcc_lo, s4
	s_delay_alu instid0(SALU_CYCLE_1)
	s_and_not1_b32 exec_lo, exec_lo, s4
	s_cbranch_execnz .LBB86_3
; %bb.4:
	s_or_b32 exec_lo, exec_lo, s4
.LBB86_5:
	v_cndmask_b32_e64 v34, 0, 1, s3
	s_and_not1_b32 vcc_lo, exec_lo, s3
	s_cbranch_vccnz .LBB86_52
; %bb.6:
	v_mov_b32_e32 v3, 0
	v_dual_mov_b32 v4, 0 :: v_dual_mov_b32 v5, s20
	v_add_nc_u16 v7, v33, 64
	v_mov_b32_e32 v6, s21
	s_mov_b32 s3, 0
	.p2align	6
.LBB86_7:                               ; =>This Inner Loop Header: Depth=1
	s_delay_alu instid0(VALU_DEP_3) | instskip(NEXT) | instid1(VALU_DEP_2)
	v_sub_co_u32 v8, vcc_lo, v5, v3
	v_sub_co_ci_u32_e32 v9, vcc_lo, v6, v4, vcc_lo
	s_delay_alu instid0(VALU_DEP_1) | instskip(SKIP_1) | instid1(VALU_DEP_2)
	v_lshrrev_b64 v[10:11], 1, v[8:9]
	v_lshrrev_b64 v[8:9], 6, v[8:9]
	v_add_co_u32 v10, vcc_lo, v10, v3
	s_delay_alu instid0(VALU_DEP_3) | instskip(NEXT) | instid1(VALU_DEP_2)
	v_add_co_ci_u32_e32 v11, vcc_lo, v11, v4, vcc_lo
	v_add_co_u32 v8, vcc_lo, v10, v8
	s_delay_alu instid0(VALU_DEP_2) | instskip(NEXT) | instid1(VALU_DEP_1)
	v_add_co_ci_u32_e32 v9, vcc_lo, v11, v9, vcc_lo
	v_lshlrev_b64 v[10:11], 1, v[8:9]
	s_delay_alu instid0(VALU_DEP_1) | instskip(NEXT) | instid1(VALU_DEP_2)
	v_add_co_u32 v10, vcc_lo, s18, v10
	v_add_co_ci_u32_e32 v11, vcc_lo, s19, v11, vcc_lo
	global_load_u16 v10, v[10:11], off
	v_add_co_u32 v11, vcc_lo, v8, 1
	v_add_co_ci_u32_e32 v12, vcc_lo, 0, v9, vcc_lo
	s_waitcnt vmcnt(0)
	v_cmp_lt_i16_e32 vcc_lo, v10, v7
	v_dual_cndmask_b32 v6, v9, v6 :: v_dual_cndmask_b32 v5, v8, v5
	s_delay_alu instid0(VALU_DEP_3) | instskip(NEXT) | instid1(VALU_DEP_1)
	v_dual_cndmask_b32 v4, v4, v12 :: v_dual_cndmask_b32 v3, v3, v11
	v_cmp_ge_u64_e32 vcc_lo, v[3:4], v[5:6]
	s_or_b32 s3, vcc_lo, s3
	s_delay_alu instid0(SALU_CYCLE_1)
	s_and_not1_b32 exec_lo, exec_lo, s3
	s_cbranch_execnz .LBB86_7
; %bb.8:
	s_or_b32 exec_lo, exec_lo, s3
	v_cmp_ne_u32_e32 vcc_lo, 1, v34
	s_cbranch_vccnz .LBB86_53
.LBB86_9:
	v_mov_b32_e32 v5, 0
	v_dual_mov_b32 v6, 0 :: v_dual_mov_b32 v7, s20
	v_add_nc_u16 v9, v33, 0x80
	v_mov_b32_e32 v8, s21
	s_mov_b32 s3, 0
	.p2align	6
.LBB86_10:                              ; =>This Inner Loop Header: Depth=1
	s_delay_alu instid0(VALU_DEP_3) | instskip(NEXT) | instid1(VALU_DEP_2)
	v_sub_co_u32 v10, vcc_lo, v7, v5
	v_sub_co_ci_u32_e32 v11, vcc_lo, v8, v6, vcc_lo
	s_delay_alu instid0(VALU_DEP_1) | instskip(SKIP_1) | instid1(VALU_DEP_2)
	v_lshrrev_b64 v[12:13], 1, v[10:11]
	v_lshrrev_b64 v[10:11], 6, v[10:11]
	v_add_co_u32 v12, vcc_lo, v12, v5
	s_delay_alu instid0(VALU_DEP_3) | instskip(NEXT) | instid1(VALU_DEP_2)
	v_add_co_ci_u32_e32 v13, vcc_lo, v13, v6, vcc_lo
	v_add_co_u32 v10, vcc_lo, v12, v10
	s_delay_alu instid0(VALU_DEP_2) | instskip(NEXT) | instid1(VALU_DEP_1)
	v_add_co_ci_u32_e32 v11, vcc_lo, v13, v11, vcc_lo
	v_lshlrev_b64 v[12:13], 1, v[10:11]
	s_delay_alu instid0(VALU_DEP_1) | instskip(NEXT) | instid1(VALU_DEP_2)
	v_add_co_u32 v12, vcc_lo, s18, v12
	v_add_co_ci_u32_e32 v13, vcc_lo, s19, v13, vcc_lo
	global_load_u16 v12, v[12:13], off
	v_add_co_u32 v13, vcc_lo, v10, 1
	v_add_co_ci_u32_e32 v14, vcc_lo, 0, v11, vcc_lo
	s_waitcnt vmcnt(0)
	v_cmp_lt_i16_e32 vcc_lo, v12, v9
	v_dual_cndmask_b32 v8, v11, v8 :: v_dual_cndmask_b32 v7, v10, v7
	s_delay_alu instid0(VALU_DEP_3) | instskip(NEXT) | instid1(VALU_DEP_1)
	v_dual_cndmask_b32 v6, v6, v14 :: v_dual_cndmask_b32 v5, v5, v13
	v_cmp_ge_u64_e32 vcc_lo, v[5:6], v[7:8]
	s_or_b32 s3, vcc_lo, s3
	s_delay_alu instid0(SALU_CYCLE_1)
	s_and_not1_b32 exec_lo, exec_lo, s3
	s_cbranch_execnz .LBB86_10
; %bb.11:
	s_or_b32 exec_lo, exec_lo, s3
	v_cmp_ne_u32_e32 vcc_lo, 1, v34
	s_cbranch_vccnz .LBB86_54
.LBB86_12:
	v_mov_b32_e32 v7, 0
	v_dual_mov_b32 v8, 0 :: v_dual_mov_b32 v9, s20
	v_add_nc_u16 v11, v33, 0xc0
	v_mov_b32_e32 v10, s21
	s_mov_b32 s3, 0
	.p2align	6
.LBB86_13:                              ; =>This Inner Loop Header: Depth=1
	s_delay_alu instid0(VALU_DEP_3) | instskip(NEXT) | instid1(VALU_DEP_2)
	v_sub_co_u32 v12, vcc_lo, v9, v7
	v_sub_co_ci_u32_e32 v13, vcc_lo, v10, v8, vcc_lo
	s_delay_alu instid0(VALU_DEP_1) | instskip(SKIP_1) | instid1(VALU_DEP_2)
	v_lshrrev_b64 v[14:15], 1, v[12:13]
	v_lshrrev_b64 v[12:13], 6, v[12:13]
	v_add_co_u32 v14, vcc_lo, v14, v7
	s_delay_alu instid0(VALU_DEP_3) | instskip(NEXT) | instid1(VALU_DEP_2)
	v_add_co_ci_u32_e32 v15, vcc_lo, v15, v8, vcc_lo
	v_add_co_u32 v12, vcc_lo, v14, v12
	s_delay_alu instid0(VALU_DEP_2) | instskip(NEXT) | instid1(VALU_DEP_1)
	v_add_co_ci_u32_e32 v13, vcc_lo, v15, v13, vcc_lo
	v_lshlrev_b64 v[14:15], 1, v[12:13]
	s_delay_alu instid0(VALU_DEP_1) | instskip(NEXT) | instid1(VALU_DEP_2)
	v_add_co_u32 v14, vcc_lo, s18, v14
	v_add_co_ci_u32_e32 v15, vcc_lo, s19, v15, vcc_lo
	global_load_u16 v14, v[14:15], off
	v_add_co_u32 v15, vcc_lo, v12, 1
	v_add_co_ci_u32_e32 v16, vcc_lo, 0, v13, vcc_lo
	s_waitcnt vmcnt(0)
	v_cmp_lt_i16_e32 vcc_lo, v14, v11
	v_dual_cndmask_b32 v10, v13, v10 :: v_dual_cndmask_b32 v9, v12, v9
	s_delay_alu instid0(VALU_DEP_3) | instskip(NEXT) | instid1(VALU_DEP_1)
	v_dual_cndmask_b32 v8, v8, v16 :: v_dual_cndmask_b32 v7, v7, v15
	v_cmp_ge_u64_e32 vcc_lo, v[7:8], v[9:10]
	s_or_b32 s3, vcc_lo, s3
	s_delay_alu instid0(SALU_CYCLE_1)
	s_and_not1_b32 exec_lo, exec_lo, s3
	s_cbranch_execnz .LBB86_13
; %bb.14:
	s_or_b32 exec_lo, exec_lo, s3
	v_cmp_ne_u32_e32 vcc_lo, 1, v34
	s_cbranch_vccnz .LBB86_55
.LBB86_15:
	v_mov_b32_e32 v9, 0
	v_dual_mov_b32 v10, 0 :: v_dual_mov_b32 v11, s20
	v_add_nc_u16 v13, v33, 0x100
	v_mov_b32_e32 v12, s21
	s_mov_b32 s3, 0
	.p2align	6
.LBB86_16:                              ; =>This Inner Loop Header: Depth=1
	s_delay_alu instid0(VALU_DEP_3) | instskip(NEXT) | instid1(VALU_DEP_2)
	v_sub_co_u32 v14, vcc_lo, v11, v9
	v_sub_co_ci_u32_e32 v15, vcc_lo, v12, v10, vcc_lo
	s_delay_alu instid0(VALU_DEP_1) | instskip(SKIP_1) | instid1(VALU_DEP_2)
	v_lshrrev_b64 v[16:17], 1, v[14:15]
	v_lshrrev_b64 v[14:15], 6, v[14:15]
	v_add_co_u32 v16, vcc_lo, v16, v9
	s_delay_alu instid0(VALU_DEP_3) | instskip(NEXT) | instid1(VALU_DEP_2)
	v_add_co_ci_u32_e32 v17, vcc_lo, v17, v10, vcc_lo
	v_add_co_u32 v14, vcc_lo, v16, v14
	s_delay_alu instid0(VALU_DEP_2) | instskip(NEXT) | instid1(VALU_DEP_1)
	v_add_co_ci_u32_e32 v15, vcc_lo, v17, v15, vcc_lo
	v_lshlrev_b64 v[16:17], 1, v[14:15]
	s_delay_alu instid0(VALU_DEP_1) | instskip(NEXT) | instid1(VALU_DEP_2)
	v_add_co_u32 v16, vcc_lo, s18, v16
	v_add_co_ci_u32_e32 v17, vcc_lo, s19, v17, vcc_lo
	global_load_u16 v16, v[16:17], off
	v_add_co_u32 v17, vcc_lo, v14, 1
	v_add_co_ci_u32_e32 v18, vcc_lo, 0, v15, vcc_lo
	s_waitcnt vmcnt(0)
	v_cmp_lt_i16_e32 vcc_lo, v16, v13
	v_dual_cndmask_b32 v12, v15, v12 :: v_dual_cndmask_b32 v11, v14, v11
	s_delay_alu instid0(VALU_DEP_3) | instskip(NEXT) | instid1(VALU_DEP_1)
	v_dual_cndmask_b32 v10, v10, v18 :: v_dual_cndmask_b32 v9, v9, v17
	v_cmp_ge_u64_e32 vcc_lo, v[9:10], v[11:12]
	s_or_b32 s3, vcc_lo, s3
	s_delay_alu instid0(SALU_CYCLE_1)
	s_and_not1_b32 exec_lo, exec_lo, s3
	s_cbranch_execnz .LBB86_16
; %bb.17:
	s_or_b32 exec_lo, exec_lo, s3
	v_cmp_ne_u32_e32 vcc_lo, 1, v34
	s_cbranch_vccnz .LBB86_56
.LBB86_18:
	v_mov_b32_e32 v11, 0
	v_dual_mov_b32 v12, 0 :: v_dual_mov_b32 v13, s20
	v_add_nc_u16 v15, v33, 0x140
	v_mov_b32_e32 v14, s21
	s_mov_b32 s3, 0
	.p2align	6
.LBB86_19:                              ; =>This Inner Loop Header: Depth=1
	s_delay_alu instid0(VALU_DEP_3) | instskip(NEXT) | instid1(VALU_DEP_2)
	v_sub_co_u32 v16, vcc_lo, v13, v11
	v_sub_co_ci_u32_e32 v17, vcc_lo, v14, v12, vcc_lo
	s_delay_alu instid0(VALU_DEP_1) | instskip(SKIP_1) | instid1(VALU_DEP_2)
	v_lshrrev_b64 v[18:19], 1, v[16:17]
	v_lshrrev_b64 v[16:17], 6, v[16:17]
	v_add_co_u32 v18, vcc_lo, v18, v11
	s_delay_alu instid0(VALU_DEP_3) | instskip(NEXT) | instid1(VALU_DEP_2)
	v_add_co_ci_u32_e32 v19, vcc_lo, v19, v12, vcc_lo
	v_add_co_u32 v16, vcc_lo, v18, v16
	s_delay_alu instid0(VALU_DEP_2) | instskip(NEXT) | instid1(VALU_DEP_1)
	v_add_co_ci_u32_e32 v17, vcc_lo, v19, v17, vcc_lo
	v_lshlrev_b64 v[18:19], 1, v[16:17]
	s_delay_alu instid0(VALU_DEP_1) | instskip(NEXT) | instid1(VALU_DEP_2)
	v_add_co_u32 v18, vcc_lo, s18, v18
	v_add_co_ci_u32_e32 v19, vcc_lo, s19, v19, vcc_lo
	global_load_u16 v18, v[18:19], off
	v_add_co_u32 v19, vcc_lo, v16, 1
	v_add_co_ci_u32_e32 v20, vcc_lo, 0, v17, vcc_lo
	s_waitcnt vmcnt(0)
	v_cmp_lt_i16_e32 vcc_lo, v18, v15
	v_dual_cndmask_b32 v14, v17, v14 :: v_dual_cndmask_b32 v13, v16, v13
	s_delay_alu instid0(VALU_DEP_3) | instskip(NEXT) | instid1(VALU_DEP_1)
	v_dual_cndmask_b32 v12, v12, v20 :: v_dual_cndmask_b32 v11, v11, v19
	v_cmp_ge_u64_e32 vcc_lo, v[11:12], v[13:14]
	s_or_b32 s3, vcc_lo, s3
	s_delay_alu instid0(SALU_CYCLE_1)
	s_and_not1_b32 exec_lo, exec_lo, s3
	s_cbranch_execnz .LBB86_19
; %bb.20:
	s_or_b32 exec_lo, exec_lo, s3
	v_cmp_ne_u32_e32 vcc_lo, 1, v34
	s_cbranch_vccnz .LBB86_57
.LBB86_21:
	v_mov_b32_e32 v13, 0
	v_dual_mov_b32 v14, 0 :: v_dual_mov_b32 v15, s20
	v_add_nc_u16 v17, v33, 0x180
	v_mov_b32_e32 v16, s21
	s_mov_b32 s3, 0
	.p2align	6
.LBB86_22:                              ; =>This Inner Loop Header: Depth=1
	s_delay_alu instid0(VALU_DEP_3) | instskip(NEXT) | instid1(VALU_DEP_2)
	v_sub_co_u32 v18, vcc_lo, v15, v13
	v_sub_co_ci_u32_e32 v19, vcc_lo, v16, v14, vcc_lo
	s_delay_alu instid0(VALU_DEP_1) | instskip(SKIP_1) | instid1(VALU_DEP_2)
	v_lshrrev_b64 v[20:21], 1, v[18:19]
	v_lshrrev_b64 v[18:19], 6, v[18:19]
	v_add_co_u32 v20, vcc_lo, v20, v13
	s_delay_alu instid0(VALU_DEP_3) | instskip(NEXT) | instid1(VALU_DEP_2)
	v_add_co_ci_u32_e32 v21, vcc_lo, v21, v14, vcc_lo
	v_add_co_u32 v18, vcc_lo, v20, v18
	s_delay_alu instid0(VALU_DEP_2) | instskip(NEXT) | instid1(VALU_DEP_1)
	v_add_co_ci_u32_e32 v19, vcc_lo, v21, v19, vcc_lo
	v_lshlrev_b64 v[20:21], 1, v[18:19]
	s_delay_alu instid0(VALU_DEP_1) | instskip(NEXT) | instid1(VALU_DEP_2)
	v_add_co_u32 v20, vcc_lo, s18, v20
	v_add_co_ci_u32_e32 v21, vcc_lo, s19, v21, vcc_lo
	global_load_u16 v20, v[20:21], off
	v_add_co_u32 v21, vcc_lo, v18, 1
	v_add_co_ci_u32_e32 v22, vcc_lo, 0, v19, vcc_lo
	s_waitcnt vmcnt(0)
	v_cmp_lt_i16_e32 vcc_lo, v20, v17
	v_dual_cndmask_b32 v16, v19, v16 :: v_dual_cndmask_b32 v15, v18, v15
	s_delay_alu instid0(VALU_DEP_3) | instskip(NEXT) | instid1(VALU_DEP_1)
	v_dual_cndmask_b32 v14, v14, v22 :: v_dual_cndmask_b32 v13, v13, v21
	v_cmp_ge_u64_e32 vcc_lo, v[13:14], v[15:16]
	s_or_b32 s3, vcc_lo, s3
	s_delay_alu instid0(SALU_CYCLE_1)
	s_and_not1_b32 exec_lo, exec_lo, s3
	s_cbranch_execnz .LBB86_22
; %bb.23:
	s_or_b32 exec_lo, exec_lo, s3
	v_cmp_ne_u32_e32 vcc_lo, 1, v34
	s_cbranch_vccnz .LBB86_58
.LBB86_24:
	v_mov_b32_e32 v15, 0
	v_dual_mov_b32 v16, 0 :: v_dual_mov_b32 v17, s20
	v_add_nc_u16 v19, v33, 0x1c0
	v_mov_b32_e32 v18, s21
	s_mov_b32 s3, 0
	.p2align	6
.LBB86_25:                              ; =>This Inner Loop Header: Depth=1
	s_delay_alu instid0(VALU_DEP_3) | instskip(NEXT) | instid1(VALU_DEP_2)
	v_sub_co_u32 v20, vcc_lo, v17, v15
	v_sub_co_ci_u32_e32 v21, vcc_lo, v18, v16, vcc_lo
	s_delay_alu instid0(VALU_DEP_1) | instskip(SKIP_1) | instid1(VALU_DEP_2)
	v_lshrrev_b64 v[22:23], 1, v[20:21]
	v_lshrrev_b64 v[20:21], 6, v[20:21]
	v_add_co_u32 v22, vcc_lo, v22, v15
	s_delay_alu instid0(VALU_DEP_3) | instskip(NEXT) | instid1(VALU_DEP_2)
	v_add_co_ci_u32_e32 v23, vcc_lo, v23, v16, vcc_lo
	v_add_co_u32 v20, vcc_lo, v22, v20
	s_delay_alu instid0(VALU_DEP_2) | instskip(NEXT) | instid1(VALU_DEP_1)
	v_add_co_ci_u32_e32 v21, vcc_lo, v23, v21, vcc_lo
	v_lshlrev_b64 v[22:23], 1, v[20:21]
	s_delay_alu instid0(VALU_DEP_1) | instskip(NEXT) | instid1(VALU_DEP_2)
	v_add_co_u32 v22, vcc_lo, s18, v22
	v_add_co_ci_u32_e32 v23, vcc_lo, s19, v23, vcc_lo
	global_load_u16 v22, v[22:23], off
	v_add_co_u32 v23, vcc_lo, v20, 1
	v_add_co_ci_u32_e32 v24, vcc_lo, 0, v21, vcc_lo
	s_waitcnt vmcnt(0)
	v_cmp_lt_i16_e32 vcc_lo, v22, v19
	v_dual_cndmask_b32 v18, v21, v18 :: v_dual_cndmask_b32 v17, v20, v17
	s_delay_alu instid0(VALU_DEP_3) | instskip(NEXT) | instid1(VALU_DEP_1)
	v_dual_cndmask_b32 v16, v16, v24 :: v_dual_cndmask_b32 v15, v15, v23
	v_cmp_ge_u64_e32 vcc_lo, v[15:16], v[17:18]
	s_or_b32 s3, vcc_lo, s3
	s_delay_alu instid0(SALU_CYCLE_1)
	s_and_not1_b32 exec_lo, exec_lo, s3
	s_cbranch_execnz .LBB86_25
; %bb.26:
	s_or_b32 exec_lo, exec_lo, s3
	v_cmp_ne_u32_e32 vcc_lo, 1, v34
	s_cbranch_vccnz .LBB86_59
.LBB86_27:
	v_mov_b32_e32 v17, 0
	v_dual_mov_b32 v18, 0 :: v_dual_mov_b32 v19, s20
	v_add_nc_u16 v21, v33, 0x200
	v_mov_b32_e32 v20, s21
	s_mov_b32 s3, 0
	.p2align	6
.LBB86_28:                              ; =>This Inner Loop Header: Depth=1
	s_delay_alu instid0(VALU_DEP_3) | instskip(NEXT) | instid1(VALU_DEP_2)
	v_sub_co_u32 v22, vcc_lo, v19, v17
	v_sub_co_ci_u32_e32 v23, vcc_lo, v20, v18, vcc_lo
	s_delay_alu instid0(VALU_DEP_1) | instskip(SKIP_1) | instid1(VALU_DEP_2)
	v_lshrrev_b64 v[24:25], 1, v[22:23]
	v_lshrrev_b64 v[22:23], 6, v[22:23]
	v_add_co_u32 v24, vcc_lo, v24, v17
	s_delay_alu instid0(VALU_DEP_3) | instskip(NEXT) | instid1(VALU_DEP_2)
	v_add_co_ci_u32_e32 v25, vcc_lo, v25, v18, vcc_lo
	v_add_co_u32 v22, vcc_lo, v24, v22
	s_delay_alu instid0(VALU_DEP_2) | instskip(NEXT) | instid1(VALU_DEP_1)
	v_add_co_ci_u32_e32 v23, vcc_lo, v25, v23, vcc_lo
	v_lshlrev_b64 v[24:25], 1, v[22:23]
	s_delay_alu instid0(VALU_DEP_1) | instskip(NEXT) | instid1(VALU_DEP_2)
	v_add_co_u32 v24, vcc_lo, s18, v24
	v_add_co_ci_u32_e32 v25, vcc_lo, s19, v25, vcc_lo
	global_load_u16 v24, v[24:25], off
	v_add_co_u32 v25, vcc_lo, v22, 1
	v_add_co_ci_u32_e32 v26, vcc_lo, 0, v23, vcc_lo
	s_waitcnt vmcnt(0)
	v_cmp_lt_i16_e32 vcc_lo, v24, v21
	v_dual_cndmask_b32 v20, v23, v20 :: v_dual_cndmask_b32 v19, v22, v19
	s_delay_alu instid0(VALU_DEP_3) | instskip(NEXT) | instid1(VALU_DEP_1)
	v_dual_cndmask_b32 v18, v18, v26 :: v_dual_cndmask_b32 v17, v17, v25
	v_cmp_ge_u64_e32 vcc_lo, v[17:18], v[19:20]
	s_or_b32 s3, vcc_lo, s3
	s_delay_alu instid0(SALU_CYCLE_1)
	s_and_not1_b32 exec_lo, exec_lo, s3
	s_cbranch_execnz .LBB86_28
; %bb.29:
	s_or_b32 exec_lo, exec_lo, s3
	v_cmp_ne_u32_e32 vcc_lo, 1, v34
	s_cbranch_vccnz .LBB86_60
.LBB86_30:
	v_dual_mov_b32 v19, 0 :: v_dual_mov_b32 v22, s21
	v_add_nc_u16 v23, v33, 0x240
	v_dual_mov_b32 v20, 0 :: v_dual_mov_b32 v21, s20
	s_mov_b32 s3, 0
	.p2align	6
.LBB86_31:                              ; =>This Inner Loop Header: Depth=1
	s_delay_alu instid0(VALU_DEP_1) | instskip(NEXT) | instid1(VALU_DEP_2)
	v_sub_co_u32 v24, vcc_lo, v21, v19
	v_sub_co_ci_u32_e32 v25, vcc_lo, v22, v20, vcc_lo
	s_delay_alu instid0(VALU_DEP_1) | instskip(SKIP_1) | instid1(VALU_DEP_2)
	v_lshrrev_b64 v[26:27], 1, v[24:25]
	v_lshrrev_b64 v[24:25], 6, v[24:25]
	v_add_co_u32 v26, vcc_lo, v26, v19
	s_delay_alu instid0(VALU_DEP_3) | instskip(NEXT) | instid1(VALU_DEP_2)
	v_add_co_ci_u32_e32 v27, vcc_lo, v27, v20, vcc_lo
	v_add_co_u32 v24, vcc_lo, v26, v24
	s_delay_alu instid0(VALU_DEP_2) | instskip(NEXT) | instid1(VALU_DEP_1)
	v_add_co_ci_u32_e32 v25, vcc_lo, v27, v25, vcc_lo
	v_lshlrev_b64 v[26:27], 1, v[24:25]
	s_delay_alu instid0(VALU_DEP_1) | instskip(NEXT) | instid1(VALU_DEP_2)
	v_add_co_u32 v26, vcc_lo, s18, v26
	v_add_co_ci_u32_e32 v27, vcc_lo, s19, v27, vcc_lo
	global_load_u16 v26, v[26:27], off
	v_add_co_u32 v27, vcc_lo, v24, 1
	v_add_co_ci_u32_e32 v28, vcc_lo, 0, v25, vcc_lo
	s_waitcnt vmcnt(0)
	v_cmp_lt_i16_e32 vcc_lo, v26, v23
	v_dual_cndmask_b32 v22, v25, v22 :: v_dual_cndmask_b32 v21, v24, v21
	s_delay_alu instid0(VALU_DEP_3) | instskip(NEXT) | instid1(VALU_DEP_1)
	v_dual_cndmask_b32 v20, v20, v28 :: v_dual_cndmask_b32 v19, v19, v27
	v_cmp_ge_u64_e32 vcc_lo, v[19:20], v[21:22]
	s_or_b32 s3, vcc_lo, s3
	s_delay_alu instid0(SALU_CYCLE_1)
	s_and_not1_b32 exec_lo, exec_lo, s3
	s_cbranch_execnz .LBB86_31
; %bb.32:
	s_or_b32 exec_lo, exec_lo, s3
	v_cmp_ne_u32_e32 vcc_lo, 1, v34
	s_cbranch_vccnz .LBB86_61
.LBB86_33:
	v_dual_mov_b32 v21, 0 :: v_dual_mov_b32 v24, s21
	v_add_nc_u16 v25, v33, 0x280
	v_dual_mov_b32 v22, 0 :: v_dual_mov_b32 v23, s20
	s_mov_b32 s3, 0
	.p2align	6
.LBB86_34:                              ; =>This Inner Loop Header: Depth=1
	s_delay_alu instid0(VALU_DEP_1) | instskip(NEXT) | instid1(VALU_DEP_2)
	v_sub_co_u32 v26, vcc_lo, v23, v21
	v_sub_co_ci_u32_e32 v27, vcc_lo, v24, v22, vcc_lo
	s_delay_alu instid0(VALU_DEP_1) | instskip(SKIP_1) | instid1(VALU_DEP_2)
	v_lshrrev_b64 v[28:29], 1, v[26:27]
	v_lshrrev_b64 v[26:27], 6, v[26:27]
	v_add_co_u32 v28, vcc_lo, v28, v21
	s_delay_alu instid0(VALU_DEP_3) | instskip(NEXT) | instid1(VALU_DEP_2)
	v_add_co_ci_u32_e32 v29, vcc_lo, v29, v22, vcc_lo
	v_add_co_u32 v26, vcc_lo, v28, v26
	s_delay_alu instid0(VALU_DEP_2) | instskip(NEXT) | instid1(VALU_DEP_1)
	v_add_co_ci_u32_e32 v27, vcc_lo, v29, v27, vcc_lo
	v_lshlrev_b64 v[28:29], 1, v[26:27]
	s_delay_alu instid0(VALU_DEP_1) | instskip(NEXT) | instid1(VALU_DEP_2)
	v_add_co_u32 v28, vcc_lo, s18, v28
	v_add_co_ci_u32_e32 v29, vcc_lo, s19, v29, vcc_lo
	global_load_u16 v28, v[28:29], off
	v_add_co_u32 v29, vcc_lo, v26, 1
	v_add_co_ci_u32_e32 v30, vcc_lo, 0, v27, vcc_lo
	s_waitcnt vmcnt(0)
	v_cmp_lt_i16_e32 vcc_lo, v28, v25
	v_dual_cndmask_b32 v24, v27, v24 :: v_dual_cndmask_b32 v23, v26, v23
	s_delay_alu instid0(VALU_DEP_3) | instskip(NEXT) | instid1(VALU_DEP_1)
	v_dual_cndmask_b32 v22, v22, v30 :: v_dual_cndmask_b32 v21, v21, v29
	v_cmp_ge_u64_e32 vcc_lo, v[21:22], v[23:24]
	s_or_b32 s3, vcc_lo, s3
	s_delay_alu instid0(SALU_CYCLE_1)
	s_and_not1_b32 exec_lo, exec_lo, s3
	s_cbranch_execnz .LBB86_34
; %bb.35:
	s_or_b32 exec_lo, exec_lo, s3
	v_cmp_ne_u32_e32 vcc_lo, 1, v34
	s_cbranch_vccnz .LBB86_62
.LBB86_36:
	v_dual_mov_b32 v23, 0 :: v_dual_mov_b32 v26, s21
	v_add_nc_u16 v27, v33, 0x2c0
	v_dual_mov_b32 v24, 0 :: v_dual_mov_b32 v25, s20
	s_mov_b32 s3, 0
	.p2align	6
.LBB86_37:                              ; =>This Inner Loop Header: Depth=1
	s_delay_alu instid0(VALU_DEP_1) | instskip(NEXT) | instid1(VALU_DEP_2)
	v_sub_co_u32 v28, vcc_lo, v25, v23
	v_sub_co_ci_u32_e32 v29, vcc_lo, v26, v24, vcc_lo
	s_delay_alu instid0(VALU_DEP_1) | instskip(SKIP_1) | instid1(VALU_DEP_2)
	v_lshrrev_b64 v[30:31], 1, v[28:29]
	v_lshrrev_b64 v[28:29], 6, v[28:29]
	v_add_co_u32 v30, vcc_lo, v30, v23
	s_delay_alu instid0(VALU_DEP_3) | instskip(NEXT) | instid1(VALU_DEP_2)
	v_add_co_ci_u32_e32 v31, vcc_lo, v31, v24, vcc_lo
	v_add_co_u32 v28, vcc_lo, v30, v28
	s_delay_alu instid0(VALU_DEP_2) | instskip(NEXT) | instid1(VALU_DEP_1)
	v_add_co_ci_u32_e32 v29, vcc_lo, v31, v29, vcc_lo
	v_lshlrev_b64 v[30:31], 1, v[28:29]
	s_delay_alu instid0(VALU_DEP_1) | instskip(NEXT) | instid1(VALU_DEP_2)
	v_add_co_u32 v30, vcc_lo, s18, v30
	v_add_co_ci_u32_e32 v31, vcc_lo, s19, v31, vcc_lo
	global_load_u16 v30, v[30:31], off
	v_add_co_u32 v31, vcc_lo, v28, 1
	v_add_co_ci_u32_e32 v32, vcc_lo, 0, v29, vcc_lo
	s_waitcnt vmcnt(0)
	v_cmp_lt_i16_e32 vcc_lo, v30, v27
	v_dual_cndmask_b32 v26, v29, v26 :: v_dual_cndmask_b32 v25, v28, v25
	s_delay_alu instid0(VALU_DEP_3) | instskip(NEXT) | instid1(VALU_DEP_1)
	v_dual_cndmask_b32 v24, v24, v32 :: v_dual_cndmask_b32 v23, v23, v31
	v_cmp_ge_u64_e32 vcc_lo, v[23:24], v[25:26]
	s_or_b32 s3, vcc_lo, s3
	s_delay_alu instid0(SALU_CYCLE_1)
	s_and_not1_b32 exec_lo, exec_lo, s3
	s_cbranch_execnz .LBB86_37
; %bb.38:
	s_or_b32 exec_lo, exec_lo, s3
	v_cmp_ne_u32_e32 vcc_lo, 1, v34
	s_cbranch_vccnz .LBB86_63
.LBB86_39:
	v_dual_mov_b32 v25, 0 :: v_dual_mov_b32 v28, s21
	v_add_nc_u16 v29, v33, 0x300
	v_dual_mov_b32 v26, 0 :: v_dual_mov_b32 v27, s20
	s_mov_b32 s3, 0
	.p2align	6
.LBB86_40:                              ; =>This Inner Loop Header: Depth=1
	s_delay_alu instid0(VALU_DEP_1) | instskip(NEXT) | instid1(VALU_DEP_2)
	v_sub_co_u32 v30, vcc_lo, v27, v25
	v_sub_co_ci_u32_e32 v31, vcc_lo, v28, v26, vcc_lo
	s_delay_alu instid0(VALU_DEP_1) | instskip(SKIP_1) | instid1(VALU_DEP_2)
	v_lshrrev_b64 v[35:36], 1, v[30:31]
	v_lshrrev_b64 v[30:31], 6, v[30:31]
	v_add_co_u32 v32, vcc_lo, v35, v25
	s_delay_alu instid0(VALU_DEP_3) | instskip(NEXT) | instid1(VALU_DEP_2)
	v_add_co_ci_u32_e32 v35, vcc_lo, v36, v26, vcc_lo
	v_add_co_u32 v30, vcc_lo, v32, v30
	s_delay_alu instid0(VALU_DEP_2) | instskip(NEXT) | instid1(VALU_DEP_1)
	v_add_co_ci_u32_e32 v31, vcc_lo, v35, v31, vcc_lo
	v_lshlrev_b64 v[35:36], 1, v[30:31]
	s_delay_alu instid0(VALU_DEP_1) | instskip(NEXT) | instid1(VALU_DEP_2)
	v_add_co_u32 v35, vcc_lo, s18, v35
	v_add_co_ci_u32_e32 v36, vcc_lo, s19, v36, vcc_lo
	global_load_u16 v32, v[35:36], off
	v_add_co_u32 v35, vcc_lo, v30, 1
	v_add_co_ci_u32_e32 v36, vcc_lo, 0, v31, vcc_lo
	s_waitcnt vmcnt(0)
	v_cmp_lt_i16_e32 vcc_lo, v32, v29
	v_dual_cndmask_b32 v28, v31, v28 :: v_dual_cndmask_b32 v27, v30, v27
	s_delay_alu instid0(VALU_DEP_3) | instskip(NEXT) | instid1(VALU_DEP_1)
	v_dual_cndmask_b32 v26, v26, v36 :: v_dual_cndmask_b32 v25, v25, v35
	v_cmp_ge_u64_e32 vcc_lo, v[25:26], v[27:28]
	s_or_b32 s3, vcc_lo, s3
	s_delay_alu instid0(SALU_CYCLE_1)
	s_and_not1_b32 exec_lo, exec_lo, s3
	s_cbranch_execnz .LBB86_40
; %bb.41:
	s_or_b32 exec_lo, exec_lo, s3
	v_cmp_ne_u32_e32 vcc_lo, 1, v34
	s_cbranch_vccnz .LBB86_64
.LBB86_42:
	v_dual_mov_b32 v27, 0 :: v_dual_mov_b32 v30, s21
	v_add_nc_u16 v31, v33, 0x340
	v_dual_mov_b32 v28, 0 :: v_dual_mov_b32 v29, s20
	s_mov_b32 s3, 0
	.p2align	6
.LBB86_43:                              ; =>This Inner Loop Header: Depth=1
	s_delay_alu instid0(VALU_DEP_1) | instskip(NEXT) | instid1(VALU_DEP_2)
	v_sub_co_u32 v35, vcc_lo, v29, v27
	v_sub_co_ci_u32_e32 v36, vcc_lo, v30, v28, vcc_lo
	s_delay_alu instid0(VALU_DEP_1) | instskip(SKIP_1) | instid1(VALU_DEP_2)
	v_lshrrev_b64 v[37:38], 1, v[35:36]
	v_lshrrev_b64 v[35:36], 6, v[35:36]
	v_add_co_u32 v32, vcc_lo, v37, v27
	s_delay_alu instid0(VALU_DEP_3) | instskip(NEXT) | instid1(VALU_DEP_2)
	v_add_co_ci_u32_e32 v37, vcc_lo, v38, v28, vcc_lo
	v_add_co_u32 v35, vcc_lo, v32, v35
	s_delay_alu instid0(VALU_DEP_2) | instskip(NEXT) | instid1(VALU_DEP_1)
	v_add_co_ci_u32_e32 v36, vcc_lo, v37, v36, vcc_lo
	v_lshlrev_b64 v[37:38], 1, v[35:36]
	s_delay_alu instid0(VALU_DEP_1) | instskip(NEXT) | instid1(VALU_DEP_2)
	v_add_co_u32 v37, vcc_lo, s18, v37
	v_add_co_ci_u32_e32 v38, vcc_lo, s19, v38, vcc_lo
	global_load_u16 v32, v[37:38], off
	v_add_co_u32 v37, vcc_lo, v35, 1
	v_add_co_ci_u32_e32 v38, vcc_lo, 0, v36, vcc_lo
	s_waitcnt vmcnt(0)
	v_cmp_lt_i16_e32 vcc_lo, v32, v31
	v_dual_cndmask_b32 v30, v36, v30 :: v_dual_cndmask_b32 v29, v35, v29
	s_delay_alu instid0(VALU_DEP_3) | instskip(NEXT) | instid1(VALU_DEP_1)
	v_dual_cndmask_b32 v28, v28, v38 :: v_dual_cndmask_b32 v27, v27, v37
	v_cmp_ge_u64_e32 vcc_lo, v[27:28], v[29:30]
	s_or_b32 s3, vcc_lo, s3
	s_delay_alu instid0(SALU_CYCLE_1)
	s_and_not1_b32 exec_lo, exec_lo, s3
	s_cbranch_execnz .LBB86_43
; %bb.44:
	s_or_b32 exec_lo, exec_lo, s3
	v_cmp_ne_u32_e32 vcc_lo, 1, v34
	s_cbranch_vccnz .LBB86_65
.LBB86_45:
	v_dual_mov_b32 v31, 0 :: v_dual_mov_b32 v30, s21
	v_add_nc_u16 v35, v33, 0x380
	v_dual_mov_b32 v32, 0 :: v_dual_mov_b32 v29, s20
	s_mov_b32 s3, 0
	.p2align	6
.LBB86_46:                              ; =>This Inner Loop Header: Depth=1
	s_delay_alu instid0(VALU_DEP_1) | instskip(NEXT) | instid1(VALU_DEP_2)
	v_sub_co_u32 v36, vcc_lo, v29, v31
	v_sub_co_ci_u32_e32 v37, vcc_lo, v30, v32, vcc_lo
	s_delay_alu instid0(VALU_DEP_1) | instskip(SKIP_1) | instid1(VALU_DEP_2)
	v_lshrrev_b64 v[38:39], 1, v[36:37]
	v_lshrrev_b64 v[36:37], 6, v[36:37]
	v_add_co_u32 v38, vcc_lo, v38, v31
	s_delay_alu instid0(VALU_DEP_3) | instskip(NEXT) | instid1(VALU_DEP_2)
	v_add_co_ci_u32_e32 v39, vcc_lo, v39, v32, vcc_lo
	v_add_co_u32 v36, vcc_lo, v38, v36
	s_delay_alu instid0(VALU_DEP_2) | instskip(NEXT) | instid1(VALU_DEP_1)
	v_add_co_ci_u32_e32 v37, vcc_lo, v39, v37, vcc_lo
	v_lshlrev_b64 v[38:39], 1, v[36:37]
	s_delay_alu instid0(VALU_DEP_1) | instskip(NEXT) | instid1(VALU_DEP_2)
	v_add_co_u32 v38, vcc_lo, s18, v38
	v_add_co_ci_u32_e32 v39, vcc_lo, s19, v39, vcc_lo
	global_load_u16 v38, v[38:39], off
	v_add_co_u32 v39, vcc_lo, v36, 1
	v_add_co_ci_u32_e32 v40, vcc_lo, 0, v37, vcc_lo
	s_waitcnt vmcnt(0)
	v_cmp_lt_i16_e32 vcc_lo, v38, v35
	v_dual_cndmask_b32 v30, v37, v30 :: v_dual_cndmask_b32 v29, v36, v29
	s_delay_alu instid0(VALU_DEP_3) | instskip(NEXT) | instid1(VALU_DEP_1)
	v_dual_cndmask_b32 v32, v32, v40 :: v_dual_cndmask_b32 v31, v31, v39
	v_cmp_ge_u64_e32 vcc_lo, v[31:32], v[29:30]
	s_or_b32 s3, vcc_lo, s3
	s_delay_alu instid0(SALU_CYCLE_1)
	s_and_not1_b32 exec_lo, exec_lo, s3
	s_cbranch_execnz .LBB86_46
; %bb.47:
	s_or_b32 exec_lo, exec_lo, s3
	v_cmp_ne_u32_e32 vcc_lo, 1, v34
	s_cbranch_vccnz .LBB86_66
.LBB86_48:
	v_add_nc_u16 v35, v33, 0x3c0
	v_dual_mov_b32 v29, 0 :: v_dual_mov_b32 v34, s21
	v_dual_mov_b32 v30, 0 :: v_dual_mov_b32 v33, s20
	s_mov_b32 s3, 0
	.p2align	6
.LBB86_49:                              ; =>This Inner Loop Header: Depth=1
	s_delay_alu instid0(VALU_DEP_1) | instskip(NEXT) | instid1(VALU_DEP_2)
	v_sub_co_u32 v36, vcc_lo, v33, v29
	v_sub_co_ci_u32_e32 v37, vcc_lo, v34, v30, vcc_lo
	s_delay_alu instid0(VALU_DEP_1) | instskip(SKIP_1) | instid1(VALU_DEP_2)
	v_lshrrev_b64 v[38:39], 1, v[36:37]
	v_lshrrev_b64 v[36:37], 6, v[36:37]
	v_add_co_u32 v38, vcc_lo, v38, v29
	s_delay_alu instid0(VALU_DEP_3) | instskip(NEXT) | instid1(VALU_DEP_2)
	v_add_co_ci_u32_e32 v39, vcc_lo, v39, v30, vcc_lo
	v_add_co_u32 v36, vcc_lo, v38, v36
	s_delay_alu instid0(VALU_DEP_2) | instskip(NEXT) | instid1(VALU_DEP_1)
	v_add_co_ci_u32_e32 v37, vcc_lo, v39, v37, vcc_lo
	v_lshlrev_b64 v[38:39], 1, v[36:37]
	s_delay_alu instid0(VALU_DEP_1) | instskip(NEXT) | instid1(VALU_DEP_2)
	v_add_co_u32 v38, vcc_lo, s18, v38
	v_add_co_ci_u32_e32 v39, vcc_lo, s19, v39, vcc_lo
	global_load_u16 v38, v[38:39], off
	v_add_co_u32 v39, vcc_lo, v36, 1
	v_add_co_ci_u32_e32 v40, vcc_lo, 0, v37, vcc_lo
	s_waitcnt vmcnt(0)
	v_cmp_lt_i16_e32 vcc_lo, v38, v35
	v_dual_cndmask_b32 v34, v37, v34 :: v_dual_cndmask_b32 v33, v36, v33
	s_delay_alu instid0(VALU_DEP_3) | instskip(NEXT) | instid1(VALU_DEP_1)
	v_dual_cndmask_b32 v30, v30, v40 :: v_dual_cndmask_b32 v29, v29, v39
	v_cmp_ge_u64_e32 vcc_lo, v[29:30], v[33:34]
	s_or_b32 s3, vcc_lo, s3
	s_delay_alu instid0(SALU_CYCLE_1)
	s_and_not1_b32 exec_lo, exec_lo, s3
	s_cbranch_execnz .LBB86_49
; %bb.50:
	s_or_b32 exec_lo, exec_lo, s3
	s_branch .LBB86_67
.LBB86_51:
	s_mov_b32 s15, s17
                                        ; implicit-def: $vgpr29_vgpr30
                                        ; implicit-def: $vgpr33_vgpr34
	s_and_b32 vcc_lo, exec_lo, s3
	s_cbranch_vccnz .LBB86_68
	s_branch .LBB86_174
.LBB86_52:
	v_mov_b32_e32 v3, 0
	v_mov_b32_e32 v4, 0
	v_cmp_ne_u32_e32 vcc_lo, 1, v34
	s_cbranch_vccz .LBB86_9
.LBB86_53:
	v_mov_b32_e32 v5, 0
	v_mov_b32_e32 v6, 0
	v_cmp_ne_u32_e32 vcc_lo, 1, v34
	s_cbranch_vccz .LBB86_12
.LBB86_54:
	v_mov_b32_e32 v7, 0
	v_mov_b32_e32 v8, 0
	v_cmp_ne_u32_e32 vcc_lo, 1, v34
	s_cbranch_vccz .LBB86_15
.LBB86_55:
	v_mov_b32_e32 v9, 0
	v_mov_b32_e32 v10, 0
	v_cmp_ne_u32_e32 vcc_lo, 1, v34
	s_cbranch_vccz .LBB86_18
.LBB86_56:
	v_mov_b32_e32 v11, 0
	v_mov_b32_e32 v12, 0
	v_cmp_ne_u32_e32 vcc_lo, 1, v34
	s_cbranch_vccz .LBB86_21
.LBB86_57:
	v_mov_b32_e32 v13, 0
	v_mov_b32_e32 v14, 0
	v_cmp_ne_u32_e32 vcc_lo, 1, v34
	s_cbranch_vccz .LBB86_24
.LBB86_58:
	v_mov_b32_e32 v15, 0
	v_mov_b32_e32 v16, 0
	v_cmp_ne_u32_e32 vcc_lo, 1, v34
	s_cbranch_vccz .LBB86_27
.LBB86_59:
	v_mov_b32_e32 v17, 0
	v_mov_b32_e32 v18, 0
	v_cmp_ne_u32_e32 vcc_lo, 1, v34
	s_cbranch_vccz .LBB86_30
.LBB86_60:
	v_mov_b32_e32 v19, 0
	v_mov_b32_e32 v20, 0
	v_cmp_ne_u32_e32 vcc_lo, 1, v34
	s_cbranch_vccz .LBB86_33
.LBB86_61:
	v_mov_b32_e32 v21, 0
	v_mov_b32_e32 v22, 0
	v_cmp_ne_u32_e32 vcc_lo, 1, v34
	s_cbranch_vccz .LBB86_36
.LBB86_62:
	v_mov_b32_e32 v23, 0
	v_mov_b32_e32 v24, 0
	v_cmp_ne_u32_e32 vcc_lo, 1, v34
	s_cbranch_vccz .LBB86_39
.LBB86_63:
	v_mov_b32_e32 v25, 0
	v_mov_b32_e32 v26, 0
	v_cmp_ne_u32_e32 vcc_lo, 1, v34
	s_cbranch_vccz .LBB86_42
.LBB86_64:
	v_mov_b32_e32 v27, 0
	v_mov_b32_e32 v28, 0
	v_cmp_ne_u32_e32 vcc_lo, 1, v34
	s_cbranch_vccz .LBB86_45
.LBB86_65:
	v_mov_b32_e32 v31, 0
	v_mov_b32_e32 v32, 0
	v_cmp_ne_u32_e32 vcc_lo, 1, v34
	s_cbranch_vccz .LBB86_48
.LBB86_66:
	v_mov_b32_e32 v29, 0
	v_mov_b32_e32 v30, 0
.LBB86_67:
	v_lshlrev_b32_e32 v35, 3, v0
	s_lshl_b64 s[4:5], s[16:17], 3
	s_delay_alu instid0(SALU_CYCLE_1) | instskip(SKIP_1) | instid1(VALU_DEP_1)
	s_add_u32 s4, s22, s4
	s_addc_u32 s5, s23, s5
	v_add_co_u32 v33, s6, s4, v35
	s_delay_alu instid0(VALU_DEP_1)
	v_add_co_ci_u32_e64 v34, null, s5, 0, s6
	s_clause 0x3
	global_store_b64 v35, v[1:2], s[4:5]
	global_store_b64 v35, v[3:4], s[4:5] offset:512
	global_store_b64 v35, v[5:6], s[4:5] offset:1024
	;; [unrolled: 1-line block ×3, first 2 shown]
	v_add_co_u32 v1, vcc_lo, 0x1000, v33
	v_add_co_ci_u32_e32 v2, vcc_lo, 0, v34, vcc_lo
	s_clause 0x7
	global_store_b64 v35, v[9:10], s[4:5] offset:2048
	global_store_b64 v35, v[11:12], s[4:5] offset:2560
	;; [unrolled: 1-line block ×4, first 2 shown]
	global_store_b64 v[1:2], v[17:18], off
	global_store_b64 v[1:2], v[19:20], off offset:512
	global_store_b64 v[1:2], v[21:22], off offset:1024
	;; [unrolled: 1-line block ×3, first 2 shown]
	s_mov_b32 s15, -1
	s_clause 0x2
	global_store_b64 v[1:2], v[25:26], off offset:2048
	global_store_b64 v[1:2], v[27:28], off offset:2560
	;; [unrolled: 1-line block ×3, first 2 shown]
	s_branch .LBB86_174
.LBB86_68:
	s_load_b32 s0, s[0:1], 0x10
	v_or_b32_e32 v1, 64, v0
	s_add_i32 s2, s2, s16
	v_or_b32_e32 v2, 0x80, v0
	v_or_b32_e32 v3, 0xc0, v0
	;; [unrolled: 1-line block ×4, first 2 shown]
	v_add_nc_u16 v5, s2, v0
	v_add_nc_u16 v8, s2, v1
	v_or_b32_e32 v7, 0x180, v0
	v_add_nc_u16 v9, s2, v2
	v_add_nc_u16 v10, s2, v3
	;; [unrolled: 1-line block ×4, first 2 shown]
	v_perm_b32 v8, v8, v5, 0x5040100
	v_and_b32_e32 v13, 0xffff, v9
	v_perm_b32 v9, v10, v9, 0x5040100
	v_or_b32_e32 v10, 0x200, v0
	s_waitcnt lgkmcnt(0)
	s_sub_i32 s14, s0, s16
	s_cmp_lg_u64 s[20:21], 0
	v_cmp_gt_u32_e64 s13, s14, v1
	v_or_b32_e32 v1, 0x1c0, v0
	v_cmp_gt_u32_e64 s12, s14, v2
	v_cmp_gt_u32_e64 s10, s14, v3
	;; [unrolled: 1-line block ×3, first 2 shown]
	v_cndmask_b32_e64 v5, v5, v8, s13
	v_and_b32_e32 v2, 0xffff, v11
	v_perm_b32 v3, v12, v11, 0x5040100
	v_add_nc_u16 v4, s2, v7
	v_add_nc_u16 v8, s2, v1
	v_or_b32_e32 v11, 0x240, v0
	v_cmp_gt_u32_e64 s11, s14, v6
	v_cndmask_b32_e64 v9, v13, v9, s10
	v_cmp_gt_u32_e64 s7, s14, v1
	v_cmp_gt_u32_e64 s9, s14, v7
	v_add_nc_u16 v6, s2, v11
	v_cndmask_b32_e64 v13, v2, v3, s11
	v_and_b32_e32 v2, 0xffff, v4
	v_perm_b32 v3, v8, v4, 0x5040100
	v_add_nc_u16 v4, s2, v10
	v_or_b32_e32 v7, 0x280, v0
	v_cmp_gt_u32_e64 s5, s14, v11
	v_cmp_gt_u32_e64 s6, s14, v10
	v_cndmask_b32_e64 v17, v2, v3, s7
	v_perm_b32 v1, v6, v4, 0x5040100
	v_or_b32_e32 v2, 0x2c0, v0
	v_add_nc_u16 v3, s2, v7
	v_cmp_gt_u32_e64 s3, s14, v7
	v_or_b32_e32 v7, 0x340, v0
	v_cndmask_b32_e64 v21, v4, v1, s5
	v_add_nc_u16 v1, s2, v2
	v_or_b32_e32 v4, 0x300, v0
	v_and_b32_e32 v6, 0xffff, v3
	v_or_b32_e32 v8, 0x380, v0
	v_or_b32_e32 v10, 0x3c0, v0
	v_perm_b32 v1, v1, v3, 0x5040100
	v_cmp_gt_u32_e64 s4, s14, v2
	v_add_nc_u16 v3, s2, v4
	v_add_nc_u16 v11, s2, v7
	;; [unrolled: 1-line block ×3, first 2 shown]
	v_cmp_gt_u32_e64 s1, s14, v7
	v_cndmask_b32_e64 v25, v6, v1, s4
	v_add_nc_u16 v1, s2, v8
	v_and_b32_e32 v6, 0xffff, v3
	v_perm_b32 v3, v11, v3, 0x5040100
	v_cmp_gt_u32_e64 s2, s14, v4
	v_cmp_gt_u32_e64 s15, s14, v10
	v_and_b32_e32 v4, 0xffff, v1
	v_perm_b32 v1, v2, v1, 0x5040100
	v_cndmask_b32_e64 v29, v6, v3, s1
	v_cmp_gt_u32_e64 s0, s14, v8
	v_cmp_gt_u32_e64 s14, s14, v0
	s_cselect_b32 s24, -1, 0
	v_cndmask_b32_e64 v33, v4, v1, s15
                                        ; implicit-def: $vgpr1_vgpr2
	s_delay_alu instid0(VALU_DEP_2)
	s_and_saveexec_b32 s25, s14
	s_cbranch_execz .LBB86_73
; %bb.69:
	v_mov_b32_e32 v1, 0
	v_mov_b32_e32 v2, 0
	s_and_not1_b32 vcc_lo, exec_lo, s24
	s_cbranch_vccnz .LBB86_73
; %bb.70:
	v_dual_mov_b32 v3, s20 :: v_dual_mov_b32 v4, s21
	s_mov_b32 s26, 0
	.p2align	6
.LBB86_71:                              ; =>This Inner Loop Header: Depth=1
	s_delay_alu instid0(VALU_DEP_1) | instskip(NEXT) | instid1(VALU_DEP_2)
	v_sub_co_u32 v6, vcc_lo, v3, v1
	v_sub_co_ci_u32_e32 v7, vcc_lo, v4, v2, vcc_lo
	s_delay_alu instid0(VALU_DEP_1) | instskip(SKIP_1) | instid1(VALU_DEP_2)
	v_lshrrev_b64 v[10:11], 1, v[6:7]
	v_lshrrev_b64 v[6:7], 6, v[6:7]
	v_add_co_u32 v8, vcc_lo, v10, v1
	s_delay_alu instid0(VALU_DEP_3) | instskip(NEXT) | instid1(VALU_DEP_2)
	v_add_co_ci_u32_e32 v10, vcc_lo, v11, v2, vcc_lo
	v_add_co_u32 v6, vcc_lo, v8, v6
	s_delay_alu instid0(VALU_DEP_2) | instskip(NEXT) | instid1(VALU_DEP_1)
	v_add_co_ci_u32_e32 v7, vcc_lo, v10, v7, vcc_lo
	v_lshlrev_b64 v[10:11], 1, v[6:7]
	s_delay_alu instid0(VALU_DEP_1) | instskip(NEXT) | instid1(VALU_DEP_2)
	v_add_co_u32 v10, vcc_lo, s18, v10
	v_add_co_ci_u32_e32 v11, vcc_lo, s19, v11, vcc_lo
	global_load_u16 v8, v[10:11], off
	v_add_co_u32 v10, vcc_lo, v6, 1
	v_add_co_ci_u32_e32 v11, vcc_lo, 0, v7, vcc_lo
	s_waitcnt vmcnt(0)
	v_cmp_lt_i16_e32 vcc_lo, v8, v5
	v_dual_cndmask_b32 v4, v7, v4 :: v_dual_cndmask_b32 v3, v6, v3
	s_delay_alu instid0(VALU_DEP_3) | instskip(NEXT) | instid1(VALU_DEP_1)
	v_dual_cndmask_b32 v2, v2, v11 :: v_dual_cndmask_b32 v1, v1, v10
	v_cmp_ge_u64_e32 vcc_lo, v[1:2], v[3:4]
	s_or_b32 s26, vcc_lo, s26
	s_delay_alu instid0(SALU_CYCLE_1)
	s_and_not1_b32 exec_lo, exec_lo, s26
	s_cbranch_execnz .LBB86_71
; %bb.72:
	s_or_b32 exec_lo, exec_lo, s26
.LBB86_73:
	s_delay_alu instid0(SALU_CYCLE_1)
	s_or_b32 exec_lo, exec_lo, s25
                                        ; implicit-def: $vgpr3_vgpr4
	s_and_saveexec_b32 s25, s13
	s_cbranch_execz .LBB86_78
; %bb.74:
	s_and_not1_b32 vcc_lo, exec_lo, s24
	s_cbranch_vccnz .LBB86_83
; %bb.75:
	v_mov_b32_e32 v3, 0
	v_lshrrev_b32_e32 v7, 16, v5
	v_dual_mov_b32 v4, 0 :: v_dual_mov_b32 v5, s20
	v_mov_b32_e32 v6, s21
	s_mov_b32 s26, 0
	.p2align	6
.LBB86_76:                              ; =>This Inner Loop Header: Depth=1
	s_delay_alu instid0(VALU_DEP_2) | instskip(NEXT) | instid1(VALU_DEP_2)
	v_sub_co_u32 v10, vcc_lo, v5, v3
	v_sub_co_ci_u32_e32 v11, vcc_lo, v6, v4, vcc_lo
	s_delay_alu instid0(VALU_DEP_1) | instskip(SKIP_1) | instid1(VALU_DEP_2)
	v_lshrrev_b64 v[14:15], 1, v[10:11]
	v_lshrrev_b64 v[10:11], 6, v[10:11]
	v_add_co_u32 v8, vcc_lo, v14, v3
	s_delay_alu instid0(VALU_DEP_3) | instskip(NEXT) | instid1(VALU_DEP_2)
	v_add_co_ci_u32_e32 v12, vcc_lo, v15, v4, vcc_lo
	v_add_co_u32 v10, vcc_lo, v8, v10
	s_delay_alu instid0(VALU_DEP_2) | instskip(NEXT) | instid1(VALU_DEP_1)
	v_add_co_ci_u32_e32 v11, vcc_lo, v12, v11, vcc_lo
	v_lshlrev_b64 v[14:15], 1, v[10:11]
	s_delay_alu instid0(VALU_DEP_1) | instskip(NEXT) | instid1(VALU_DEP_2)
	v_add_co_u32 v14, vcc_lo, s18, v14
	v_add_co_ci_u32_e32 v15, vcc_lo, s19, v15, vcc_lo
	v_add_co_u32 v12, vcc_lo, v10, 1
	global_load_u16 v8, v[14:15], off
	v_add_co_ci_u32_e32 v14, vcc_lo, 0, v11, vcc_lo
	s_waitcnt vmcnt(0)
	v_cmp_lt_i16_e32 vcc_lo, v8, v7
	v_dual_cndmask_b32 v6, v11, v6 :: v_dual_cndmask_b32 v5, v10, v5
	s_delay_alu instid0(VALU_DEP_3) | instskip(NEXT) | instid1(VALU_DEP_1)
	v_dual_cndmask_b32 v4, v4, v14 :: v_dual_cndmask_b32 v3, v3, v12
	v_cmp_ge_u64_e32 vcc_lo, v[3:4], v[5:6]
	s_or_b32 s26, vcc_lo, s26
	s_delay_alu instid0(SALU_CYCLE_1)
	s_and_not1_b32 exec_lo, exec_lo, s26
	s_cbranch_execnz .LBB86_76
; %bb.77:
	s_or_b32 exec_lo, exec_lo, s26
.LBB86_78:
	s_delay_alu instid0(SALU_CYCLE_1)
	s_or_b32 exec_lo, exec_lo, s25
                                        ; implicit-def: $vgpr5_vgpr6
	s_and_saveexec_b32 s25, s12
	s_cbranch_execz .LBB86_84
.LBB86_79:
	v_mov_b32_e32 v5, 0
	v_mov_b32_e32 v6, 0
	s_and_not1_b32 vcc_lo, exec_lo, s24
	s_cbranch_vccnz .LBB86_84
; %bb.80:
	v_dual_mov_b32 v7, s20 :: v_dual_mov_b32 v8, s21
	s_mov_b32 s26, 0
	.p2align	6
.LBB86_81:                              ; =>This Inner Loop Header: Depth=1
	s_delay_alu instid0(VALU_DEP_1) | instskip(NEXT) | instid1(VALU_DEP_2)
	v_sub_co_u32 v10, vcc_lo, v7, v5
	v_sub_co_ci_u32_e32 v11, vcc_lo, v8, v6, vcc_lo
	s_delay_alu instid0(VALU_DEP_1) | instskip(SKIP_1) | instid1(VALU_DEP_2)
	v_lshrrev_b64 v[14:15], 1, v[10:11]
	v_lshrrev_b64 v[10:11], 6, v[10:11]
	v_add_co_u32 v12, vcc_lo, v14, v5
	s_delay_alu instid0(VALU_DEP_3) | instskip(NEXT) | instid1(VALU_DEP_2)
	v_add_co_ci_u32_e32 v14, vcc_lo, v15, v6, vcc_lo
	v_add_co_u32 v10, vcc_lo, v12, v10
	s_delay_alu instid0(VALU_DEP_2) | instskip(NEXT) | instid1(VALU_DEP_1)
	v_add_co_ci_u32_e32 v11, vcc_lo, v14, v11, vcc_lo
	v_lshlrev_b64 v[14:15], 1, v[10:11]
	s_delay_alu instid0(VALU_DEP_1) | instskip(NEXT) | instid1(VALU_DEP_2)
	v_add_co_u32 v14, vcc_lo, s18, v14
	v_add_co_ci_u32_e32 v15, vcc_lo, s19, v15, vcc_lo
	global_load_u16 v12, v[14:15], off
	v_add_co_u32 v14, vcc_lo, v10, 1
	v_add_co_ci_u32_e32 v15, vcc_lo, 0, v11, vcc_lo
	s_waitcnt vmcnt(0)
	v_cmp_lt_i16_e32 vcc_lo, v12, v9
	v_dual_cndmask_b32 v8, v11, v8 :: v_dual_cndmask_b32 v7, v10, v7
	s_delay_alu instid0(VALU_DEP_3) | instskip(NEXT) | instid1(VALU_DEP_1)
	v_dual_cndmask_b32 v6, v6, v15 :: v_dual_cndmask_b32 v5, v5, v14
	v_cmp_ge_u64_e32 vcc_lo, v[5:6], v[7:8]
	s_or_b32 s26, vcc_lo, s26
	s_delay_alu instid0(SALU_CYCLE_1)
	s_and_not1_b32 exec_lo, exec_lo, s26
	s_cbranch_execnz .LBB86_81
; %bb.82:
	s_or_b32 exec_lo, exec_lo, s26
	s_branch .LBB86_84
.LBB86_83:
	v_mov_b32_e32 v3, 0
	v_mov_b32_e32 v4, 0
	s_or_b32 exec_lo, exec_lo, s25
                                        ; implicit-def: $vgpr5_vgpr6
	s_and_saveexec_b32 s25, s12
	s_cbranch_execnz .LBB86_79
.LBB86_84:
	s_or_b32 exec_lo, exec_lo, s25
                                        ; implicit-def: $vgpr7_vgpr8
	s_and_saveexec_b32 s25, s10
	s_cbranch_execz .LBB86_89
; %bb.85:
	s_and_not1_b32 vcc_lo, exec_lo, s24
	s_cbranch_vccnz .LBB86_94
; %bb.86:
	v_mov_b32_e32 v7, 0
	v_lshrrev_b32_e32 v11, 16, v9
	v_dual_mov_b32 v8, 0 :: v_dual_mov_b32 v9, s20
	v_mov_b32_e32 v10, s21
	s_mov_b32 s26, 0
	.p2align	6
.LBB86_87:                              ; =>This Inner Loop Header: Depth=1
	s_delay_alu instid0(VALU_DEP_2) | instskip(NEXT) | instid1(VALU_DEP_2)
	v_sub_co_u32 v14, vcc_lo, v9, v7
	v_sub_co_ci_u32_e32 v15, vcc_lo, v10, v8, vcc_lo
	s_delay_alu instid0(VALU_DEP_1) | instskip(SKIP_1) | instid1(VALU_DEP_2)
	v_lshrrev_b64 v[18:19], 1, v[14:15]
	v_lshrrev_b64 v[14:15], 6, v[14:15]
	v_add_co_u32 v12, vcc_lo, v18, v7
	s_delay_alu instid0(VALU_DEP_3) | instskip(NEXT) | instid1(VALU_DEP_2)
	v_add_co_ci_u32_e32 v16, vcc_lo, v19, v8, vcc_lo
	v_add_co_u32 v14, vcc_lo, v12, v14
	s_delay_alu instid0(VALU_DEP_2) | instskip(NEXT) | instid1(VALU_DEP_1)
	v_add_co_ci_u32_e32 v15, vcc_lo, v16, v15, vcc_lo
	v_lshlrev_b64 v[18:19], 1, v[14:15]
	s_delay_alu instid0(VALU_DEP_1) | instskip(NEXT) | instid1(VALU_DEP_2)
	v_add_co_u32 v18, vcc_lo, s18, v18
	v_add_co_ci_u32_e32 v19, vcc_lo, s19, v19, vcc_lo
	v_add_co_u32 v16, vcc_lo, v14, 1
	global_load_u16 v12, v[18:19], off
	v_add_co_ci_u32_e32 v18, vcc_lo, 0, v15, vcc_lo
	s_waitcnt vmcnt(0)
	v_cmp_lt_i16_e32 vcc_lo, v12, v11
	v_dual_cndmask_b32 v10, v15, v10 :: v_dual_cndmask_b32 v9, v14, v9
	s_delay_alu instid0(VALU_DEP_3) | instskip(NEXT) | instid1(VALU_DEP_1)
	v_dual_cndmask_b32 v8, v8, v18 :: v_dual_cndmask_b32 v7, v7, v16
	v_cmp_ge_u64_e32 vcc_lo, v[7:8], v[9:10]
	s_or_b32 s26, vcc_lo, s26
	s_delay_alu instid0(SALU_CYCLE_1)
	s_and_not1_b32 exec_lo, exec_lo, s26
	s_cbranch_execnz .LBB86_87
; %bb.88:
	s_or_b32 exec_lo, exec_lo, s26
.LBB86_89:
	s_delay_alu instid0(SALU_CYCLE_1)
	s_or_b32 exec_lo, exec_lo, s25
                                        ; implicit-def: $vgpr9_vgpr10
	s_and_saveexec_b32 s25, s8
	s_cbranch_execz .LBB86_95
.LBB86_90:
	v_mov_b32_e32 v9, 0
	v_mov_b32_e32 v10, 0
	s_and_not1_b32 vcc_lo, exec_lo, s24
	s_cbranch_vccnz .LBB86_95
; %bb.91:
	v_dual_mov_b32 v11, s20 :: v_dual_mov_b32 v12, s21
	s_mov_b32 s26, 0
	.p2align	6
.LBB86_92:                              ; =>This Inner Loop Header: Depth=1
	s_delay_alu instid0(VALU_DEP_1) | instskip(NEXT) | instid1(VALU_DEP_2)
	v_sub_co_u32 v14, vcc_lo, v11, v9
	v_sub_co_ci_u32_e32 v15, vcc_lo, v12, v10, vcc_lo
	s_delay_alu instid0(VALU_DEP_1) | instskip(SKIP_1) | instid1(VALU_DEP_2)
	v_lshrrev_b64 v[18:19], 1, v[14:15]
	v_lshrrev_b64 v[14:15], 6, v[14:15]
	v_add_co_u32 v16, vcc_lo, v18, v9
	s_delay_alu instid0(VALU_DEP_3) | instskip(NEXT) | instid1(VALU_DEP_2)
	v_add_co_ci_u32_e32 v18, vcc_lo, v19, v10, vcc_lo
	v_add_co_u32 v14, vcc_lo, v16, v14
	s_delay_alu instid0(VALU_DEP_2) | instskip(NEXT) | instid1(VALU_DEP_1)
	v_add_co_ci_u32_e32 v15, vcc_lo, v18, v15, vcc_lo
	v_lshlrev_b64 v[18:19], 1, v[14:15]
	s_delay_alu instid0(VALU_DEP_1) | instskip(NEXT) | instid1(VALU_DEP_2)
	v_add_co_u32 v18, vcc_lo, s18, v18
	v_add_co_ci_u32_e32 v19, vcc_lo, s19, v19, vcc_lo
	global_load_u16 v16, v[18:19], off
	v_add_co_u32 v18, vcc_lo, v14, 1
	v_add_co_ci_u32_e32 v19, vcc_lo, 0, v15, vcc_lo
	s_waitcnt vmcnt(0)
	v_cmp_lt_i16_e32 vcc_lo, v16, v13
	v_dual_cndmask_b32 v12, v15, v12 :: v_dual_cndmask_b32 v11, v14, v11
	s_delay_alu instid0(VALU_DEP_3) | instskip(NEXT) | instid1(VALU_DEP_1)
	v_dual_cndmask_b32 v10, v10, v19 :: v_dual_cndmask_b32 v9, v9, v18
	v_cmp_ge_u64_e32 vcc_lo, v[9:10], v[11:12]
	s_or_b32 s26, vcc_lo, s26
	s_delay_alu instid0(SALU_CYCLE_1)
	s_and_not1_b32 exec_lo, exec_lo, s26
	s_cbranch_execnz .LBB86_92
; %bb.93:
	s_or_b32 exec_lo, exec_lo, s26
	s_branch .LBB86_95
.LBB86_94:
	v_mov_b32_e32 v7, 0
	v_mov_b32_e32 v8, 0
	s_or_b32 exec_lo, exec_lo, s25
                                        ; implicit-def: $vgpr9_vgpr10
	s_and_saveexec_b32 s25, s8
	s_cbranch_execnz .LBB86_90
.LBB86_95:
	s_or_b32 exec_lo, exec_lo, s25
                                        ; implicit-def: $vgpr11_vgpr12
	s_and_saveexec_b32 s25, s11
	s_cbranch_execz .LBB86_100
; %bb.96:
	s_and_not1_b32 vcc_lo, exec_lo, s24
	s_cbranch_vccnz .LBB86_105
; %bb.97:
	v_mov_b32_e32 v11, 0
	v_lshrrev_b32_e32 v15, 16, v13
	v_dual_mov_b32 v12, 0 :: v_dual_mov_b32 v13, s20
	v_mov_b32_e32 v14, s21
	s_mov_b32 s26, 0
	.p2align	6
.LBB86_98:                              ; =>This Inner Loop Header: Depth=1
	s_delay_alu instid0(VALU_DEP_2) | instskip(NEXT) | instid1(VALU_DEP_2)
	v_sub_co_u32 v18, vcc_lo, v13, v11
	v_sub_co_ci_u32_e32 v19, vcc_lo, v14, v12, vcc_lo
	s_delay_alu instid0(VALU_DEP_1) | instskip(SKIP_1) | instid1(VALU_DEP_2)
	v_lshrrev_b64 v[22:23], 1, v[18:19]
	v_lshrrev_b64 v[18:19], 6, v[18:19]
	v_add_co_u32 v16, vcc_lo, v22, v11
	s_delay_alu instid0(VALU_DEP_3) | instskip(NEXT) | instid1(VALU_DEP_2)
	v_add_co_ci_u32_e32 v20, vcc_lo, v23, v12, vcc_lo
	v_add_co_u32 v18, vcc_lo, v16, v18
	s_delay_alu instid0(VALU_DEP_2) | instskip(NEXT) | instid1(VALU_DEP_1)
	v_add_co_ci_u32_e32 v19, vcc_lo, v20, v19, vcc_lo
	v_lshlrev_b64 v[22:23], 1, v[18:19]
	s_delay_alu instid0(VALU_DEP_1) | instskip(NEXT) | instid1(VALU_DEP_2)
	v_add_co_u32 v22, vcc_lo, s18, v22
	v_add_co_ci_u32_e32 v23, vcc_lo, s19, v23, vcc_lo
	v_add_co_u32 v20, vcc_lo, v18, 1
	global_load_u16 v16, v[22:23], off
	v_add_co_ci_u32_e32 v22, vcc_lo, 0, v19, vcc_lo
	s_waitcnt vmcnt(0)
	v_cmp_lt_i16_e32 vcc_lo, v16, v15
	v_dual_cndmask_b32 v14, v19, v14 :: v_dual_cndmask_b32 v13, v18, v13
	s_delay_alu instid0(VALU_DEP_3) | instskip(NEXT) | instid1(VALU_DEP_1)
	v_dual_cndmask_b32 v12, v12, v22 :: v_dual_cndmask_b32 v11, v11, v20
	v_cmp_ge_u64_e32 vcc_lo, v[11:12], v[13:14]
	s_or_b32 s26, vcc_lo, s26
	s_delay_alu instid0(SALU_CYCLE_1)
	s_and_not1_b32 exec_lo, exec_lo, s26
	s_cbranch_execnz .LBB86_98
; %bb.99:
	s_or_b32 exec_lo, exec_lo, s26
.LBB86_100:
	s_delay_alu instid0(SALU_CYCLE_1)
	s_or_b32 exec_lo, exec_lo, s25
                                        ; implicit-def: $vgpr13_vgpr14
	s_and_saveexec_b32 s25, s9
	s_cbranch_execz .LBB86_106
.LBB86_101:
	v_mov_b32_e32 v13, 0
	v_mov_b32_e32 v14, 0
	s_and_not1_b32 vcc_lo, exec_lo, s24
	s_cbranch_vccnz .LBB86_106
; %bb.102:
	v_dual_mov_b32 v15, s20 :: v_dual_mov_b32 v16, s21
	s_mov_b32 s26, 0
	.p2align	6
.LBB86_103:                             ; =>This Inner Loop Header: Depth=1
	s_delay_alu instid0(VALU_DEP_1) | instskip(NEXT) | instid1(VALU_DEP_2)
	v_sub_co_u32 v18, vcc_lo, v15, v13
	v_sub_co_ci_u32_e32 v19, vcc_lo, v16, v14, vcc_lo
	s_delay_alu instid0(VALU_DEP_1) | instskip(SKIP_1) | instid1(VALU_DEP_2)
	v_lshrrev_b64 v[22:23], 1, v[18:19]
	v_lshrrev_b64 v[18:19], 6, v[18:19]
	v_add_co_u32 v20, vcc_lo, v22, v13
	s_delay_alu instid0(VALU_DEP_3) | instskip(NEXT) | instid1(VALU_DEP_2)
	v_add_co_ci_u32_e32 v22, vcc_lo, v23, v14, vcc_lo
	v_add_co_u32 v18, vcc_lo, v20, v18
	s_delay_alu instid0(VALU_DEP_2) | instskip(NEXT) | instid1(VALU_DEP_1)
	v_add_co_ci_u32_e32 v19, vcc_lo, v22, v19, vcc_lo
	v_lshlrev_b64 v[22:23], 1, v[18:19]
	s_delay_alu instid0(VALU_DEP_1) | instskip(NEXT) | instid1(VALU_DEP_2)
	v_add_co_u32 v22, vcc_lo, s18, v22
	v_add_co_ci_u32_e32 v23, vcc_lo, s19, v23, vcc_lo
	global_load_u16 v20, v[22:23], off
	v_add_co_u32 v22, vcc_lo, v18, 1
	v_add_co_ci_u32_e32 v23, vcc_lo, 0, v19, vcc_lo
	s_waitcnt vmcnt(0)
	v_cmp_lt_i16_e32 vcc_lo, v20, v17
	v_dual_cndmask_b32 v16, v19, v16 :: v_dual_cndmask_b32 v15, v18, v15
	s_delay_alu instid0(VALU_DEP_3) | instskip(NEXT) | instid1(VALU_DEP_1)
	v_dual_cndmask_b32 v14, v14, v23 :: v_dual_cndmask_b32 v13, v13, v22
	v_cmp_ge_u64_e32 vcc_lo, v[13:14], v[15:16]
	s_or_b32 s26, vcc_lo, s26
	s_delay_alu instid0(SALU_CYCLE_1)
	s_and_not1_b32 exec_lo, exec_lo, s26
	s_cbranch_execnz .LBB86_103
; %bb.104:
	s_or_b32 exec_lo, exec_lo, s26
	s_branch .LBB86_106
.LBB86_105:
	v_mov_b32_e32 v11, 0
	v_mov_b32_e32 v12, 0
	s_or_b32 exec_lo, exec_lo, s25
                                        ; implicit-def: $vgpr13_vgpr14
	s_and_saveexec_b32 s25, s9
	s_cbranch_execnz .LBB86_101
.LBB86_106:
	s_or_b32 exec_lo, exec_lo, s25
                                        ; implicit-def: $vgpr15_vgpr16
	s_and_saveexec_b32 s25, s7
	s_cbranch_execz .LBB86_111
; %bb.107:
	s_and_not1_b32 vcc_lo, exec_lo, s24
	s_cbranch_vccnz .LBB86_116
; %bb.108:
	v_mov_b32_e32 v15, 0
	v_lshrrev_b32_e32 v19, 16, v17
	v_dual_mov_b32 v16, 0 :: v_dual_mov_b32 v17, s20
	v_mov_b32_e32 v18, s21
	s_mov_b32 s26, 0
	.p2align	6
.LBB86_109:                             ; =>This Inner Loop Header: Depth=1
	s_delay_alu instid0(VALU_DEP_2) | instskip(NEXT) | instid1(VALU_DEP_2)
	v_sub_co_u32 v22, vcc_lo, v17, v15
	v_sub_co_ci_u32_e32 v23, vcc_lo, v18, v16, vcc_lo
	s_delay_alu instid0(VALU_DEP_1) | instskip(SKIP_1) | instid1(VALU_DEP_2)
	v_lshrrev_b64 v[26:27], 1, v[22:23]
	v_lshrrev_b64 v[22:23], 6, v[22:23]
	v_add_co_u32 v20, vcc_lo, v26, v15
	s_delay_alu instid0(VALU_DEP_3) | instskip(NEXT) | instid1(VALU_DEP_2)
	v_add_co_ci_u32_e32 v24, vcc_lo, v27, v16, vcc_lo
	v_add_co_u32 v22, vcc_lo, v20, v22
	s_delay_alu instid0(VALU_DEP_2) | instskip(NEXT) | instid1(VALU_DEP_1)
	v_add_co_ci_u32_e32 v23, vcc_lo, v24, v23, vcc_lo
	v_lshlrev_b64 v[26:27], 1, v[22:23]
	s_delay_alu instid0(VALU_DEP_1) | instskip(NEXT) | instid1(VALU_DEP_2)
	v_add_co_u32 v26, vcc_lo, s18, v26
	v_add_co_ci_u32_e32 v27, vcc_lo, s19, v27, vcc_lo
	v_add_co_u32 v24, vcc_lo, v22, 1
	global_load_u16 v20, v[26:27], off
	v_add_co_ci_u32_e32 v26, vcc_lo, 0, v23, vcc_lo
	s_waitcnt vmcnt(0)
	v_cmp_lt_i16_e32 vcc_lo, v20, v19
	v_dual_cndmask_b32 v18, v23, v18 :: v_dual_cndmask_b32 v17, v22, v17
	s_delay_alu instid0(VALU_DEP_3) | instskip(NEXT) | instid1(VALU_DEP_1)
	v_dual_cndmask_b32 v16, v16, v26 :: v_dual_cndmask_b32 v15, v15, v24
	v_cmp_ge_u64_e32 vcc_lo, v[15:16], v[17:18]
	s_or_b32 s26, vcc_lo, s26
	s_delay_alu instid0(SALU_CYCLE_1)
	s_and_not1_b32 exec_lo, exec_lo, s26
	s_cbranch_execnz .LBB86_109
; %bb.110:
	s_or_b32 exec_lo, exec_lo, s26
.LBB86_111:
	s_delay_alu instid0(SALU_CYCLE_1)
	s_or_b32 exec_lo, exec_lo, s25
                                        ; implicit-def: $vgpr17_vgpr18
	s_and_saveexec_b32 s25, s6
	s_cbranch_execz .LBB86_117
.LBB86_112:
	v_mov_b32_e32 v17, 0
	v_mov_b32_e32 v18, 0
	s_and_not1_b32 vcc_lo, exec_lo, s24
	s_cbranch_vccnz .LBB86_117
; %bb.113:
	v_dual_mov_b32 v19, s20 :: v_dual_mov_b32 v20, s21
	s_mov_b32 s26, 0
	.p2align	6
.LBB86_114:                             ; =>This Inner Loop Header: Depth=1
	s_delay_alu instid0(VALU_DEP_1) | instskip(NEXT) | instid1(VALU_DEP_2)
	v_sub_co_u32 v22, vcc_lo, v19, v17
	v_sub_co_ci_u32_e32 v23, vcc_lo, v20, v18, vcc_lo
	s_delay_alu instid0(VALU_DEP_1) | instskip(SKIP_1) | instid1(VALU_DEP_2)
	v_lshrrev_b64 v[26:27], 1, v[22:23]
	v_lshrrev_b64 v[22:23], 6, v[22:23]
	v_add_co_u32 v24, vcc_lo, v26, v17
	s_delay_alu instid0(VALU_DEP_3) | instskip(NEXT) | instid1(VALU_DEP_2)
	v_add_co_ci_u32_e32 v26, vcc_lo, v27, v18, vcc_lo
	v_add_co_u32 v22, vcc_lo, v24, v22
	s_delay_alu instid0(VALU_DEP_2) | instskip(NEXT) | instid1(VALU_DEP_1)
	v_add_co_ci_u32_e32 v23, vcc_lo, v26, v23, vcc_lo
	v_lshlrev_b64 v[26:27], 1, v[22:23]
	s_delay_alu instid0(VALU_DEP_1) | instskip(NEXT) | instid1(VALU_DEP_2)
	v_add_co_u32 v26, vcc_lo, s18, v26
	v_add_co_ci_u32_e32 v27, vcc_lo, s19, v27, vcc_lo
	global_load_u16 v24, v[26:27], off
	v_add_co_u32 v26, vcc_lo, v22, 1
	v_add_co_ci_u32_e32 v27, vcc_lo, 0, v23, vcc_lo
	s_waitcnt vmcnt(0)
	v_cmp_lt_i16_e32 vcc_lo, v24, v21
	v_dual_cndmask_b32 v20, v23, v20 :: v_dual_cndmask_b32 v19, v22, v19
	s_delay_alu instid0(VALU_DEP_3) | instskip(NEXT) | instid1(VALU_DEP_1)
	v_dual_cndmask_b32 v18, v18, v27 :: v_dual_cndmask_b32 v17, v17, v26
	v_cmp_ge_u64_e32 vcc_lo, v[17:18], v[19:20]
	s_or_b32 s26, vcc_lo, s26
	s_delay_alu instid0(SALU_CYCLE_1)
	s_and_not1_b32 exec_lo, exec_lo, s26
	s_cbranch_execnz .LBB86_114
; %bb.115:
	s_or_b32 exec_lo, exec_lo, s26
	s_branch .LBB86_117
.LBB86_116:
	v_mov_b32_e32 v15, 0
	v_mov_b32_e32 v16, 0
	s_or_b32 exec_lo, exec_lo, s25
                                        ; implicit-def: $vgpr17_vgpr18
	s_and_saveexec_b32 s25, s6
	s_cbranch_execnz .LBB86_112
.LBB86_117:
	s_or_b32 exec_lo, exec_lo, s25
                                        ; implicit-def: $vgpr19_vgpr20
	s_and_saveexec_b32 s25, s5
	s_cbranch_execz .LBB86_122
; %bb.118:
	s_and_not1_b32 vcc_lo, exec_lo, s24
	s_cbranch_vccnz .LBB86_127
; %bb.119:
	v_lshrrev_b32_e32 v23, 16, v21
	v_dual_mov_b32 v19, 0 :: v_dual_mov_b32 v22, s21
	v_dual_mov_b32 v20, 0 :: v_dual_mov_b32 v21, s20
	s_mov_b32 s26, 0
	.p2align	6
.LBB86_120:                             ; =>This Inner Loop Header: Depth=1
	s_delay_alu instid0(VALU_DEP_1) | instskip(NEXT) | instid1(VALU_DEP_2)
	v_sub_co_u32 v26, vcc_lo, v21, v19
	v_sub_co_ci_u32_e32 v27, vcc_lo, v22, v20, vcc_lo
	s_delay_alu instid0(VALU_DEP_1) | instskip(SKIP_1) | instid1(VALU_DEP_2)
	v_lshrrev_b64 v[30:31], 1, v[26:27]
	v_lshrrev_b64 v[26:27], 6, v[26:27]
	v_add_co_u32 v24, vcc_lo, v30, v19
	s_delay_alu instid0(VALU_DEP_3) | instskip(NEXT) | instid1(VALU_DEP_2)
	v_add_co_ci_u32_e32 v28, vcc_lo, v31, v20, vcc_lo
	v_add_co_u32 v26, vcc_lo, v24, v26
	s_delay_alu instid0(VALU_DEP_2) | instskip(NEXT) | instid1(VALU_DEP_1)
	v_add_co_ci_u32_e32 v27, vcc_lo, v28, v27, vcc_lo
	v_lshlrev_b64 v[30:31], 1, v[26:27]
	s_delay_alu instid0(VALU_DEP_1) | instskip(NEXT) | instid1(VALU_DEP_2)
	v_add_co_u32 v30, vcc_lo, s18, v30
	v_add_co_ci_u32_e32 v31, vcc_lo, s19, v31, vcc_lo
	v_add_co_u32 v28, vcc_lo, v26, 1
	global_load_u16 v24, v[30:31], off
	v_add_co_ci_u32_e32 v30, vcc_lo, 0, v27, vcc_lo
	s_waitcnt vmcnt(0)
	v_cmp_lt_i16_e32 vcc_lo, v24, v23
	v_dual_cndmask_b32 v22, v27, v22 :: v_dual_cndmask_b32 v21, v26, v21
	s_delay_alu instid0(VALU_DEP_3) | instskip(NEXT) | instid1(VALU_DEP_1)
	v_dual_cndmask_b32 v20, v20, v30 :: v_dual_cndmask_b32 v19, v19, v28
	v_cmp_ge_u64_e32 vcc_lo, v[19:20], v[21:22]
	s_or_b32 s26, vcc_lo, s26
	s_delay_alu instid0(SALU_CYCLE_1)
	s_and_not1_b32 exec_lo, exec_lo, s26
	s_cbranch_execnz .LBB86_120
; %bb.121:
	s_or_b32 exec_lo, exec_lo, s26
.LBB86_122:
	s_delay_alu instid0(SALU_CYCLE_1)
	s_or_b32 exec_lo, exec_lo, s25
                                        ; implicit-def: $vgpr21_vgpr22
	s_and_saveexec_b32 s25, s3
	s_cbranch_execz .LBB86_128
.LBB86_123:
	v_mov_b32_e32 v21, 0
	v_mov_b32_e32 v22, 0
	s_and_not1_b32 vcc_lo, exec_lo, s24
	s_cbranch_vccnz .LBB86_128
; %bb.124:
	v_dual_mov_b32 v24, s21 :: v_dual_mov_b32 v23, s20
	s_mov_b32 s26, 0
	.p2align	6
.LBB86_125:                             ; =>This Inner Loop Header: Depth=1
	s_delay_alu instid0(VALU_DEP_1) | instskip(NEXT) | instid1(VALU_DEP_2)
	v_sub_co_u32 v26, vcc_lo, v23, v21
	v_sub_co_ci_u32_e32 v27, vcc_lo, v24, v22, vcc_lo
	s_delay_alu instid0(VALU_DEP_1) | instskip(SKIP_1) | instid1(VALU_DEP_2)
	v_lshrrev_b64 v[30:31], 1, v[26:27]
	v_lshrrev_b64 v[26:27], 6, v[26:27]
	v_add_co_u32 v28, vcc_lo, v30, v21
	s_delay_alu instid0(VALU_DEP_3) | instskip(NEXT) | instid1(VALU_DEP_2)
	v_add_co_ci_u32_e32 v30, vcc_lo, v31, v22, vcc_lo
	v_add_co_u32 v26, vcc_lo, v28, v26
	s_delay_alu instid0(VALU_DEP_2) | instskip(NEXT) | instid1(VALU_DEP_1)
	v_add_co_ci_u32_e32 v27, vcc_lo, v30, v27, vcc_lo
	v_lshlrev_b64 v[30:31], 1, v[26:27]
	s_delay_alu instid0(VALU_DEP_1) | instskip(NEXT) | instid1(VALU_DEP_2)
	v_add_co_u32 v30, vcc_lo, s18, v30
	v_add_co_ci_u32_e32 v31, vcc_lo, s19, v31, vcc_lo
	global_load_u16 v28, v[30:31], off
	v_add_co_u32 v30, vcc_lo, v26, 1
	v_add_co_ci_u32_e32 v31, vcc_lo, 0, v27, vcc_lo
	s_waitcnt vmcnt(0)
	v_cmp_lt_i16_e32 vcc_lo, v28, v25
	v_dual_cndmask_b32 v24, v27, v24 :: v_dual_cndmask_b32 v23, v26, v23
	s_delay_alu instid0(VALU_DEP_3) | instskip(NEXT) | instid1(VALU_DEP_1)
	v_dual_cndmask_b32 v22, v22, v31 :: v_dual_cndmask_b32 v21, v21, v30
	v_cmp_ge_u64_e32 vcc_lo, v[21:22], v[23:24]
	s_or_b32 s26, vcc_lo, s26
	s_delay_alu instid0(SALU_CYCLE_1)
	s_and_not1_b32 exec_lo, exec_lo, s26
	s_cbranch_execnz .LBB86_125
; %bb.126:
	s_or_b32 exec_lo, exec_lo, s26
	s_branch .LBB86_128
.LBB86_127:
	v_mov_b32_e32 v19, 0
	v_mov_b32_e32 v20, 0
	s_or_b32 exec_lo, exec_lo, s25
                                        ; implicit-def: $vgpr21_vgpr22
	s_and_saveexec_b32 s25, s3
	s_cbranch_execnz .LBB86_123
.LBB86_128:
	s_or_b32 exec_lo, exec_lo, s25
                                        ; implicit-def: $vgpr23_vgpr24
	s_and_saveexec_b32 s25, s4
	s_cbranch_execz .LBB86_133
; %bb.129:
	s_and_not1_b32 vcc_lo, exec_lo, s24
	s_cbranch_vccnz .LBB86_138
; %bb.130:
	v_lshrrev_b32_e32 v27, 16, v25
	v_dual_mov_b32 v23, 0 :: v_dual_mov_b32 v26, s21
	v_dual_mov_b32 v24, 0 :: v_dual_mov_b32 v25, s20
	s_mov_b32 s26, 0
	.p2align	6
.LBB86_131:                             ; =>This Inner Loop Header: Depth=1
	s_delay_alu instid0(VALU_DEP_1) | instskip(NEXT) | instid1(VALU_DEP_2)
	v_sub_co_u32 v30, vcc_lo, v25, v23
	v_sub_co_ci_u32_e32 v31, vcc_lo, v26, v24, vcc_lo
	s_delay_alu instid0(VALU_DEP_1) | instskip(SKIP_1) | instid1(VALU_DEP_2)
	v_lshrrev_b64 v[34:35], 1, v[30:31]
	v_lshrrev_b64 v[30:31], 6, v[30:31]
	v_add_co_u32 v28, vcc_lo, v34, v23
	s_delay_alu instid0(VALU_DEP_3) | instskip(NEXT) | instid1(VALU_DEP_2)
	v_add_co_ci_u32_e32 v32, vcc_lo, v35, v24, vcc_lo
	v_add_co_u32 v30, vcc_lo, v28, v30
	s_delay_alu instid0(VALU_DEP_2) | instskip(NEXT) | instid1(VALU_DEP_1)
	v_add_co_ci_u32_e32 v31, vcc_lo, v32, v31, vcc_lo
	v_lshlrev_b64 v[34:35], 1, v[30:31]
	s_delay_alu instid0(VALU_DEP_1) | instskip(NEXT) | instid1(VALU_DEP_2)
	v_add_co_u32 v34, vcc_lo, s18, v34
	v_add_co_ci_u32_e32 v35, vcc_lo, s19, v35, vcc_lo
	v_add_co_u32 v32, vcc_lo, v30, 1
	global_load_u16 v28, v[34:35], off
	v_add_co_ci_u32_e32 v34, vcc_lo, 0, v31, vcc_lo
	s_waitcnt vmcnt(0)
	v_cmp_lt_i16_e32 vcc_lo, v28, v27
	v_dual_cndmask_b32 v26, v31, v26 :: v_dual_cndmask_b32 v25, v30, v25
	s_delay_alu instid0(VALU_DEP_3) | instskip(NEXT) | instid1(VALU_DEP_1)
	v_dual_cndmask_b32 v24, v24, v34 :: v_dual_cndmask_b32 v23, v23, v32
	v_cmp_ge_u64_e32 vcc_lo, v[23:24], v[25:26]
	s_or_b32 s26, vcc_lo, s26
	s_delay_alu instid0(SALU_CYCLE_1)
	s_and_not1_b32 exec_lo, exec_lo, s26
	s_cbranch_execnz .LBB86_131
; %bb.132:
	s_or_b32 exec_lo, exec_lo, s26
.LBB86_133:
	s_delay_alu instid0(SALU_CYCLE_1)
	s_or_b32 exec_lo, exec_lo, s25
                                        ; implicit-def: $vgpr25_vgpr26
	s_and_saveexec_b32 s25, s2
	s_cbranch_execz .LBB86_139
.LBB86_134:
	v_mov_b32_e32 v25, 0
	v_mov_b32_e32 v26, 0
	s_and_not1_b32 vcc_lo, exec_lo, s24
	s_cbranch_vccnz .LBB86_139
; %bb.135:
	v_dual_mov_b32 v28, s21 :: v_dual_mov_b32 v27, s20
	s_mov_b32 s26, 0
	.p2align	6
.LBB86_136:                             ; =>This Inner Loop Header: Depth=1
	s_delay_alu instid0(VALU_DEP_1) | instskip(NEXT) | instid1(VALU_DEP_2)
	v_sub_co_u32 v30, vcc_lo, v27, v25
	v_sub_co_ci_u32_e32 v31, vcc_lo, v28, v26, vcc_lo
	s_delay_alu instid0(VALU_DEP_1) | instskip(SKIP_1) | instid1(VALU_DEP_2)
	v_lshrrev_b64 v[34:35], 1, v[30:31]
	v_lshrrev_b64 v[30:31], 6, v[30:31]
	v_add_co_u32 v32, vcc_lo, v34, v25
	s_delay_alu instid0(VALU_DEP_3) | instskip(NEXT) | instid1(VALU_DEP_2)
	v_add_co_ci_u32_e32 v34, vcc_lo, v35, v26, vcc_lo
	v_add_co_u32 v30, vcc_lo, v32, v30
	s_delay_alu instid0(VALU_DEP_2) | instskip(NEXT) | instid1(VALU_DEP_1)
	v_add_co_ci_u32_e32 v31, vcc_lo, v34, v31, vcc_lo
	v_lshlrev_b64 v[34:35], 1, v[30:31]
	s_delay_alu instid0(VALU_DEP_1) | instskip(NEXT) | instid1(VALU_DEP_2)
	v_add_co_u32 v34, vcc_lo, s18, v34
	v_add_co_ci_u32_e32 v35, vcc_lo, s19, v35, vcc_lo
	global_load_u16 v32, v[34:35], off
	v_add_co_u32 v34, vcc_lo, v30, 1
	v_add_co_ci_u32_e32 v35, vcc_lo, 0, v31, vcc_lo
	s_waitcnt vmcnt(0)
	v_cmp_lt_i16_e32 vcc_lo, v32, v29
	v_dual_cndmask_b32 v28, v31, v28 :: v_dual_cndmask_b32 v27, v30, v27
	s_delay_alu instid0(VALU_DEP_3) | instskip(NEXT) | instid1(VALU_DEP_1)
	v_dual_cndmask_b32 v26, v26, v35 :: v_dual_cndmask_b32 v25, v25, v34
	v_cmp_ge_u64_e32 vcc_lo, v[25:26], v[27:28]
	s_or_b32 s26, vcc_lo, s26
	s_delay_alu instid0(SALU_CYCLE_1)
	s_and_not1_b32 exec_lo, exec_lo, s26
	s_cbranch_execnz .LBB86_136
; %bb.137:
	s_or_b32 exec_lo, exec_lo, s26
	s_branch .LBB86_139
.LBB86_138:
	v_mov_b32_e32 v23, 0
	v_mov_b32_e32 v24, 0
	s_or_b32 exec_lo, exec_lo, s25
                                        ; implicit-def: $vgpr25_vgpr26
	s_and_saveexec_b32 s25, s2
	s_cbranch_execnz .LBB86_134
.LBB86_139:
	s_or_b32 exec_lo, exec_lo, s25
                                        ; implicit-def: $vgpr27_vgpr28
	s_and_saveexec_b32 s25, s1
	s_cbranch_execz .LBB86_144
; %bb.140:
	s_and_not1_b32 vcc_lo, exec_lo, s24
	s_cbranch_vccnz .LBB86_149
; %bb.141:
	v_lshrrev_b32_e32 v31, 16, v29
	v_dual_mov_b32 v27, 0 :: v_dual_mov_b32 v30, s21
	v_dual_mov_b32 v28, 0 :: v_dual_mov_b32 v29, s20
	s_mov_b32 s26, 0
	.p2align	6
.LBB86_142:                             ; =>This Inner Loop Header: Depth=1
	s_delay_alu instid0(VALU_DEP_1) | instskip(NEXT) | instid1(VALU_DEP_2)
	v_sub_co_u32 v34, vcc_lo, v29, v27
	v_sub_co_ci_u32_e32 v35, vcc_lo, v30, v28, vcc_lo
	s_delay_alu instid0(VALU_DEP_1) | instskip(SKIP_1) | instid1(VALU_DEP_2)
	v_lshrrev_b64 v[36:37], 1, v[34:35]
	v_lshrrev_b64 v[34:35], 6, v[34:35]
	v_add_co_u32 v32, vcc_lo, v36, v27
	s_delay_alu instid0(VALU_DEP_3) | instskip(NEXT) | instid1(VALU_DEP_2)
	v_add_co_ci_u32_e32 v36, vcc_lo, v37, v28, vcc_lo
	v_add_co_u32 v34, vcc_lo, v32, v34
	s_delay_alu instid0(VALU_DEP_2) | instskip(NEXT) | instid1(VALU_DEP_1)
	v_add_co_ci_u32_e32 v35, vcc_lo, v36, v35, vcc_lo
	v_lshlrev_b64 v[36:37], 1, v[34:35]
	s_delay_alu instid0(VALU_DEP_1) | instskip(NEXT) | instid1(VALU_DEP_2)
	v_add_co_u32 v36, vcc_lo, s18, v36
	v_add_co_ci_u32_e32 v37, vcc_lo, s19, v37, vcc_lo
	global_load_u16 v32, v[36:37], off
	v_add_co_u32 v36, vcc_lo, v34, 1
	v_add_co_ci_u32_e32 v37, vcc_lo, 0, v35, vcc_lo
	s_waitcnt vmcnt(0)
	v_cmp_lt_i16_e32 vcc_lo, v32, v31
	v_dual_cndmask_b32 v30, v35, v30 :: v_dual_cndmask_b32 v29, v34, v29
	s_delay_alu instid0(VALU_DEP_3) | instskip(NEXT) | instid1(VALU_DEP_1)
	v_dual_cndmask_b32 v28, v28, v37 :: v_dual_cndmask_b32 v27, v27, v36
	v_cmp_ge_u64_e32 vcc_lo, v[27:28], v[29:30]
	s_or_b32 s26, vcc_lo, s26
	s_delay_alu instid0(SALU_CYCLE_1)
	s_and_not1_b32 exec_lo, exec_lo, s26
	s_cbranch_execnz .LBB86_142
; %bb.143:
	s_or_b32 exec_lo, exec_lo, s26
.LBB86_144:
	s_delay_alu instid0(SALU_CYCLE_1)
	s_or_b32 exec_lo, exec_lo, s25
                                        ; implicit-def: $vgpr31_vgpr32
	s_and_saveexec_b32 s25, s0
	s_cbranch_execz .LBB86_150
.LBB86_145:
	v_mov_b32_e32 v31, 0
	v_mov_b32_e32 v32, 0
	s_and_not1_b32 vcc_lo, exec_lo, s24
	s_cbranch_vccnz .LBB86_150
; %bb.146:
	v_dual_mov_b32 v30, s21 :: v_dual_mov_b32 v29, s20
	s_mov_b32 s26, 0
	.p2align	6
.LBB86_147:                             ; =>This Inner Loop Header: Depth=1
	s_delay_alu instid0(VALU_DEP_1) | instskip(NEXT) | instid1(VALU_DEP_2)
	v_sub_co_u32 v34, vcc_lo, v29, v31
	v_sub_co_ci_u32_e32 v35, vcc_lo, v30, v32, vcc_lo
	s_delay_alu instid0(VALU_DEP_1) | instskip(SKIP_1) | instid1(VALU_DEP_2)
	v_lshrrev_b64 v[36:37], 1, v[34:35]
	v_lshrrev_b64 v[34:35], 6, v[34:35]
	v_add_co_u32 v36, vcc_lo, v36, v31
	s_delay_alu instid0(VALU_DEP_3) | instskip(NEXT) | instid1(VALU_DEP_2)
	v_add_co_ci_u32_e32 v37, vcc_lo, v37, v32, vcc_lo
	v_add_co_u32 v34, vcc_lo, v36, v34
	s_delay_alu instid0(VALU_DEP_2) | instskip(NEXT) | instid1(VALU_DEP_1)
	v_add_co_ci_u32_e32 v35, vcc_lo, v37, v35, vcc_lo
	v_lshlrev_b64 v[36:37], 1, v[34:35]
	s_delay_alu instid0(VALU_DEP_1) | instskip(NEXT) | instid1(VALU_DEP_2)
	v_add_co_u32 v36, vcc_lo, s18, v36
	v_add_co_ci_u32_e32 v37, vcc_lo, s19, v37, vcc_lo
	global_load_u16 v36, v[36:37], off
	v_add_co_u32 v37, vcc_lo, v34, 1
	v_add_co_ci_u32_e32 v38, vcc_lo, 0, v35, vcc_lo
	s_waitcnt vmcnt(0)
	v_cmp_lt_i16_e32 vcc_lo, v36, v33
	v_dual_cndmask_b32 v30, v35, v30 :: v_dual_cndmask_b32 v29, v34, v29
	s_delay_alu instid0(VALU_DEP_3) | instskip(NEXT) | instid1(VALU_DEP_1)
	v_dual_cndmask_b32 v32, v32, v38 :: v_dual_cndmask_b32 v31, v31, v37
	v_cmp_ge_u64_e32 vcc_lo, v[31:32], v[29:30]
	s_or_b32 s26, vcc_lo, s26
	s_delay_alu instid0(SALU_CYCLE_1)
	s_and_not1_b32 exec_lo, exec_lo, s26
	s_cbranch_execnz .LBB86_147
; %bb.148:
	s_or_b32 exec_lo, exec_lo, s26
	s_branch .LBB86_150
.LBB86_149:
	v_mov_b32_e32 v27, 0
	v_mov_b32_e32 v28, 0
	s_or_b32 exec_lo, exec_lo, s25
                                        ; implicit-def: $vgpr31_vgpr32
	s_and_saveexec_b32 s25, s0
	s_cbranch_execnz .LBB86_145
.LBB86_150:
	s_or_b32 exec_lo, exec_lo, s25
                                        ; implicit-def: $vgpr29_vgpr30
	s_and_saveexec_b32 s25, s15
	s_cbranch_execz .LBB86_156
; %bb.151:
	s_and_not1_b32 vcc_lo, exec_lo, s24
	s_cbranch_vccnz .LBB86_155
; %bb.152:
	v_lshrrev_b32_e32 v35, 16, v33
	v_dual_mov_b32 v29, 0 :: v_dual_mov_b32 v34, s21
	v_dual_mov_b32 v30, 0 :: v_dual_mov_b32 v33, s20
	s_mov_b32 s20, 0
	.p2align	6
.LBB86_153:                             ; =>This Inner Loop Header: Depth=1
	s_delay_alu instid0(VALU_DEP_1) | instskip(NEXT) | instid1(VALU_DEP_2)
	v_sub_co_u32 v36, vcc_lo, v33, v29
	v_sub_co_ci_u32_e32 v37, vcc_lo, v34, v30, vcc_lo
	s_delay_alu instid0(VALU_DEP_1) | instskip(SKIP_1) | instid1(VALU_DEP_2)
	v_lshrrev_b64 v[38:39], 1, v[36:37]
	v_lshrrev_b64 v[36:37], 6, v[36:37]
	v_add_co_u32 v38, vcc_lo, v38, v29
	s_delay_alu instid0(VALU_DEP_3) | instskip(NEXT) | instid1(VALU_DEP_2)
	v_add_co_ci_u32_e32 v39, vcc_lo, v39, v30, vcc_lo
	v_add_co_u32 v36, vcc_lo, v38, v36
	s_delay_alu instid0(VALU_DEP_2) | instskip(NEXT) | instid1(VALU_DEP_1)
	v_add_co_ci_u32_e32 v37, vcc_lo, v39, v37, vcc_lo
	v_lshlrev_b64 v[38:39], 1, v[36:37]
	s_delay_alu instid0(VALU_DEP_1) | instskip(NEXT) | instid1(VALU_DEP_2)
	v_add_co_u32 v38, vcc_lo, s18, v38
	v_add_co_ci_u32_e32 v39, vcc_lo, s19, v39, vcc_lo
	global_load_u16 v38, v[38:39], off
	v_add_co_u32 v39, vcc_lo, v36, 1
	v_add_co_ci_u32_e32 v40, vcc_lo, 0, v37, vcc_lo
	s_waitcnt vmcnt(0)
	v_cmp_lt_i16_e32 vcc_lo, v38, v35
	v_dual_cndmask_b32 v34, v37, v34 :: v_dual_cndmask_b32 v33, v36, v33
	s_delay_alu instid0(VALU_DEP_3) | instskip(NEXT) | instid1(VALU_DEP_1)
	v_dual_cndmask_b32 v30, v30, v40 :: v_dual_cndmask_b32 v29, v29, v39
	v_cmp_ge_u64_e32 vcc_lo, v[29:30], v[33:34]
	s_or_b32 s20, vcc_lo, s20
	s_delay_alu instid0(SALU_CYCLE_1)
	s_and_not1_b32 exec_lo, exec_lo, s20
	s_cbranch_execnz .LBB86_153
; %bb.154:
	s_or_b32 exec_lo, exec_lo, s20
	s_branch .LBB86_156
.LBB86_155:
	v_mov_b32_e32 v29, 0
	v_mov_b32_e32 v30, 0
.LBB86_156:
	s_or_b32 exec_lo, exec_lo, s25
	v_lshlrev_b32_e32 v0, 3, v0
	s_lshl_b64 s[16:17], s[16:17], 3
	s_delay_alu instid0(SALU_CYCLE_1) | instskip(SKIP_1) | instid1(VALU_DEP_1)
	s_add_u32 s16, s22, s16
	s_addc_u32 s17, s23, s17
	v_add_co_u32 v33, s16, s16, v0
	s_delay_alu instid0(VALU_DEP_1) | instskip(SKIP_1) | instid1(SALU_CYCLE_1)
	v_add_co_ci_u32_e64 v34, null, s17, 0, s16
	s_and_saveexec_b32 s16, s14
	s_xor_b32 s14, exec_lo, s16
	s_cbranch_execz .LBB86_158
; %bb.157:
	global_store_b64 v[33:34], v[1:2], off
.LBB86_158:
	s_or_b32 exec_lo, exec_lo, s14
	s_and_saveexec_b32 s14, s13
	s_cbranch_execnz .LBB86_177
; %bb.159:
	s_or_b32 exec_lo, exec_lo, s14
	s_and_saveexec_b32 s13, s12
	s_cbranch_execnz .LBB86_178
.LBB86_160:
	s_or_b32 exec_lo, exec_lo, s13
	s_and_saveexec_b32 s12, s10
	s_cbranch_execnz .LBB86_179
.LBB86_161:
	s_or_b32 exec_lo, exec_lo, s12
	s_and_saveexec_b32 s10, s8
	s_cbranch_execnz .LBB86_180
.LBB86_162:
	s_or_b32 exec_lo, exec_lo, s10
	s_and_saveexec_b32 s8, s11
	s_cbranch_execnz .LBB86_181
.LBB86_163:
	s_or_b32 exec_lo, exec_lo, s8
	s_and_saveexec_b32 s8, s9
	s_cbranch_execnz .LBB86_182
.LBB86_164:
	s_or_b32 exec_lo, exec_lo, s8
	s_and_saveexec_b32 s8, s7
	s_cbranch_execnz .LBB86_183
.LBB86_165:
	s_or_b32 exec_lo, exec_lo, s8
	s_and_saveexec_b32 s7, s6
	s_cbranch_execnz .LBB86_184
.LBB86_166:
	s_or_b32 exec_lo, exec_lo, s7
	s_and_saveexec_b32 s6, s5
	s_cbranch_execnz .LBB86_185
.LBB86_167:
	s_or_b32 exec_lo, exec_lo, s6
	s_and_saveexec_b32 s5, s3
	s_cbranch_execnz .LBB86_186
.LBB86_168:
	s_or_b32 exec_lo, exec_lo, s5
	s_and_saveexec_b32 s3, s4
	s_cbranch_execnz .LBB86_187
.LBB86_169:
	s_or_b32 exec_lo, exec_lo, s3
	s_and_saveexec_b32 s3, s2
	s_cbranch_execnz .LBB86_188
.LBB86_170:
	s_or_b32 exec_lo, exec_lo, s3
	s_and_saveexec_b32 s2, s1
	s_cbranch_execnz .LBB86_189
.LBB86_171:
	s_or_b32 exec_lo, exec_lo, s2
	s_and_saveexec_b32 s1, s0
	s_cbranch_execz .LBB86_173
.LBB86_172:
	v_add_co_u32 v0, vcc_lo, 0x1000, v33
	v_add_co_ci_u32_e32 v1, vcc_lo, 0, v34, vcc_lo
	global_store_b64 v[0:1], v[31:32], off offset:3072
.LBB86_173:
	s_or_b32 exec_lo, exec_lo, s1
.LBB86_174:
	s_and_saveexec_b32 s0, s15
	s_cbranch_execnz .LBB86_176
; %bb.175:
	s_nop 0
	s_sendmsg sendmsg(MSG_DEALLOC_VGPRS)
	s_endpgm
.LBB86_176:
	v_add_co_u32 v0, vcc_lo, 0x1000, v33
	v_add_co_ci_u32_e32 v1, vcc_lo, 0, v34, vcc_lo
	global_store_b64 v[0:1], v[29:30], off offset:3584
	s_nop 0
	s_sendmsg sendmsg(MSG_DEALLOC_VGPRS)
	s_endpgm
.LBB86_177:
	global_store_b64 v[33:34], v[3:4], off offset:512
	s_or_b32 exec_lo, exec_lo, s14
	s_and_saveexec_b32 s13, s12
	s_cbranch_execz .LBB86_160
.LBB86_178:
	global_store_b64 v[33:34], v[5:6], off offset:1024
	s_or_b32 exec_lo, exec_lo, s13
	s_and_saveexec_b32 s12, s10
	s_cbranch_execz .LBB86_161
.LBB86_179:
	global_store_b64 v[33:34], v[7:8], off offset:1536
	s_or_b32 exec_lo, exec_lo, s12
	s_and_saveexec_b32 s10, s8
	s_cbranch_execz .LBB86_162
.LBB86_180:
	global_store_b64 v[33:34], v[9:10], off offset:2048
	s_or_b32 exec_lo, exec_lo, s10
	s_and_saveexec_b32 s8, s11
	s_cbranch_execz .LBB86_163
.LBB86_181:
	global_store_b64 v[33:34], v[11:12], off offset:2560
	s_or_b32 exec_lo, exec_lo, s8
	s_and_saveexec_b32 s8, s9
	s_cbranch_execz .LBB86_164
.LBB86_182:
	global_store_b64 v[33:34], v[13:14], off offset:3072
	s_or_b32 exec_lo, exec_lo, s8
	s_and_saveexec_b32 s8, s7
	s_cbranch_execz .LBB86_165
.LBB86_183:
	global_store_b64 v[33:34], v[15:16], off offset:3584
	s_or_b32 exec_lo, exec_lo, s8
	s_and_saveexec_b32 s7, s6
	s_cbranch_execz .LBB86_166
.LBB86_184:
	v_add_co_u32 v0, vcc_lo, 0x1000, v33
	v_add_co_ci_u32_e32 v1, vcc_lo, 0, v34, vcc_lo
	global_store_b64 v[0:1], v[17:18], off
	s_or_b32 exec_lo, exec_lo, s7
	s_and_saveexec_b32 s6, s5
	s_cbranch_execz .LBB86_167
.LBB86_185:
	v_add_co_u32 v0, vcc_lo, 0x1000, v33
	v_add_co_ci_u32_e32 v1, vcc_lo, 0, v34, vcc_lo
	global_store_b64 v[0:1], v[19:20], off offset:512
	s_or_b32 exec_lo, exec_lo, s6
	s_and_saveexec_b32 s5, s3
	s_cbranch_execz .LBB86_168
.LBB86_186:
	v_add_co_u32 v0, vcc_lo, 0x1000, v33
	v_add_co_ci_u32_e32 v1, vcc_lo, 0, v34, vcc_lo
	global_store_b64 v[0:1], v[21:22], off offset:1024
	s_or_b32 exec_lo, exec_lo, s5
	s_and_saveexec_b32 s3, s4
	s_cbranch_execz .LBB86_169
.LBB86_187:
	v_add_co_u32 v0, vcc_lo, 0x1000, v33
	v_add_co_ci_u32_e32 v1, vcc_lo, 0, v34, vcc_lo
	global_store_b64 v[0:1], v[23:24], off offset:1536
	s_or_b32 exec_lo, exec_lo, s3
	s_and_saveexec_b32 s3, s2
	s_cbranch_execz .LBB86_170
.LBB86_188:
	v_add_co_u32 v0, vcc_lo, 0x1000, v33
	v_add_co_ci_u32_e32 v1, vcc_lo, 0, v34, vcc_lo
	global_store_b64 v[0:1], v[25:26], off offset:2048
	s_or_b32 exec_lo, exec_lo, s3
	s_and_saveexec_b32 s2, s1
	s_cbranch_execz .LBB86_171
.LBB86_189:
	v_add_co_u32 v0, vcc_lo, 0x1000, v33
	v_add_co_ci_u32_e32 v1, vcc_lo, 0, v34, vcc_lo
	global_store_b64 v[0:1], v[27:28], off offset:2560
	s_or_b32 exec_lo, exec_lo, s2
	s_and_saveexec_b32 s1, s0
	s_cbranch_execnz .LBB86_172
	s_branch .LBB86_173
	.section	.rodata,"a",@progbits
	.p2align	6, 0x0
	.amdhsa_kernel _ZN7rocprim17ROCPRIM_400000_NS6detail17trampoline_kernelINS0_14default_configENS1_27lower_bound_config_selectorIslEEZNS1_14transform_implILb0ES3_S5_N6thrust23THRUST_200600_302600_NS17counting_iteratorIsNS8_11use_defaultESA_SA_EEPlZNS1_13binary_searchIS3_S5_PsSB_SC_NS1_21lower_bound_search_opENS8_6detail16wrapped_functionI11custom_lessbEEEE10hipError_tPvRmT1_T2_T3_mmT4_T5_P12ihipStream_tbEUlRKsE_EESK_SO_SP_mSQ_ST_bEUlT_E_NS1_11comp_targetILNS1_3genE9ELNS1_11target_archE1100ELNS1_3gpuE3ELNS1_3repE0EEENS1_30default_config_static_selectorELNS0_4arch9wavefront6targetE0EEEvSN_
		.amdhsa_group_segment_fixed_size 0
		.amdhsa_private_segment_fixed_size 0
		.amdhsa_kernarg_size 312
		.amdhsa_user_sgpr_count 15
		.amdhsa_user_sgpr_dispatch_ptr 0
		.amdhsa_user_sgpr_queue_ptr 0
		.amdhsa_user_sgpr_kernarg_segment_ptr 1
		.amdhsa_user_sgpr_dispatch_id 0
		.amdhsa_user_sgpr_private_segment_size 0
		.amdhsa_wavefront_size32 1
		.amdhsa_uses_dynamic_stack 0
		.amdhsa_enable_private_segment 0
		.amdhsa_system_sgpr_workgroup_id_x 1
		.amdhsa_system_sgpr_workgroup_id_y 0
		.amdhsa_system_sgpr_workgroup_id_z 0
		.amdhsa_system_sgpr_workgroup_info 0
		.amdhsa_system_vgpr_workitem_id 0
		.amdhsa_next_free_vgpr 41
		.amdhsa_next_free_sgpr 27
		.amdhsa_reserve_vcc 1
		.amdhsa_float_round_mode_32 0
		.amdhsa_float_round_mode_16_64 0
		.amdhsa_float_denorm_mode_32 3
		.amdhsa_float_denorm_mode_16_64 3
		.amdhsa_dx10_clamp 1
		.amdhsa_ieee_mode 1
		.amdhsa_fp16_overflow 0
		.amdhsa_workgroup_processor_mode 1
		.amdhsa_memory_ordered 1
		.amdhsa_forward_progress 0
		.amdhsa_shared_vgpr_count 0
		.amdhsa_exception_fp_ieee_invalid_op 0
		.amdhsa_exception_fp_denorm_src 0
		.amdhsa_exception_fp_ieee_div_zero 0
		.amdhsa_exception_fp_ieee_overflow 0
		.amdhsa_exception_fp_ieee_underflow 0
		.amdhsa_exception_fp_ieee_inexact 0
		.amdhsa_exception_int_div_zero 0
	.end_amdhsa_kernel
	.section	.text._ZN7rocprim17ROCPRIM_400000_NS6detail17trampoline_kernelINS0_14default_configENS1_27lower_bound_config_selectorIslEEZNS1_14transform_implILb0ES3_S5_N6thrust23THRUST_200600_302600_NS17counting_iteratorIsNS8_11use_defaultESA_SA_EEPlZNS1_13binary_searchIS3_S5_PsSB_SC_NS1_21lower_bound_search_opENS8_6detail16wrapped_functionI11custom_lessbEEEE10hipError_tPvRmT1_T2_T3_mmT4_T5_P12ihipStream_tbEUlRKsE_EESK_SO_SP_mSQ_ST_bEUlT_E_NS1_11comp_targetILNS1_3genE9ELNS1_11target_archE1100ELNS1_3gpuE3ELNS1_3repE0EEENS1_30default_config_static_selectorELNS0_4arch9wavefront6targetE0EEEvSN_,"axG",@progbits,_ZN7rocprim17ROCPRIM_400000_NS6detail17trampoline_kernelINS0_14default_configENS1_27lower_bound_config_selectorIslEEZNS1_14transform_implILb0ES3_S5_N6thrust23THRUST_200600_302600_NS17counting_iteratorIsNS8_11use_defaultESA_SA_EEPlZNS1_13binary_searchIS3_S5_PsSB_SC_NS1_21lower_bound_search_opENS8_6detail16wrapped_functionI11custom_lessbEEEE10hipError_tPvRmT1_T2_T3_mmT4_T5_P12ihipStream_tbEUlRKsE_EESK_SO_SP_mSQ_ST_bEUlT_E_NS1_11comp_targetILNS1_3genE9ELNS1_11target_archE1100ELNS1_3gpuE3ELNS1_3repE0EEENS1_30default_config_static_selectorELNS0_4arch9wavefront6targetE0EEEvSN_,comdat
.Lfunc_end86:
	.size	_ZN7rocprim17ROCPRIM_400000_NS6detail17trampoline_kernelINS0_14default_configENS1_27lower_bound_config_selectorIslEEZNS1_14transform_implILb0ES3_S5_N6thrust23THRUST_200600_302600_NS17counting_iteratorIsNS8_11use_defaultESA_SA_EEPlZNS1_13binary_searchIS3_S5_PsSB_SC_NS1_21lower_bound_search_opENS8_6detail16wrapped_functionI11custom_lessbEEEE10hipError_tPvRmT1_T2_T3_mmT4_T5_P12ihipStream_tbEUlRKsE_EESK_SO_SP_mSQ_ST_bEUlT_E_NS1_11comp_targetILNS1_3genE9ELNS1_11target_archE1100ELNS1_3gpuE3ELNS1_3repE0EEENS1_30default_config_static_selectorELNS0_4arch9wavefront6targetE0EEEvSN_, .Lfunc_end86-_ZN7rocprim17ROCPRIM_400000_NS6detail17trampoline_kernelINS0_14default_configENS1_27lower_bound_config_selectorIslEEZNS1_14transform_implILb0ES3_S5_N6thrust23THRUST_200600_302600_NS17counting_iteratorIsNS8_11use_defaultESA_SA_EEPlZNS1_13binary_searchIS3_S5_PsSB_SC_NS1_21lower_bound_search_opENS8_6detail16wrapped_functionI11custom_lessbEEEE10hipError_tPvRmT1_T2_T3_mmT4_T5_P12ihipStream_tbEUlRKsE_EESK_SO_SP_mSQ_ST_bEUlT_E_NS1_11comp_targetILNS1_3genE9ELNS1_11target_archE1100ELNS1_3gpuE3ELNS1_3repE0EEENS1_30default_config_static_selectorELNS0_4arch9wavefront6targetE0EEEvSN_
                                        ; -- End function
	.section	.AMDGPU.csdata,"",@progbits
; Kernel info:
; codeLenInByte = 8612
; NumSgprs: 29
; NumVgprs: 41
; ScratchSize: 0
; MemoryBound: 0
; FloatMode: 240
; IeeeMode: 1
; LDSByteSize: 0 bytes/workgroup (compile time only)
; SGPRBlocks: 3
; VGPRBlocks: 5
; NumSGPRsForWavesPerEU: 29
; NumVGPRsForWavesPerEU: 41
; Occupancy: 16
; WaveLimiterHint : 1
; COMPUTE_PGM_RSRC2:SCRATCH_EN: 0
; COMPUTE_PGM_RSRC2:USER_SGPR: 15
; COMPUTE_PGM_RSRC2:TRAP_HANDLER: 0
; COMPUTE_PGM_RSRC2:TGID_X_EN: 1
; COMPUTE_PGM_RSRC2:TGID_Y_EN: 0
; COMPUTE_PGM_RSRC2:TGID_Z_EN: 0
; COMPUTE_PGM_RSRC2:TIDIG_COMP_CNT: 0
	.section	.text._ZN7rocprim17ROCPRIM_400000_NS6detail17trampoline_kernelINS0_14default_configENS1_27lower_bound_config_selectorIslEEZNS1_14transform_implILb0ES3_S5_N6thrust23THRUST_200600_302600_NS17counting_iteratorIsNS8_11use_defaultESA_SA_EEPlZNS1_13binary_searchIS3_S5_PsSB_SC_NS1_21lower_bound_search_opENS8_6detail16wrapped_functionI11custom_lessbEEEE10hipError_tPvRmT1_T2_T3_mmT4_T5_P12ihipStream_tbEUlRKsE_EESK_SO_SP_mSQ_ST_bEUlT_E_NS1_11comp_targetILNS1_3genE8ELNS1_11target_archE1030ELNS1_3gpuE2ELNS1_3repE0EEENS1_30default_config_static_selectorELNS0_4arch9wavefront6targetE0EEEvSN_,"axG",@progbits,_ZN7rocprim17ROCPRIM_400000_NS6detail17trampoline_kernelINS0_14default_configENS1_27lower_bound_config_selectorIslEEZNS1_14transform_implILb0ES3_S5_N6thrust23THRUST_200600_302600_NS17counting_iteratorIsNS8_11use_defaultESA_SA_EEPlZNS1_13binary_searchIS3_S5_PsSB_SC_NS1_21lower_bound_search_opENS8_6detail16wrapped_functionI11custom_lessbEEEE10hipError_tPvRmT1_T2_T3_mmT4_T5_P12ihipStream_tbEUlRKsE_EESK_SO_SP_mSQ_ST_bEUlT_E_NS1_11comp_targetILNS1_3genE8ELNS1_11target_archE1030ELNS1_3gpuE2ELNS1_3repE0EEENS1_30default_config_static_selectorELNS0_4arch9wavefront6targetE0EEEvSN_,comdat
	.protected	_ZN7rocprim17ROCPRIM_400000_NS6detail17trampoline_kernelINS0_14default_configENS1_27lower_bound_config_selectorIslEEZNS1_14transform_implILb0ES3_S5_N6thrust23THRUST_200600_302600_NS17counting_iteratorIsNS8_11use_defaultESA_SA_EEPlZNS1_13binary_searchIS3_S5_PsSB_SC_NS1_21lower_bound_search_opENS8_6detail16wrapped_functionI11custom_lessbEEEE10hipError_tPvRmT1_T2_T3_mmT4_T5_P12ihipStream_tbEUlRKsE_EESK_SO_SP_mSQ_ST_bEUlT_E_NS1_11comp_targetILNS1_3genE8ELNS1_11target_archE1030ELNS1_3gpuE2ELNS1_3repE0EEENS1_30default_config_static_selectorELNS0_4arch9wavefront6targetE0EEEvSN_ ; -- Begin function _ZN7rocprim17ROCPRIM_400000_NS6detail17trampoline_kernelINS0_14default_configENS1_27lower_bound_config_selectorIslEEZNS1_14transform_implILb0ES3_S5_N6thrust23THRUST_200600_302600_NS17counting_iteratorIsNS8_11use_defaultESA_SA_EEPlZNS1_13binary_searchIS3_S5_PsSB_SC_NS1_21lower_bound_search_opENS8_6detail16wrapped_functionI11custom_lessbEEEE10hipError_tPvRmT1_T2_T3_mmT4_T5_P12ihipStream_tbEUlRKsE_EESK_SO_SP_mSQ_ST_bEUlT_E_NS1_11comp_targetILNS1_3genE8ELNS1_11target_archE1030ELNS1_3gpuE2ELNS1_3repE0EEENS1_30default_config_static_selectorELNS0_4arch9wavefront6targetE0EEEvSN_
	.globl	_ZN7rocprim17ROCPRIM_400000_NS6detail17trampoline_kernelINS0_14default_configENS1_27lower_bound_config_selectorIslEEZNS1_14transform_implILb0ES3_S5_N6thrust23THRUST_200600_302600_NS17counting_iteratorIsNS8_11use_defaultESA_SA_EEPlZNS1_13binary_searchIS3_S5_PsSB_SC_NS1_21lower_bound_search_opENS8_6detail16wrapped_functionI11custom_lessbEEEE10hipError_tPvRmT1_T2_T3_mmT4_T5_P12ihipStream_tbEUlRKsE_EESK_SO_SP_mSQ_ST_bEUlT_E_NS1_11comp_targetILNS1_3genE8ELNS1_11target_archE1030ELNS1_3gpuE2ELNS1_3repE0EEENS1_30default_config_static_selectorELNS0_4arch9wavefront6targetE0EEEvSN_
	.p2align	8
	.type	_ZN7rocprim17ROCPRIM_400000_NS6detail17trampoline_kernelINS0_14default_configENS1_27lower_bound_config_selectorIslEEZNS1_14transform_implILb0ES3_S5_N6thrust23THRUST_200600_302600_NS17counting_iteratorIsNS8_11use_defaultESA_SA_EEPlZNS1_13binary_searchIS3_S5_PsSB_SC_NS1_21lower_bound_search_opENS8_6detail16wrapped_functionI11custom_lessbEEEE10hipError_tPvRmT1_T2_T3_mmT4_T5_P12ihipStream_tbEUlRKsE_EESK_SO_SP_mSQ_ST_bEUlT_E_NS1_11comp_targetILNS1_3genE8ELNS1_11target_archE1030ELNS1_3gpuE2ELNS1_3repE0EEENS1_30default_config_static_selectorELNS0_4arch9wavefront6targetE0EEEvSN_,@function
_ZN7rocprim17ROCPRIM_400000_NS6detail17trampoline_kernelINS0_14default_configENS1_27lower_bound_config_selectorIslEEZNS1_14transform_implILb0ES3_S5_N6thrust23THRUST_200600_302600_NS17counting_iteratorIsNS8_11use_defaultESA_SA_EEPlZNS1_13binary_searchIS3_S5_PsSB_SC_NS1_21lower_bound_search_opENS8_6detail16wrapped_functionI11custom_lessbEEEE10hipError_tPvRmT1_T2_T3_mmT4_T5_P12ihipStream_tbEUlRKsE_EESK_SO_SP_mSQ_ST_bEUlT_E_NS1_11comp_targetILNS1_3genE8ELNS1_11target_archE1030ELNS1_3gpuE2ELNS1_3repE0EEENS1_30default_config_static_selectorELNS0_4arch9wavefront6targetE0EEEvSN_: ; @_ZN7rocprim17ROCPRIM_400000_NS6detail17trampoline_kernelINS0_14default_configENS1_27lower_bound_config_selectorIslEEZNS1_14transform_implILb0ES3_S5_N6thrust23THRUST_200600_302600_NS17counting_iteratorIsNS8_11use_defaultESA_SA_EEPlZNS1_13binary_searchIS3_S5_PsSB_SC_NS1_21lower_bound_search_opENS8_6detail16wrapped_functionI11custom_lessbEEEE10hipError_tPvRmT1_T2_T3_mmT4_T5_P12ihipStream_tbEUlRKsE_EESK_SO_SP_mSQ_ST_bEUlT_E_NS1_11comp_targetILNS1_3genE8ELNS1_11target_archE1030ELNS1_3gpuE2ELNS1_3repE0EEENS1_30default_config_static_selectorELNS0_4arch9wavefront6targetE0EEEvSN_
; %bb.0:
	.section	.rodata,"a",@progbits
	.p2align	6, 0x0
	.amdhsa_kernel _ZN7rocprim17ROCPRIM_400000_NS6detail17trampoline_kernelINS0_14default_configENS1_27lower_bound_config_selectorIslEEZNS1_14transform_implILb0ES3_S5_N6thrust23THRUST_200600_302600_NS17counting_iteratorIsNS8_11use_defaultESA_SA_EEPlZNS1_13binary_searchIS3_S5_PsSB_SC_NS1_21lower_bound_search_opENS8_6detail16wrapped_functionI11custom_lessbEEEE10hipError_tPvRmT1_T2_T3_mmT4_T5_P12ihipStream_tbEUlRKsE_EESK_SO_SP_mSQ_ST_bEUlT_E_NS1_11comp_targetILNS1_3genE8ELNS1_11target_archE1030ELNS1_3gpuE2ELNS1_3repE0EEENS1_30default_config_static_selectorELNS0_4arch9wavefront6targetE0EEEvSN_
		.amdhsa_group_segment_fixed_size 0
		.amdhsa_private_segment_fixed_size 0
		.amdhsa_kernarg_size 56
		.amdhsa_user_sgpr_count 15
		.amdhsa_user_sgpr_dispatch_ptr 0
		.amdhsa_user_sgpr_queue_ptr 0
		.amdhsa_user_sgpr_kernarg_segment_ptr 1
		.amdhsa_user_sgpr_dispatch_id 0
		.amdhsa_user_sgpr_private_segment_size 0
		.amdhsa_wavefront_size32 1
		.amdhsa_uses_dynamic_stack 0
		.amdhsa_enable_private_segment 0
		.amdhsa_system_sgpr_workgroup_id_x 1
		.amdhsa_system_sgpr_workgroup_id_y 0
		.amdhsa_system_sgpr_workgroup_id_z 0
		.amdhsa_system_sgpr_workgroup_info 0
		.amdhsa_system_vgpr_workitem_id 0
		.amdhsa_next_free_vgpr 1
		.amdhsa_next_free_sgpr 1
		.amdhsa_reserve_vcc 0
		.amdhsa_float_round_mode_32 0
		.amdhsa_float_round_mode_16_64 0
		.amdhsa_float_denorm_mode_32 3
		.amdhsa_float_denorm_mode_16_64 3
		.amdhsa_dx10_clamp 1
		.amdhsa_ieee_mode 1
		.amdhsa_fp16_overflow 0
		.amdhsa_workgroup_processor_mode 1
		.amdhsa_memory_ordered 1
		.amdhsa_forward_progress 0
		.amdhsa_shared_vgpr_count 0
		.amdhsa_exception_fp_ieee_invalid_op 0
		.amdhsa_exception_fp_denorm_src 0
		.amdhsa_exception_fp_ieee_div_zero 0
		.amdhsa_exception_fp_ieee_overflow 0
		.amdhsa_exception_fp_ieee_underflow 0
		.amdhsa_exception_fp_ieee_inexact 0
		.amdhsa_exception_int_div_zero 0
	.end_amdhsa_kernel
	.section	.text._ZN7rocprim17ROCPRIM_400000_NS6detail17trampoline_kernelINS0_14default_configENS1_27lower_bound_config_selectorIslEEZNS1_14transform_implILb0ES3_S5_N6thrust23THRUST_200600_302600_NS17counting_iteratorIsNS8_11use_defaultESA_SA_EEPlZNS1_13binary_searchIS3_S5_PsSB_SC_NS1_21lower_bound_search_opENS8_6detail16wrapped_functionI11custom_lessbEEEE10hipError_tPvRmT1_T2_T3_mmT4_T5_P12ihipStream_tbEUlRKsE_EESK_SO_SP_mSQ_ST_bEUlT_E_NS1_11comp_targetILNS1_3genE8ELNS1_11target_archE1030ELNS1_3gpuE2ELNS1_3repE0EEENS1_30default_config_static_selectorELNS0_4arch9wavefront6targetE0EEEvSN_,"axG",@progbits,_ZN7rocprim17ROCPRIM_400000_NS6detail17trampoline_kernelINS0_14default_configENS1_27lower_bound_config_selectorIslEEZNS1_14transform_implILb0ES3_S5_N6thrust23THRUST_200600_302600_NS17counting_iteratorIsNS8_11use_defaultESA_SA_EEPlZNS1_13binary_searchIS3_S5_PsSB_SC_NS1_21lower_bound_search_opENS8_6detail16wrapped_functionI11custom_lessbEEEE10hipError_tPvRmT1_T2_T3_mmT4_T5_P12ihipStream_tbEUlRKsE_EESK_SO_SP_mSQ_ST_bEUlT_E_NS1_11comp_targetILNS1_3genE8ELNS1_11target_archE1030ELNS1_3gpuE2ELNS1_3repE0EEENS1_30default_config_static_selectorELNS0_4arch9wavefront6targetE0EEEvSN_,comdat
.Lfunc_end87:
	.size	_ZN7rocprim17ROCPRIM_400000_NS6detail17trampoline_kernelINS0_14default_configENS1_27lower_bound_config_selectorIslEEZNS1_14transform_implILb0ES3_S5_N6thrust23THRUST_200600_302600_NS17counting_iteratorIsNS8_11use_defaultESA_SA_EEPlZNS1_13binary_searchIS3_S5_PsSB_SC_NS1_21lower_bound_search_opENS8_6detail16wrapped_functionI11custom_lessbEEEE10hipError_tPvRmT1_T2_T3_mmT4_T5_P12ihipStream_tbEUlRKsE_EESK_SO_SP_mSQ_ST_bEUlT_E_NS1_11comp_targetILNS1_3genE8ELNS1_11target_archE1030ELNS1_3gpuE2ELNS1_3repE0EEENS1_30default_config_static_selectorELNS0_4arch9wavefront6targetE0EEEvSN_, .Lfunc_end87-_ZN7rocprim17ROCPRIM_400000_NS6detail17trampoline_kernelINS0_14default_configENS1_27lower_bound_config_selectorIslEEZNS1_14transform_implILb0ES3_S5_N6thrust23THRUST_200600_302600_NS17counting_iteratorIsNS8_11use_defaultESA_SA_EEPlZNS1_13binary_searchIS3_S5_PsSB_SC_NS1_21lower_bound_search_opENS8_6detail16wrapped_functionI11custom_lessbEEEE10hipError_tPvRmT1_T2_T3_mmT4_T5_P12ihipStream_tbEUlRKsE_EESK_SO_SP_mSQ_ST_bEUlT_E_NS1_11comp_targetILNS1_3genE8ELNS1_11target_archE1030ELNS1_3gpuE2ELNS1_3repE0EEENS1_30default_config_static_selectorELNS0_4arch9wavefront6targetE0EEEvSN_
                                        ; -- End function
	.section	.AMDGPU.csdata,"",@progbits
; Kernel info:
; codeLenInByte = 0
; NumSgprs: 0
; NumVgprs: 0
; ScratchSize: 0
; MemoryBound: 0
; FloatMode: 240
; IeeeMode: 1
; LDSByteSize: 0 bytes/workgroup (compile time only)
; SGPRBlocks: 0
; VGPRBlocks: 0
; NumSGPRsForWavesPerEU: 1
; NumVGPRsForWavesPerEU: 1
; Occupancy: 16
; WaveLimiterHint : 0
; COMPUTE_PGM_RSRC2:SCRATCH_EN: 0
; COMPUTE_PGM_RSRC2:USER_SGPR: 15
; COMPUTE_PGM_RSRC2:TRAP_HANDLER: 0
; COMPUTE_PGM_RSRC2:TGID_X_EN: 1
; COMPUTE_PGM_RSRC2:TGID_Y_EN: 0
; COMPUTE_PGM_RSRC2:TGID_Z_EN: 0
; COMPUTE_PGM_RSRC2:TIDIG_COMP_CNT: 0
	.section	.text._Z18upper_bound_kernelIdEvmPT_Pl,"axG",@progbits,_Z18upper_bound_kernelIdEvmPT_Pl,comdat
	.protected	_Z18upper_bound_kernelIdEvmPT_Pl ; -- Begin function _Z18upper_bound_kernelIdEvmPT_Pl
	.globl	_Z18upper_bound_kernelIdEvmPT_Pl
	.p2align	8
	.type	_Z18upper_bound_kernelIdEvmPT_Pl,@function
_Z18upper_bound_kernelIdEvmPT_Pl:       ; @_Z18upper_bound_kernelIdEvmPT_Pl
; %bb.0:
	s_clause 0x1
	s_load_b128 s[4:7], s[0:1], 0x0
	s_load_b64 s[2:3], s[0:1], 0x10
	v_mov_b32_e32 v0, 0
	v_mov_b32_e32 v1, 0
	s_waitcnt lgkmcnt(0)
	v_cmp_gt_i64_e64 s0, s[4:5], 0
	s_delay_alu instid0(VALU_DEP_1) | instskip(NEXT) | instid1(VALU_DEP_1)
	v_cndmask_b32_e64 v2, 0, 1, s0
	v_cmp_ne_u32_e64 s0, 1, v2
	v_mov_b32_e32 v2, 0
	s_branch .LBB88_2
.LBB88_1:                               ;   in Loop: Header=BB88_2 Depth=1
	v_add_f64 v[0:1], v[0:1], 1.0
	s_delay_alu instid0(VALU_DEP_1) | instskip(NEXT) | instid1(VALU_DEP_1)
	v_add_f64 v[3:4], 0x40240000, -v[0:1]
	v_trunc_f64_e32 v[3:4], v[3:4]
	s_delay_alu instid0(VALU_DEP_1) | instskip(NEXT) | instid1(VALU_DEP_1)
	v_ldexp_f64 v[5:6], v[3:4], 0xffffffe0
	v_floor_f64_e32 v[5:6], v[5:6]
	s_delay_alu instid0(VALU_DEP_1) | instskip(NEXT) | instid1(VALU_DEP_1)
	v_fma_f64 v[3:4], 0xc1f00000, v[5:6], v[3:4]
	v_cvt_u32_f64_e32 v3, v[3:4]
	v_cvt_i32_f64_e32 v4, v[5:6]
	v_dual_mov_b32 v5, s8 :: v_dual_mov_b32 v6, s9
	global_store_b64 v2, v[5:6], s[2:3]
	s_add_u32 s2, s2, 8
	s_addc_u32 s3, s3, 0
	v_cmp_ne_u64_e32 vcc_lo, 0, v[3:4]
	s_cbranch_vccz .LBB88_5
.LBB88_2:                               ; =>This Loop Header: Depth=1
                                        ;     Child Loop BB88_4 Depth 2
	s_delay_alu instid0(VALU_DEP_2)
	s_and_b32 vcc_lo, exec_lo, s0
	s_mov_b64 s[8:9], 0
	s_cbranch_vccnz .LBB88_1
; %bb.3:                                ;   in Loop: Header=BB88_2 Depth=1
	s_mov_b64 s[10:11], s[4:5]
	.p2align	6
.LBB88_4:                               ;   Parent Loop BB88_2 Depth=1
                                        ; =>  This Inner Loop Header: Depth=2
	s_delay_alu instid0(SALU_CYCLE_1) | instskip(SKIP_1) | instid1(SALU_CYCLE_1)
	s_sub_u32 s1, s10, s8
	s_subb_u32 s13, s11, s9
	s_lshr_b32 s12, s13, 31
	s_delay_alu instid0(SALU_CYCLE_1) | instskip(SKIP_1) | instid1(SALU_CYCLE_1)
	s_add_u32 s12, s1, s12
	s_addc_u32 s13, s13, 0
	s_ashr_i64 s[12:13], s[12:13], 1
	s_delay_alu instid0(SALU_CYCLE_1) | instskip(SKIP_1) | instid1(SALU_CYCLE_1)
	s_add_u32 s12, s12, s8
	s_addc_u32 s13, s13, s9
	s_lshl_b64 s[14:15], s[12:13], 3
	s_delay_alu instid0(SALU_CYCLE_1)
	s_add_u32 s14, s6, s14
	s_addc_u32 s15, s7, s15
	s_add_u32 s1, s12, 1
	s_load_b64 s[14:15], s[14:15], 0x0
	s_waitcnt lgkmcnt(0)
	v_cmp_gt_f64_e32 vcc_lo, s[14:15], v[0:1]
	s_addc_u32 s14, s13, 0
	s_and_b32 s15, vcc_lo, exec_lo
	s_cselect_b32 s9, s9, s14
	s_cselect_b32 s8, s8, s1
	;; [unrolled: 1-line block ×4, first 2 shown]
	s_delay_alu instid0(SALU_CYCLE_1) | instskip(NEXT) | instid1(VALU_DEP_1)
	v_cmp_lt_i64_e64 s1, s[8:9], s[10:11]
	s_and_b32 vcc_lo, exec_lo, s1
	s_cbranch_vccnz .LBB88_4
	s_branch .LBB88_1
.LBB88_5:
	s_nop 0
	s_sendmsg sendmsg(MSG_DEALLOC_VGPRS)
	s_endpgm
	.section	.rodata,"a",@progbits
	.p2align	6, 0x0
	.amdhsa_kernel _Z18upper_bound_kernelIdEvmPT_Pl
		.amdhsa_group_segment_fixed_size 0
		.amdhsa_private_segment_fixed_size 0
		.amdhsa_kernarg_size 24
		.amdhsa_user_sgpr_count 15
		.amdhsa_user_sgpr_dispatch_ptr 0
		.amdhsa_user_sgpr_queue_ptr 0
		.amdhsa_user_sgpr_kernarg_segment_ptr 1
		.amdhsa_user_sgpr_dispatch_id 0
		.amdhsa_user_sgpr_private_segment_size 0
		.amdhsa_wavefront_size32 1
		.amdhsa_uses_dynamic_stack 0
		.amdhsa_enable_private_segment 0
		.amdhsa_system_sgpr_workgroup_id_x 1
		.amdhsa_system_sgpr_workgroup_id_y 0
		.amdhsa_system_sgpr_workgroup_id_z 0
		.amdhsa_system_sgpr_workgroup_info 0
		.amdhsa_system_vgpr_workitem_id 0
		.amdhsa_next_free_vgpr 7
		.amdhsa_next_free_sgpr 16
		.amdhsa_reserve_vcc 1
		.amdhsa_float_round_mode_32 0
		.amdhsa_float_round_mode_16_64 0
		.amdhsa_float_denorm_mode_32 3
		.amdhsa_float_denorm_mode_16_64 3
		.amdhsa_dx10_clamp 1
		.amdhsa_ieee_mode 1
		.amdhsa_fp16_overflow 0
		.amdhsa_workgroup_processor_mode 1
		.amdhsa_memory_ordered 1
		.amdhsa_forward_progress 0
		.amdhsa_shared_vgpr_count 0
		.amdhsa_exception_fp_ieee_invalid_op 0
		.amdhsa_exception_fp_denorm_src 0
		.amdhsa_exception_fp_ieee_div_zero 0
		.amdhsa_exception_fp_ieee_overflow 0
		.amdhsa_exception_fp_ieee_underflow 0
		.amdhsa_exception_fp_ieee_inexact 0
		.amdhsa_exception_int_div_zero 0
	.end_amdhsa_kernel
	.section	.text._Z18upper_bound_kernelIdEvmPT_Pl,"axG",@progbits,_Z18upper_bound_kernelIdEvmPT_Pl,comdat
.Lfunc_end88:
	.size	_Z18upper_bound_kernelIdEvmPT_Pl, .Lfunc_end88-_Z18upper_bound_kernelIdEvmPT_Pl
                                        ; -- End function
	.section	.AMDGPU.csdata,"",@progbits
; Kernel info:
; codeLenInByte = 332
; NumSgprs: 18
; NumVgprs: 7
; ScratchSize: 0
; MemoryBound: 0
; FloatMode: 240
; IeeeMode: 1
; LDSByteSize: 0 bytes/workgroup (compile time only)
; SGPRBlocks: 2
; VGPRBlocks: 0
; NumSGPRsForWavesPerEU: 18
; NumVGPRsForWavesPerEU: 7
; Occupancy: 16
; WaveLimiterHint : 0
; COMPUTE_PGM_RSRC2:SCRATCH_EN: 0
; COMPUTE_PGM_RSRC2:USER_SGPR: 15
; COMPUTE_PGM_RSRC2:TRAP_HANDLER: 0
; COMPUTE_PGM_RSRC2:TGID_X_EN: 1
; COMPUTE_PGM_RSRC2:TGID_Y_EN: 0
; COMPUTE_PGM_RSRC2:TGID_Z_EN: 0
; COMPUTE_PGM_RSRC2:TIDIG_COMP_CNT: 0
	.section	.text._ZN7rocprim17ROCPRIM_400000_NS6detail17trampoline_kernelINS0_14default_configENS1_27upper_bound_config_selectorIdlEEZNS1_14transform_implILb0ES3_S5_N6thrust23THRUST_200600_302600_NS17counting_iteratorIdNS8_11use_defaultESA_SA_EEPlZNS1_13binary_searchIS3_S5_PdSB_SC_NS1_21upper_bound_search_opENS8_6detail16wrapped_functionINS0_4lessIvEEbEEEE10hipError_tPvRmT1_T2_T3_mmT4_T5_P12ihipStream_tbEUlRKdE_EESL_SP_SQ_mSR_SU_bEUlT_E_NS1_11comp_targetILNS1_3genE0ELNS1_11target_archE4294967295ELNS1_3gpuE0ELNS1_3repE0EEENS1_30default_config_static_selectorELNS0_4arch9wavefront6targetE0EEEvSO_,"axG",@progbits,_ZN7rocprim17ROCPRIM_400000_NS6detail17trampoline_kernelINS0_14default_configENS1_27upper_bound_config_selectorIdlEEZNS1_14transform_implILb0ES3_S5_N6thrust23THRUST_200600_302600_NS17counting_iteratorIdNS8_11use_defaultESA_SA_EEPlZNS1_13binary_searchIS3_S5_PdSB_SC_NS1_21upper_bound_search_opENS8_6detail16wrapped_functionINS0_4lessIvEEbEEEE10hipError_tPvRmT1_T2_T3_mmT4_T5_P12ihipStream_tbEUlRKdE_EESL_SP_SQ_mSR_SU_bEUlT_E_NS1_11comp_targetILNS1_3genE0ELNS1_11target_archE4294967295ELNS1_3gpuE0ELNS1_3repE0EEENS1_30default_config_static_selectorELNS0_4arch9wavefront6targetE0EEEvSO_,comdat
	.protected	_ZN7rocprim17ROCPRIM_400000_NS6detail17trampoline_kernelINS0_14default_configENS1_27upper_bound_config_selectorIdlEEZNS1_14transform_implILb0ES3_S5_N6thrust23THRUST_200600_302600_NS17counting_iteratorIdNS8_11use_defaultESA_SA_EEPlZNS1_13binary_searchIS3_S5_PdSB_SC_NS1_21upper_bound_search_opENS8_6detail16wrapped_functionINS0_4lessIvEEbEEEE10hipError_tPvRmT1_T2_T3_mmT4_T5_P12ihipStream_tbEUlRKdE_EESL_SP_SQ_mSR_SU_bEUlT_E_NS1_11comp_targetILNS1_3genE0ELNS1_11target_archE4294967295ELNS1_3gpuE0ELNS1_3repE0EEENS1_30default_config_static_selectorELNS0_4arch9wavefront6targetE0EEEvSO_ ; -- Begin function _ZN7rocprim17ROCPRIM_400000_NS6detail17trampoline_kernelINS0_14default_configENS1_27upper_bound_config_selectorIdlEEZNS1_14transform_implILb0ES3_S5_N6thrust23THRUST_200600_302600_NS17counting_iteratorIdNS8_11use_defaultESA_SA_EEPlZNS1_13binary_searchIS3_S5_PdSB_SC_NS1_21upper_bound_search_opENS8_6detail16wrapped_functionINS0_4lessIvEEbEEEE10hipError_tPvRmT1_T2_T3_mmT4_T5_P12ihipStream_tbEUlRKdE_EESL_SP_SQ_mSR_SU_bEUlT_E_NS1_11comp_targetILNS1_3genE0ELNS1_11target_archE4294967295ELNS1_3gpuE0ELNS1_3repE0EEENS1_30default_config_static_selectorELNS0_4arch9wavefront6targetE0EEEvSO_
	.globl	_ZN7rocprim17ROCPRIM_400000_NS6detail17trampoline_kernelINS0_14default_configENS1_27upper_bound_config_selectorIdlEEZNS1_14transform_implILb0ES3_S5_N6thrust23THRUST_200600_302600_NS17counting_iteratorIdNS8_11use_defaultESA_SA_EEPlZNS1_13binary_searchIS3_S5_PdSB_SC_NS1_21upper_bound_search_opENS8_6detail16wrapped_functionINS0_4lessIvEEbEEEE10hipError_tPvRmT1_T2_T3_mmT4_T5_P12ihipStream_tbEUlRKdE_EESL_SP_SQ_mSR_SU_bEUlT_E_NS1_11comp_targetILNS1_3genE0ELNS1_11target_archE4294967295ELNS1_3gpuE0ELNS1_3repE0EEENS1_30default_config_static_selectorELNS0_4arch9wavefront6targetE0EEEvSO_
	.p2align	8
	.type	_ZN7rocprim17ROCPRIM_400000_NS6detail17trampoline_kernelINS0_14default_configENS1_27upper_bound_config_selectorIdlEEZNS1_14transform_implILb0ES3_S5_N6thrust23THRUST_200600_302600_NS17counting_iteratorIdNS8_11use_defaultESA_SA_EEPlZNS1_13binary_searchIS3_S5_PdSB_SC_NS1_21upper_bound_search_opENS8_6detail16wrapped_functionINS0_4lessIvEEbEEEE10hipError_tPvRmT1_T2_T3_mmT4_T5_P12ihipStream_tbEUlRKdE_EESL_SP_SQ_mSR_SU_bEUlT_E_NS1_11comp_targetILNS1_3genE0ELNS1_11target_archE4294967295ELNS1_3gpuE0ELNS1_3repE0EEENS1_30default_config_static_selectorELNS0_4arch9wavefront6targetE0EEEvSO_,@function
_ZN7rocprim17ROCPRIM_400000_NS6detail17trampoline_kernelINS0_14default_configENS1_27upper_bound_config_selectorIdlEEZNS1_14transform_implILb0ES3_S5_N6thrust23THRUST_200600_302600_NS17counting_iteratorIdNS8_11use_defaultESA_SA_EEPlZNS1_13binary_searchIS3_S5_PdSB_SC_NS1_21upper_bound_search_opENS8_6detail16wrapped_functionINS0_4lessIvEEbEEEE10hipError_tPvRmT1_T2_T3_mmT4_T5_P12ihipStream_tbEUlRKdE_EESL_SP_SQ_mSR_SU_bEUlT_E_NS1_11comp_targetILNS1_3genE0ELNS1_11target_archE4294967295ELNS1_3gpuE0ELNS1_3repE0EEENS1_30default_config_static_selectorELNS0_4arch9wavefront6targetE0EEEvSO_: ; @_ZN7rocprim17ROCPRIM_400000_NS6detail17trampoline_kernelINS0_14default_configENS1_27upper_bound_config_selectorIdlEEZNS1_14transform_implILb0ES3_S5_N6thrust23THRUST_200600_302600_NS17counting_iteratorIdNS8_11use_defaultESA_SA_EEPlZNS1_13binary_searchIS3_S5_PdSB_SC_NS1_21upper_bound_search_opENS8_6detail16wrapped_functionINS0_4lessIvEEbEEEE10hipError_tPvRmT1_T2_T3_mmT4_T5_P12ihipStream_tbEUlRKdE_EESL_SP_SQ_mSR_SU_bEUlT_E_NS1_11comp_targetILNS1_3genE0ELNS1_11target_archE4294967295ELNS1_3gpuE0ELNS1_3repE0EEENS1_30default_config_static_selectorELNS0_4arch9wavefront6targetE0EEEvSO_
; %bb.0:
	.section	.rodata,"a",@progbits
	.p2align	6, 0x0
	.amdhsa_kernel _ZN7rocprim17ROCPRIM_400000_NS6detail17trampoline_kernelINS0_14default_configENS1_27upper_bound_config_selectorIdlEEZNS1_14transform_implILb0ES3_S5_N6thrust23THRUST_200600_302600_NS17counting_iteratorIdNS8_11use_defaultESA_SA_EEPlZNS1_13binary_searchIS3_S5_PdSB_SC_NS1_21upper_bound_search_opENS8_6detail16wrapped_functionINS0_4lessIvEEbEEEE10hipError_tPvRmT1_T2_T3_mmT4_T5_P12ihipStream_tbEUlRKdE_EESL_SP_SQ_mSR_SU_bEUlT_E_NS1_11comp_targetILNS1_3genE0ELNS1_11target_archE4294967295ELNS1_3gpuE0ELNS1_3repE0EEENS1_30default_config_static_selectorELNS0_4arch9wavefront6targetE0EEEvSO_
		.amdhsa_group_segment_fixed_size 0
		.amdhsa_private_segment_fixed_size 0
		.amdhsa_kernarg_size 56
		.amdhsa_user_sgpr_count 15
		.amdhsa_user_sgpr_dispatch_ptr 0
		.amdhsa_user_sgpr_queue_ptr 0
		.amdhsa_user_sgpr_kernarg_segment_ptr 1
		.amdhsa_user_sgpr_dispatch_id 0
		.amdhsa_user_sgpr_private_segment_size 0
		.amdhsa_wavefront_size32 1
		.amdhsa_uses_dynamic_stack 0
		.amdhsa_enable_private_segment 0
		.amdhsa_system_sgpr_workgroup_id_x 1
		.amdhsa_system_sgpr_workgroup_id_y 0
		.amdhsa_system_sgpr_workgroup_id_z 0
		.amdhsa_system_sgpr_workgroup_info 0
		.amdhsa_system_vgpr_workitem_id 0
		.amdhsa_next_free_vgpr 1
		.amdhsa_next_free_sgpr 1
		.amdhsa_reserve_vcc 0
		.amdhsa_float_round_mode_32 0
		.amdhsa_float_round_mode_16_64 0
		.amdhsa_float_denorm_mode_32 3
		.amdhsa_float_denorm_mode_16_64 3
		.amdhsa_dx10_clamp 1
		.amdhsa_ieee_mode 1
		.amdhsa_fp16_overflow 0
		.amdhsa_workgroup_processor_mode 1
		.amdhsa_memory_ordered 1
		.amdhsa_forward_progress 0
		.amdhsa_shared_vgpr_count 0
		.amdhsa_exception_fp_ieee_invalid_op 0
		.amdhsa_exception_fp_denorm_src 0
		.amdhsa_exception_fp_ieee_div_zero 0
		.amdhsa_exception_fp_ieee_overflow 0
		.amdhsa_exception_fp_ieee_underflow 0
		.amdhsa_exception_fp_ieee_inexact 0
		.amdhsa_exception_int_div_zero 0
	.end_amdhsa_kernel
	.section	.text._ZN7rocprim17ROCPRIM_400000_NS6detail17trampoline_kernelINS0_14default_configENS1_27upper_bound_config_selectorIdlEEZNS1_14transform_implILb0ES3_S5_N6thrust23THRUST_200600_302600_NS17counting_iteratorIdNS8_11use_defaultESA_SA_EEPlZNS1_13binary_searchIS3_S5_PdSB_SC_NS1_21upper_bound_search_opENS8_6detail16wrapped_functionINS0_4lessIvEEbEEEE10hipError_tPvRmT1_T2_T3_mmT4_T5_P12ihipStream_tbEUlRKdE_EESL_SP_SQ_mSR_SU_bEUlT_E_NS1_11comp_targetILNS1_3genE0ELNS1_11target_archE4294967295ELNS1_3gpuE0ELNS1_3repE0EEENS1_30default_config_static_selectorELNS0_4arch9wavefront6targetE0EEEvSO_,"axG",@progbits,_ZN7rocprim17ROCPRIM_400000_NS6detail17trampoline_kernelINS0_14default_configENS1_27upper_bound_config_selectorIdlEEZNS1_14transform_implILb0ES3_S5_N6thrust23THRUST_200600_302600_NS17counting_iteratorIdNS8_11use_defaultESA_SA_EEPlZNS1_13binary_searchIS3_S5_PdSB_SC_NS1_21upper_bound_search_opENS8_6detail16wrapped_functionINS0_4lessIvEEbEEEE10hipError_tPvRmT1_T2_T3_mmT4_T5_P12ihipStream_tbEUlRKdE_EESL_SP_SQ_mSR_SU_bEUlT_E_NS1_11comp_targetILNS1_3genE0ELNS1_11target_archE4294967295ELNS1_3gpuE0ELNS1_3repE0EEENS1_30default_config_static_selectorELNS0_4arch9wavefront6targetE0EEEvSO_,comdat
.Lfunc_end89:
	.size	_ZN7rocprim17ROCPRIM_400000_NS6detail17trampoline_kernelINS0_14default_configENS1_27upper_bound_config_selectorIdlEEZNS1_14transform_implILb0ES3_S5_N6thrust23THRUST_200600_302600_NS17counting_iteratorIdNS8_11use_defaultESA_SA_EEPlZNS1_13binary_searchIS3_S5_PdSB_SC_NS1_21upper_bound_search_opENS8_6detail16wrapped_functionINS0_4lessIvEEbEEEE10hipError_tPvRmT1_T2_T3_mmT4_T5_P12ihipStream_tbEUlRKdE_EESL_SP_SQ_mSR_SU_bEUlT_E_NS1_11comp_targetILNS1_3genE0ELNS1_11target_archE4294967295ELNS1_3gpuE0ELNS1_3repE0EEENS1_30default_config_static_selectorELNS0_4arch9wavefront6targetE0EEEvSO_, .Lfunc_end89-_ZN7rocprim17ROCPRIM_400000_NS6detail17trampoline_kernelINS0_14default_configENS1_27upper_bound_config_selectorIdlEEZNS1_14transform_implILb0ES3_S5_N6thrust23THRUST_200600_302600_NS17counting_iteratorIdNS8_11use_defaultESA_SA_EEPlZNS1_13binary_searchIS3_S5_PdSB_SC_NS1_21upper_bound_search_opENS8_6detail16wrapped_functionINS0_4lessIvEEbEEEE10hipError_tPvRmT1_T2_T3_mmT4_T5_P12ihipStream_tbEUlRKdE_EESL_SP_SQ_mSR_SU_bEUlT_E_NS1_11comp_targetILNS1_3genE0ELNS1_11target_archE4294967295ELNS1_3gpuE0ELNS1_3repE0EEENS1_30default_config_static_selectorELNS0_4arch9wavefront6targetE0EEEvSO_
                                        ; -- End function
	.section	.AMDGPU.csdata,"",@progbits
; Kernel info:
; codeLenInByte = 0
; NumSgprs: 0
; NumVgprs: 0
; ScratchSize: 0
; MemoryBound: 0
; FloatMode: 240
; IeeeMode: 1
; LDSByteSize: 0 bytes/workgroup (compile time only)
; SGPRBlocks: 0
; VGPRBlocks: 0
; NumSGPRsForWavesPerEU: 1
; NumVGPRsForWavesPerEU: 1
; Occupancy: 16
; WaveLimiterHint : 0
; COMPUTE_PGM_RSRC2:SCRATCH_EN: 0
; COMPUTE_PGM_RSRC2:USER_SGPR: 15
; COMPUTE_PGM_RSRC2:TRAP_HANDLER: 0
; COMPUTE_PGM_RSRC2:TGID_X_EN: 1
; COMPUTE_PGM_RSRC2:TGID_Y_EN: 0
; COMPUTE_PGM_RSRC2:TGID_Z_EN: 0
; COMPUTE_PGM_RSRC2:TIDIG_COMP_CNT: 0
	.section	.text._ZN7rocprim17ROCPRIM_400000_NS6detail17trampoline_kernelINS0_14default_configENS1_27upper_bound_config_selectorIdlEEZNS1_14transform_implILb0ES3_S5_N6thrust23THRUST_200600_302600_NS17counting_iteratorIdNS8_11use_defaultESA_SA_EEPlZNS1_13binary_searchIS3_S5_PdSB_SC_NS1_21upper_bound_search_opENS8_6detail16wrapped_functionINS0_4lessIvEEbEEEE10hipError_tPvRmT1_T2_T3_mmT4_T5_P12ihipStream_tbEUlRKdE_EESL_SP_SQ_mSR_SU_bEUlT_E_NS1_11comp_targetILNS1_3genE5ELNS1_11target_archE942ELNS1_3gpuE9ELNS1_3repE0EEENS1_30default_config_static_selectorELNS0_4arch9wavefront6targetE0EEEvSO_,"axG",@progbits,_ZN7rocprim17ROCPRIM_400000_NS6detail17trampoline_kernelINS0_14default_configENS1_27upper_bound_config_selectorIdlEEZNS1_14transform_implILb0ES3_S5_N6thrust23THRUST_200600_302600_NS17counting_iteratorIdNS8_11use_defaultESA_SA_EEPlZNS1_13binary_searchIS3_S5_PdSB_SC_NS1_21upper_bound_search_opENS8_6detail16wrapped_functionINS0_4lessIvEEbEEEE10hipError_tPvRmT1_T2_T3_mmT4_T5_P12ihipStream_tbEUlRKdE_EESL_SP_SQ_mSR_SU_bEUlT_E_NS1_11comp_targetILNS1_3genE5ELNS1_11target_archE942ELNS1_3gpuE9ELNS1_3repE0EEENS1_30default_config_static_selectorELNS0_4arch9wavefront6targetE0EEEvSO_,comdat
	.protected	_ZN7rocprim17ROCPRIM_400000_NS6detail17trampoline_kernelINS0_14default_configENS1_27upper_bound_config_selectorIdlEEZNS1_14transform_implILb0ES3_S5_N6thrust23THRUST_200600_302600_NS17counting_iteratorIdNS8_11use_defaultESA_SA_EEPlZNS1_13binary_searchIS3_S5_PdSB_SC_NS1_21upper_bound_search_opENS8_6detail16wrapped_functionINS0_4lessIvEEbEEEE10hipError_tPvRmT1_T2_T3_mmT4_T5_P12ihipStream_tbEUlRKdE_EESL_SP_SQ_mSR_SU_bEUlT_E_NS1_11comp_targetILNS1_3genE5ELNS1_11target_archE942ELNS1_3gpuE9ELNS1_3repE0EEENS1_30default_config_static_selectorELNS0_4arch9wavefront6targetE0EEEvSO_ ; -- Begin function _ZN7rocprim17ROCPRIM_400000_NS6detail17trampoline_kernelINS0_14default_configENS1_27upper_bound_config_selectorIdlEEZNS1_14transform_implILb0ES3_S5_N6thrust23THRUST_200600_302600_NS17counting_iteratorIdNS8_11use_defaultESA_SA_EEPlZNS1_13binary_searchIS3_S5_PdSB_SC_NS1_21upper_bound_search_opENS8_6detail16wrapped_functionINS0_4lessIvEEbEEEE10hipError_tPvRmT1_T2_T3_mmT4_T5_P12ihipStream_tbEUlRKdE_EESL_SP_SQ_mSR_SU_bEUlT_E_NS1_11comp_targetILNS1_3genE5ELNS1_11target_archE942ELNS1_3gpuE9ELNS1_3repE0EEENS1_30default_config_static_selectorELNS0_4arch9wavefront6targetE0EEEvSO_
	.globl	_ZN7rocprim17ROCPRIM_400000_NS6detail17trampoline_kernelINS0_14default_configENS1_27upper_bound_config_selectorIdlEEZNS1_14transform_implILb0ES3_S5_N6thrust23THRUST_200600_302600_NS17counting_iteratorIdNS8_11use_defaultESA_SA_EEPlZNS1_13binary_searchIS3_S5_PdSB_SC_NS1_21upper_bound_search_opENS8_6detail16wrapped_functionINS0_4lessIvEEbEEEE10hipError_tPvRmT1_T2_T3_mmT4_T5_P12ihipStream_tbEUlRKdE_EESL_SP_SQ_mSR_SU_bEUlT_E_NS1_11comp_targetILNS1_3genE5ELNS1_11target_archE942ELNS1_3gpuE9ELNS1_3repE0EEENS1_30default_config_static_selectorELNS0_4arch9wavefront6targetE0EEEvSO_
	.p2align	8
	.type	_ZN7rocprim17ROCPRIM_400000_NS6detail17trampoline_kernelINS0_14default_configENS1_27upper_bound_config_selectorIdlEEZNS1_14transform_implILb0ES3_S5_N6thrust23THRUST_200600_302600_NS17counting_iteratorIdNS8_11use_defaultESA_SA_EEPlZNS1_13binary_searchIS3_S5_PdSB_SC_NS1_21upper_bound_search_opENS8_6detail16wrapped_functionINS0_4lessIvEEbEEEE10hipError_tPvRmT1_T2_T3_mmT4_T5_P12ihipStream_tbEUlRKdE_EESL_SP_SQ_mSR_SU_bEUlT_E_NS1_11comp_targetILNS1_3genE5ELNS1_11target_archE942ELNS1_3gpuE9ELNS1_3repE0EEENS1_30default_config_static_selectorELNS0_4arch9wavefront6targetE0EEEvSO_,@function
_ZN7rocprim17ROCPRIM_400000_NS6detail17trampoline_kernelINS0_14default_configENS1_27upper_bound_config_selectorIdlEEZNS1_14transform_implILb0ES3_S5_N6thrust23THRUST_200600_302600_NS17counting_iteratorIdNS8_11use_defaultESA_SA_EEPlZNS1_13binary_searchIS3_S5_PdSB_SC_NS1_21upper_bound_search_opENS8_6detail16wrapped_functionINS0_4lessIvEEbEEEE10hipError_tPvRmT1_T2_T3_mmT4_T5_P12ihipStream_tbEUlRKdE_EESL_SP_SQ_mSR_SU_bEUlT_E_NS1_11comp_targetILNS1_3genE5ELNS1_11target_archE942ELNS1_3gpuE9ELNS1_3repE0EEENS1_30default_config_static_selectorELNS0_4arch9wavefront6targetE0EEEvSO_: ; @_ZN7rocprim17ROCPRIM_400000_NS6detail17trampoline_kernelINS0_14default_configENS1_27upper_bound_config_selectorIdlEEZNS1_14transform_implILb0ES3_S5_N6thrust23THRUST_200600_302600_NS17counting_iteratorIdNS8_11use_defaultESA_SA_EEPlZNS1_13binary_searchIS3_S5_PdSB_SC_NS1_21upper_bound_search_opENS8_6detail16wrapped_functionINS0_4lessIvEEbEEEE10hipError_tPvRmT1_T2_T3_mmT4_T5_P12ihipStream_tbEUlRKdE_EESL_SP_SQ_mSR_SU_bEUlT_E_NS1_11comp_targetILNS1_3genE5ELNS1_11target_archE942ELNS1_3gpuE9ELNS1_3repE0EEENS1_30default_config_static_selectorELNS0_4arch9wavefront6targetE0EEEvSO_
; %bb.0:
	.section	.rodata,"a",@progbits
	.p2align	6, 0x0
	.amdhsa_kernel _ZN7rocprim17ROCPRIM_400000_NS6detail17trampoline_kernelINS0_14default_configENS1_27upper_bound_config_selectorIdlEEZNS1_14transform_implILb0ES3_S5_N6thrust23THRUST_200600_302600_NS17counting_iteratorIdNS8_11use_defaultESA_SA_EEPlZNS1_13binary_searchIS3_S5_PdSB_SC_NS1_21upper_bound_search_opENS8_6detail16wrapped_functionINS0_4lessIvEEbEEEE10hipError_tPvRmT1_T2_T3_mmT4_T5_P12ihipStream_tbEUlRKdE_EESL_SP_SQ_mSR_SU_bEUlT_E_NS1_11comp_targetILNS1_3genE5ELNS1_11target_archE942ELNS1_3gpuE9ELNS1_3repE0EEENS1_30default_config_static_selectorELNS0_4arch9wavefront6targetE0EEEvSO_
		.amdhsa_group_segment_fixed_size 0
		.amdhsa_private_segment_fixed_size 0
		.amdhsa_kernarg_size 56
		.amdhsa_user_sgpr_count 15
		.amdhsa_user_sgpr_dispatch_ptr 0
		.amdhsa_user_sgpr_queue_ptr 0
		.amdhsa_user_sgpr_kernarg_segment_ptr 1
		.amdhsa_user_sgpr_dispatch_id 0
		.amdhsa_user_sgpr_private_segment_size 0
		.amdhsa_wavefront_size32 1
		.amdhsa_uses_dynamic_stack 0
		.amdhsa_enable_private_segment 0
		.amdhsa_system_sgpr_workgroup_id_x 1
		.amdhsa_system_sgpr_workgroup_id_y 0
		.amdhsa_system_sgpr_workgroup_id_z 0
		.amdhsa_system_sgpr_workgroup_info 0
		.amdhsa_system_vgpr_workitem_id 0
		.amdhsa_next_free_vgpr 1
		.amdhsa_next_free_sgpr 1
		.amdhsa_reserve_vcc 0
		.amdhsa_float_round_mode_32 0
		.amdhsa_float_round_mode_16_64 0
		.amdhsa_float_denorm_mode_32 3
		.amdhsa_float_denorm_mode_16_64 3
		.amdhsa_dx10_clamp 1
		.amdhsa_ieee_mode 1
		.amdhsa_fp16_overflow 0
		.amdhsa_workgroup_processor_mode 1
		.amdhsa_memory_ordered 1
		.amdhsa_forward_progress 0
		.amdhsa_shared_vgpr_count 0
		.amdhsa_exception_fp_ieee_invalid_op 0
		.amdhsa_exception_fp_denorm_src 0
		.amdhsa_exception_fp_ieee_div_zero 0
		.amdhsa_exception_fp_ieee_overflow 0
		.amdhsa_exception_fp_ieee_underflow 0
		.amdhsa_exception_fp_ieee_inexact 0
		.amdhsa_exception_int_div_zero 0
	.end_amdhsa_kernel
	.section	.text._ZN7rocprim17ROCPRIM_400000_NS6detail17trampoline_kernelINS0_14default_configENS1_27upper_bound_config_selectorIdlEEZNS1_14transform_implILb0ES3_S5_N6thrust23THRUST_200600_302600_NS17counting_iteratorIdNS8_11use_defaultESA_SA_EEPlZNS1_13binary_searchIS3_S5_PdSB_SC_NS1_21upper_bound_search_opENS8_6detail16wrapped_functionINS0_4lessIvEEbEEEE10hipError_tPvRmT1_T2_T3_mmT4_T5_P12ihipStream_tbEUlRKdE_EESL_SP_SQ_mSR_SU_bEUlT_E_NS1_11comp_targetILNS1_3genE5ELNS1_11target_archE942ELNS1_3gpuE9ELNS1_3repE0EEENS1_30default_config_static_selectorELNS0_4arch9wavefront6targetE0EEEvSO_,"axG",@progbits,_ZN7rocprim17ROCPRIM_400000_NS6detail17trampoline_kernelINS0_14default_configENS1_27upper_bound_config_selectorIdlEEZNS1_14transform_implILb0ES3_S5_N6thrust23THRUST_200600_302600_NS17counting_iteratorIdNS8_11use_defaultESA_SA_EEPlZNS1_13binary_searchIS3_S5_PdSB_SC_NS1_21upper_bound_search_opENS8_6detail16wrapped_functionINS0_4lessIvEEbEEEE10hipError_tPvRmT1_T2_T3_mmT4_T5_P12ihipStream_tbEUlRKdE_EESL_SP_SQ_mSR_SU_bEUlT_E_NS1_11comp_targetILNS1_3genE5ELNS1_11target_archE942ELNS1_3gpuE9ELNS1_3repE0EEENS1_30default_config_static_selectorELNS0_4arch9wavefront6targetE0EEEvSO_,comdat
.Lfunc_end90:
	.size	_ZN7rocprim17ROCPRIM_400000_NS6detail17trampoline_kernelINS0_14default_configENS1_27upper_bound_config_selectorIdlEEZNS1_14transform_implILb0ES3_S5_N6thrust23THRUST_200600_302600_NS17counting_iteratorIdNS8_11use_defaultESA_SA_EEPlZNS1_13binary_searchIS3_S5_PdSB_SC_NS1_21upper_bound_search_opENS8_6detail16wrapped_functionINS0_4lessIvEEbEEEE10hipError_tPvRmT1_T2_T3_mmT4_T5_P12ihipStream_tbEUlRKdE_EESL_SP_SQ_mSR_SU_bEUlT_E_NS1_11comp_targetILNS1_3genE5ELNS1_11target_archE942ELNS1_3gpuE9ELNS1_3repE0EEENS1_30default_config_static_selectorELNS0_4arch9wavefront6targetE0EEEvSO_, .Lfunc_end90-_ZN7rocprim17ROCPRIM_400000_NS6detail17trampoline_kernelINS0_14default_configENS1_27upper_bound_config_selectorIdlEEZNS1_14transform_implILb0ES3_S5_N6thrust23THRUST_200600_302600_NS17counting_iteratorIdNS8_11use_defaultESA_SA_EEPlZNS1_13binary_searchIS3_S5_PdSB_SC_NS1_21upper_bound_search_opENS8_6detail16wrapped_functionINS0_4lessIvEEbEEEE10hipError_tPvRmT1_T2_T3_mmT4_T5_P12ihipStream_tbEUlRKdE_EESL_SP_SQ_mSR_SU_bEUlT_E_NS1_11comp_targetILNS1_3genE5ELNS1_11target_archE942ELNS1_3gpuE9ELNS1_3repE0EEENS1_30default_config_static_selectorELNS0_4arch9wavefront6targetE0EEEvSO_
                                        ; -- End function
	.section	.AMDGPU.csdata,"",@progbits
; Kernel info:
; codeLenInByte = 0
; NumSgprs: 0
; NumVgprs: 0
; ScratchSize: 0
; MemoryBound: 0
; FloatMode: 240
; IeeeMode: 1
; LDSByteSize: 0 bytes/workgroup (compile time only)
; SGPRBlocks: 0
; VGPRBlocks: 0
; NumSGPRsForWavesPerEU: 1
; NumVGPRsForWavesPerEU: 1
; Occupancy: 16
; WaveLimiterHint : 0
; COMPUTE_PGM_RSRC2:SCRATCH_EN: 0
; COMPUTE_PGM_RSRC2:USER_SGPR: 15
; COMPUTE_PGM_RSRC2:TRAP_HANDLER: 0
; COMPUTE_PGM_RSRC2:TGID_X_EN: 1
; COMPUTE_PGM_RSRC2:TGID_Y_EN: 0
; COMPUTE_PGM_RSRC2:TGID_Z_EN: 0
; COMPUTE_PGM_RSRC2:TIDIG_COMP_CNT: 0
	.section	.text._ZN7rocprim17ROCPRIM_400000_NS6detail17trampoline_kernelINS0_14default_configENS1_27upper_bound_config_selectorIdlEEZNS1_14transform_implILb0ES3_S5_N6thrust23THRUST_200600_302600_NS17counting_iteratorIdNS8_11use_defaultESA_SA_EEPlZNS1_13binary_searchIS3_S5_PdSB_SC_NS1_21upper_bound_search_opENS8_6detail16wrapped_functionINS0_4lessIvEEbEEEE10hipError_tPvRmT1_T2_T3_mmT4_T5_P12ihipStream_tbEUlRKdE_EESL_SP_SQ_mSR_SU_bEUlT_E_NS1_11comp_targetILNS1_3genE4ELNS1_11target_archE910ELNS1_3gpuE8ELNS1_3repE0EEENS1_30default_config_static_selectorELNS0_4arch9wavefront6targetE0EEEvSO_,"axG",@progbits,_ZN7rocprim17ROCPRIM_400000_NS6detail17trampoline_kernelINS0_14default_configENS1_27upper_bound_config_selectorIdlEEZNS1_14transform_implILb0ES3_S5_N6thrust23THRUST_200600_302600_NS17counting_iteratorIdNS8_11use_defaultESA_SA_EEPlZNS1_13binary_searchIS3_S5_PdSB_SC_NS1_21upper_bound_search_opENS8_6detail16wrapped_functionINS0_4lessIvEEbEEEE10hipError_tPvRmT1_T2_T3_mmT4_T5_P12ihipStream_tbEUlRKdE_EESL_SP_SQ_mSR_SU_bEUlT_E_NS1_11comp_targetILNS1_3genE4ELNS1_11target_archE910ELNS1_3gpuE8ELNS1_3repE0EEENS1_30default_config_static_selectorELNS0_4arch9wavefront6targetE0EEEvSO_,comdat
	.protected	_ZN7rocprim17ROCPRIM_400000_NS6detail17trampoline_kernelINS0_14default_configENS1_27upper_bound_config_selectorIdlEEZNS1_14transform_implILb0ES3_S5_N6thrust23THRUST_200600_302600_NS17counting_iteratorIdNS8_11use_defaultESA_SA_EEPlZNS1_13binary_searchIS3_S5_PdSB_SC_NS1_21upper_bound_search_opENS8_6detail16wrapped_functionINS0_4lessIvEEbEEEE10hipError_tPvRmT1_T2_T3_mmT4_T5_P12ihipStream_tbEUlRKdE_EESL_SP_SQ_mSR_SU_bEUlT_E_NS1_11comp_targetILNS1_3genE4ELNS1_11target_archE910ELNS1_3gpuE8ELNS1_3repE0EEENS1_30default_config_static_selectorELNS0_4arch9wavefront6targetE0EEEvSO_ ; -- Begin function _ZN7rocprim17ROCPRIM_400000_NS6detail17trampoline_kernelINS0_14default_configENS1_27upper_bound_config_selectorIdlEEZNS1_14transform_implILb0ES3_S5_N6thrust23THRUST_200600_302600_NS17counting_iteratorIdNS8_11use_defaultESA_SA_EEPlZNS1_13binary_searchIS3_S5_PdSB_SC_NS1_21upper_bound_search_opENS8_6detail16wrapped_functionINS0_4lessIvEEbEEEE10hipError_tPvRmT1_T2_T3_mmT4_T5_P12ihipStream_tbEUlRKdE_EESL_SP_SQ_mSR_SU_bEUlT_E_NS1_11comp_targetILNS1_3genE4ELNS1_11target_archE910ELNS1_3gpuE8ELNS1_3repE0EEENS1_30default_config_static_selectorELNS0_4arch9wavefront6targetE0EEEvSO_
	.globl	_ZN7rocprim17ROCPRIM_400000_NS6detail17trampoline_kernelINS0_14default_configENS1_27upper_bound_config_selectorIdlEEZNS1_14transform_implILb0ES3_S5_N6thrust23THRUST_200600_302600_NS17counting_iteratorIdNS8_11use_defaultESA_SA_EEPlZNS1_13binary_searchIS3_S5_PdSB_SC_NS1_21upper_bound_search_opENS8_6detail16wrapped_functionINS0_4lessIvEEbEEEE10hipError_tPvRmT1_T2_T3_mmT4_T5_P12ihipStream_tbEUlRKdE_EESL_SP_SQ_mSR_SU_bEUlT_E_NS1_11comp_targetILNS1_3genE4ELNS1_11target_archE910ELNS1_3gpuE8ELNS1_3repE0EEENS1_30default_config_static_selectorELNS0_4arch9wavefront6targetE0EEEvSO_
	.p2align	8
	.type	_ZN7rocprim17ROCPRIM_400000_NS6detail17trampoline_kernelINS0_14default_configENS1_27upper_bound_config_selectorIdlEEZNS1_14transform_implILb0ES3_S5_N6thrust23THRUST_200600_302600_NS17counting_iteratorIdNS8_11use_defaultESA_SA_EEPlZNS1_13binary_searchIS3_S5_PdSB_SC_NS1_21upper_bound_search_opENS8_6detail16wrapped_functionINS0_4lessIvEEbEEEE10hipError_tPvRmT1_T2_T3_mmT4_T5_P12ihipStream_tbEUlRKdE_EESL_SP_SQ_mSR_SU_bEUlT_E_NS1_11comp_targetILNS1_3genE4ELNS1_11target_archE910ELNS1_3gpuE8ELNS1_3repE0EEENS1_30default_config_static_selectorELNS0_4arch9wavefront6targetE0EEEvSO_,@function
_ZN7rocprim17ROCPRIM_400000_NS6detail17trampoline_kernelINS0_14default_configENS1_27upper_bound_config_selectorIdlEEZNS1_14transform_implILb0ES3_S5_N6thrust23THRUST_200600_302600_NS17counting_iteratorIdNS8_11use_defaultESA_SA_EEPlZNS1_13binary_searchIS3_S5_PdSB_SC_NS1_21upper_bound_search_opENS8_6detail16wrapped_functionINS0_4lessIvEEbEEEE10hipError_tPvRmT1_T2_T3_mmT4_T5_P12ihipStream_tbEUlRKdE_EESL_SP_SQ_mSR_SU_bEUlT_E_NS1_11comp_targetILNS1_3genE4ELNS1_11target_archE910ELNS1_3gpuE8ELNS1_3repE0EEENS1_30default_config_static_selectorELNS0_4arch9wavefront6targetE0EEEvSO_: ; @_ZN7rocprim17ROCPRIM_400000_NS6detail17trampoline_kernelINS0_14default_configENS1_27upper_bound_config_selectorIdlEEZNS1_14transform_implILb0ES3_S5_N6thrust23THRUST_200600_302600_NS17counting_iteratorIdNS8_11use_defaultESA_SA_EEPlZNS1_13binary_searchIS3_S5_PdSB_SC_NS1_21upper_bound_search_opENS8_6detail16wrapped_functionINS0_4lessIvEEbEEEE10hipError_tPvRmT1_T2_T3_mmT4_T5_P12ihipStream_tbEUlRKdE_EESL_SP_SQ_mSR_SU_bEUlT_E_NS1_11comp_targetILNS1_3genE4ELNS1_11target_archE910ELNS1_3gpuE8ELNS1_3repE0EEENS1_30default_config_static_selectorELNS0_4arch9wavefront6targetE0EEEvSO_
; %bb.0:
	.section	.rodata,"a",@progbits
	.p2align	6, 0x0
	.amdhsa_kernel _ZN7rocprim17ROCPRIM_400000_NS6detail17trampoline_kernelINS0_14default_configENS1_27upper_bound_config_selectorIdlEEZNS1_14transform_implILb0ES3_S5_N6thrust23THRUST_200600_302600_NS17counting_iteratorIdNS8_11use_defaultESA_SA_EEPlZNS1_13binary_searchIS3_S5_PdSB_SC_NS1_21upper_bound_search_opENS8_6detail16wrapped_functionINS0_4lessIvEEbEEEE10hipError_tPvRmT1_T2_T3_mmT4_T5_P12ihipStream_tbEUlRKdE_EESL_SP_SQ_mSR_SU_bEUlT_E_NS1_11comp_targetILNS1_3genE4ELNS1_11target_archE910ELNS1_3gpuE8ELNS1_3repE0EEENS1_30default_config_static_selectorELNS0_4arch9wavefront6targetE0EEEvSO_
		.amdhsa_group_segment_fixed_size 0
		.amdhsa_private_segment_fixed_size 0
		.amdhsa_kernarg_size 56
		.amdhsa_user_sgpr_count 15
		.amdhsa_user_sgpr_dispatch_ptr 0
		.amdhsa_user_sgpr_queue_ptr 0
		.amdhsa_user_sgpr_kernarg_segment_ptr 1
		.amdhsa_user_sgpr_dispatch_id 0
		.amdhsa_user_sgpr_private_segment_size 0
		.amdhsa_wavefront_size32 1
		.amdhsa_uses_dynamic_stack 0
		.amdhsa_enable_private_segment 0
		.amdhsa_system_sgpr_workgroup_id_x 1
		.amdhsa_system_sgpr_workgroup_id_y 0
		.amdhsa_system_sgpr_workgroup_id_z 0
		.amdhsa_system_sgpr_workgroup_info 0
		.amdhsa_system_vgpr_workitem_id 0
		.amdhsa_next_free_vgpr 1
		.amdhsa_next_free_sgpr 1
		.amdhsa_reserve_vcc 0
		.amdhsa_float_round_mode_32 0
		.amdhsa_float_round_mode_16_64 0
		.amdhsa_float_denorm_mode_32 3
		.amdhsa_float_denorm_mode_16_64 3
		.amdhsa_dx10_clamp 1
		.amdhsa_ieee_mode 1
		.amdhsa_fp16_overflow 0
		.amdhsa_workgroup_processor_mode 1
		.amdhsa_memory_ordered 1
		.amdhsa_forward_progress 0
		.amdhsa_shared_vgpr_count 0
		.amdhsa_exception_fp_ieee_invalid_op 0
		.amdhsa_exception_fp_denorm_src 0
		.amdhsa_exception_fp_ieee_div_zero 0
		.amdhsa_exception_fp_ieee_overflow 0
		.amdhsa_exception_fp_ieee_underflow 0
		.amdhsa_exception_fp_ieee_inexact 0
		.amdhsa_exception_int_div_zero 0
	.end_amdhsa_kernel
	.section	.text._ZN7rocprim17ROCPRIM_400000_NS6detail17trampoline_kernelINS0_14default_configENS1_27upper_bound_config_selectorIdlEEZNS1_14transform_implILb0ES3_S5_N6thrust23THRUST_200600_302600_NS17counting_iteratorIdNS8_11use_defaultESA_SA_EEPlZNS1_13binary_searchIS3_S5_PdSB_SC_NS1_21upper_bound_search_opENS8_6detail16wrapped_functionINS0_4lessIvEEbEEEE10hipError_tPvRmT1_T2_T3_mmT4_T5_P12ihipStream_tbEUlRKdE_EESL_SP_SQ_mSR_SU_bEUlT_E_NS1_11comp_targetILNS1_3genE4ELNS1_11target_archE910ELNS1_3gpuE8ELNS1_3repE0EEENS1_30default_config_static_selectorELNS0_4arch9wavefront6targetE0EEEvSO_,"axG",@progbits,_ZN7rocprim17ROCPRIM_400000_NS6detail17trampoline_kernelINS0_14default_configENS1_27upper_bound_config_selectorIdlEEZNS1_14transform_implILb0ES3_S5_N6thrust23THRUST_200600_302600_NS17counting_iteratorIdNS8_11use_defaultESA_SA_EEPlZNS1_13binary_searchIS3_S5_PdSB_SC_NS1_21upper_bound_search_opENS8_6detail16wrapped_functionINS0_4lessIvEEbEEEE10hipError_tPvRmT1_T2_T3_mmT4_T5_P12ihipStream_tbEUlRKdE_EESL_SP_SQ_mSR_SU_bEUlT_E_NS1_11comp_targetILNS1_3genE4ELNS1_11target_archE910ELNS1_3gpuE8ELNS1_3repE0EEENS1_30default_config_static_selectorELNS0_4arch9wavefront6targetE0EEEvSO_,comdat
.Lfunc_end91:
	.size	_ZN7rocprim17ROCPRIM_400000_NS6detail17trampoline_kernelINS0_14default_configENS1_27upper_bound_config_selectorIdlEEZNS1_14transform_implILb0ES3_S5_N6thrust23THRUST_200600_302600_NS17counting_iteratorIdNS8_11use_defaultESA_SA_EEPlZNS1_13binary_searchIS3_S5_PdSB_SC_NS1_21upper_bound_search_opENS8_6detail16wrapped_functionINS0_4lessIvEEbEEEE10hipError_tPvRmT1_T2_T3_mmT4_T5_P12ihipStream_tbEUlRKdE_EESL_SP_SQ_mSR_SU_bEUlT_E_NS1_11comp_targetILNS1_3genE4ELNS1_11target_archE910ELNS1_3gpuE8ELNS1_3repE0EEENS1_30default_config_static_selectorELNS0_4arch9wavefront6targetE0EEEvSO_, .Lfunc_end91-_ZN7rocprim17ROCPRIM_400000_NS6detail17trampoline_kernelINS0_14default_configENS1_27upper_bound_config_selectorIdlEEZNS1_14transform_implILb0ES3_S5_N6thrust23THRUST_200600_302600_NS17counting_iteratorIdNS8_11use_defaultESA_SA_EEPlZNS1_13binary_searchIS3_S5_PdSB_SC_NS1_21upper_bound_search_opENS8_6detail16wrapped_functionINS0_4lessIvEEbEEEE10hipError_tPvRmT1_T2_T3_mmT4_T5_P12ihipStream_tbEUlRKdE_EESL_SP_SQ_mSR_SU_bEUlT_E_NS1_11comp_targetILNS1_3genE4ELNS1_11target_archE910ELNS1_3gpuE8ELNS1_3repE0EEENS1_30default_config_static_selectorELNS0_4arch9wavefront6targetE0EEEvSO_
                                        ; -- End function
	.section	.AMDGPU.csdata,"",@progbits
; Kernel info:
; codeLenInByte = 0
; NumSgprs: 0
; NumVgprs: 0
; ScratchSize: 0
; MemoryBound: 0
; FloatMode: 240
; IeeeMode: 1
; LDSByteSize: 0 bytes/workgroup (compile time only)
; SGPRBlocks: 0
; VGPRBlocks: 0
; NumSGPRsForWavesPerEU: 1
; NumVGPRsForWavesPerEU: 1
; Occupancy: 16
; WaveLimiterHint : 0
; COMPUTE_PGM_RSRC2:SCRATCH_EN: 0
; COMPUTE_PGM_RSRC2:USER_SGPR: 15
; COMPUTE_PGM_RSRC2:TRAP_HANDLER: 0
; COMPUTE_PGM_RSRC2:TGID_X_EN: 1
; COMPUTE_PGM_RSRC2:TGID_Y_EN: 0
; COMPUTE_PGM_RSRC2:TGID_Z_EN: 0
; COMPUTE_PGM_RSRC2:TIDIG_COMP_CNT: 0
	.section	.text._ZN7rocprim17ROCPRIM_400000_NS6detail17trampoline_kernelINS0_14default_configENS1_27upper_bound_config_selectorIdlEEZNS1_14transform_implILb0ES3_S5_N6thrust23THRUST_200600_302600_NS17counting_iteratorIdNS8_11use_defaultESA_SA_EEPlZNS1_13binary_searchIS3_S5_PdSB_SC_NS1_21upper_bound_search_opENS8_6detail16wrapped_functionINS0_4lessIvEEbEEEE10hipError_tPvRmT1_T2_T3_mmT4_T5_P12ihipStream_tbEUlRKdE_EESL_SP_SQ_mSR_SU_bEUlT_E_NS1_11comp_targetILNS1_3genE3ELNS1_11target_archE908ELNS1_3gpuE7ELNS1_3repE0EEENS1_30default_config_static_selectorELNS0_4arch9wavefront6targetE0EEEvSO_,"axG",@progbits,_ZN7rocprim17ROCPRIM_400000_NS6detail17trampoline_kernelINS0_14default_configENS1_27upper_bound_config_selectorIdlEEZNS1_14transform_implILb0ES3_S5_N6thrust23THRUST_200600_302600_NS17counting_iteratorIdNS8_11use_defaultESA_SA_EEPlZNS1_13binary_searchIS3_S5_PdSB_SC_NS1_21upper_bound_search_opENS8_6detail16wrapped_functionINS0_4lessIvEEbEEEE10hipError_tPvRmT1_T2_T3_mmT4_T5_P12ihipStream_tbEUlRKdE_EESL_SP_SQ_mSR_SU_bEUlT_E_NS1_11comp_targetILNS1_3genE3ELNS1_11target_archE908ELNS1_3gpuE7ELNS1_3repE0EEENS1_30default_config_static_selectorELNS0_4arch9wavefront6targetE0EEEvSO_,comdat
	.protected	_ZN7rocprim17ROCPRIM_400000_NS6detail17trampoline_kernelINS0_14default_configENS1_27upper_bound_config_selectorIdlEEZNS1_14transform_implILb0ES3_S5_N6thrust23THRUST_200600_302600_NS17counting_iteratorIdNS8_11use_defaultESA_SA_EEPlZNS1_13binary_searchIS3_S5_PdSB_SC_NS1_21upper_bound_search_opENS8_6detail16wrapped_functionINS0_4lessIvEEbEEEE10hipError_tPvRmT1_T2_T3_mmT4_T5_P12ihipStream_tbEUlRKdE_EESL_SP_SQ_mSR_SU_bEUlT_E_NS1_11comp_targetILNS1_3genE3ELNS1_11target_archE908ELNS1_3gpuE7ELNS1_3repE0EEENS1_30default_config_static_selectorELNS0_4arch9wavefront6targetE0EEEvSO_ ; -- Begin function _ZN7rocprim17ROCPRIM_400000_NS6detail17trampoline_kernelINS0_14default_configENS1_27upper_bound_config_selectorIdlEEZNS1_14transform_implILb0ES3_S5_N6thrust23THRUST_200600_302600_NS17counting_iteratorIdNS8_11use_defaultESA_SA_EEPlZNS1_13binary_searchIS3_S5_PdSB_SC_NS1_21upper_bound_search_opENS8_6detail16wrapped_functionINS0_4lessIvEEbEEEE10hipError_tPvRmT1_T2_T3_mmT4_T5_P12ihipStream_tbEUlRKdE_EESL_SP_SQ_mSR_SU_bEUlT_E_NS1_11comp_targetILNS1_3genE3ELNS1_11target_archE908ELNS1_3gpuE7ELNS1_3repE0EEENS1_30default_config_static_selectorELNS0_4arch9wavefront6targetE0EEEvSO_
	.globl	_ZN7rocprim17ROCPRIM_400000_NS6detail17trampoline_kernelINS0_14default_configENS1_27upper_bound_config_selectorIdlEEZNS1_14transform_implILb0ES3_S5_N6thrust23THRUST_200600_302600_NS17counting_iteratorIdNS8_11use_defaultESA_SA_EEPlZNS1_13binary_searchIS3_S5_PdSB_SC_NS1_21upper_bound_search_opENS8_6detail16wrapped_functionINS0_4lessIvEEbEEEE10hipError_tPvRmT1_T2_T3_mmT4_T5_P12ihipStream_tbEUlRKdE_EESL_SP_SQ_mSR_SU_bEUlT_E_NS1_11comp_targetILNS1_3genE3ELNS1_11target_archE908ELNS1_3gpuE7ELNS1_3repE0EEENS1_30default_config_static_selectorELNS0_4arch9wavefront6targetE0EEEvSO_
	.p2align	8
	.type	_ZN7rocprim17ROCPRIM_400000_NS6detail17trampoline_kernelINS0_14default_configENS1_27upper_bound_config_selectorIdlEEZNS1_14transform_implILb0ES3_S5_N6thrust23THRUST_200600_302600_NS17counting_iteratorIdNS8_11use_defaultESA_SA_EEPlZNS1_13binary_searchIS3_S5_PdSB_SC_NS1_21upper_bound_search_opENS8_6detail16wrapped_functionINS0_4lessIvEEbEEEE10hipError_tPvRmT1_T2_T3_mmT4_T5_P12ihipStream_tbEUlRKdE_EESL_SP_SQ_mSR_SU_bEUlT_E_NS1_11comp_targetILNS1_3genE3ELNS1_11target_archE908ELNS1_3gpuE7ELNS1_3repE0EEENS1_30default_config_static_selectorELNS0_4arch9wavefront6targetE0EEEvSO_,@function
_ZN7rocprim17ROCPRIM_400000_NS6detail17trampoline_kernelINS0_14default_configENS1_27upper_bound_config_selectorIdlEEZNS1_14transform_implILb0ES3_S5_N6thrust23THRUST_200600_302600_NS17counting_iteratorIdNS8_11use_defaultESA_SA_EEPlZNS1_13binary_searchIS3_S5_PdSB_SC_NS1_21upper_bound_search_opENS8_6detail16wrapped_functionINS0_4lessIvEEbEEEE10hipError_tPvRmT1_T2_T3_mmT4_T5_P12ihipStream_tbEUlRKdE_EESL_SP_SQ_mSR_SU_bEUlT_E_NS1_11comp_targetILNS1_3genE3ELNS1_11target_archE908ELNS1_3gpuE7ELNS1_3repE0EEENS1_30default_config_static_selectorELNS0_4arch9wavefront6targetE0EEEvSO_: ; @_ZN7rocprim17ROCPRIM_400000_NS6detail17trampoline_kernelINS0_14default_configENS1_27upper_bound_config_selectorIdlEEZNS1_14transform_implILb0ES3_S5_N6thrust23THRUST_200600_302600_NS17counting_iteratorIdNS8_11use_defaultESA_SA_EEPlZNS1_13binary_searchIS3_S5_PdSB_SC_NS1_21upper_bound_search_opENS8_6detail16wrapped_functionINS0_4lessIvEEbEEEE10hipError_tPvRmT1_T2_T3_mmT4_T5_P12ihipStream_tbEUlRKdE_EESL_SP_SQ_mSR_SU_bEUlT_E_NS1_11comp_targetILNS1_3genE3ELNS1_11target_archE908ELNS1_3gpuE7ELNS1_3repE0EEENS1_30default_config_static_selectorELNS0_4arch9wavefront6targetE0EEEvSO_
; %bb.0:
	.section	.rodata,"a",@progbits
	.p2align	6, 0x0
	.amdhsa_kernel _ZN7rocprim17ROCPRIM_400000_NS6detail17trampoline_kernelINS0_14default_configENS1_27upper_bound_config_selectorIdlEEZNS1_14transform_implILb0ES3_S5_N6thrust23THRUST_200600_302600_NS17counting_iteratorIdNS8_11use_defaultESA_SA_EEPlZNS1_13binary_searchIS3_S5_PdSB_SC_NS1_21upper_bound_search_opENS8_6detail16wrapped_functionINS0_4lessIvEEbEEEE10hipError_tPvRmT1_T2_T3_mmT4_T5_P12ihipStream_tbEUlRKdE_EESL_SP_SQ_mSR_SU_bEUlT_E_NS1_11comp_targetILNS1_3genE3ELNS1_11target_archE908ELNS1_3gpuE7ELNS1_3repE0EEENS1_30default_config_static_selectorELNS0_4arch9wavefront6targetE0EEEvSO_
		.amdhsa_group_segment_fixed_size 0
		.amdhsa_private_segment_fixed_size 0
		.amdhsa_kernarg_size 56
		.amdhsa_user_sgpr_count 15
		.amdhsa_user_sgpr_dispatch_ptr 0
		.amdhsa_user_sgpr_queue_ptr 0
		.amdhsa_user_sgpr_kernarg_segment_ptr 1
		.amdhsa_user_sgpr_dispatch_id 0
		.amdhsa_user_sgpr_private_segment_size 0
		.amdhsa_wavefront_size32 1
		.amdhsa_uses_dynamic_stack 0
		.amdhsa_enable_private_segment 0
		.amdhsa_system_sgpr_workgroup_id_x 1
		.amdhsa_system_sgpr_workgroup_id_y 0
		.amdhsa_system_sgpr_workgroup_id_z 0
		.amdhsa_system_sgpr_workgroup_info 0
		.amdhsa_system_vgpr_workitem_id 0
		.amdhsa_next_free_vgpr 1
		.amdhsa_next_free_sgpr 1
		.amdhsa_reserve_vcc 0
		.amdhsa_float_round_mode_32 0
		.amdhsa_float_round_mode_16_64 0
		.amdhsa_float_denorm_mode_32 3
		.amdhsa_float_denorm_mode_16_64 3
		.amdhsa_dx10_clamp 1
		.amdhsa_ieee_mode 1
		.amdhsa_fp16_overflow 0
		.amdhsa_workgroup_processor_mode 1
		.amdhsa_memory_ordered 1
		.amdhsa_forward_progress 0
		.amdhsa_shared_vgpr_count 0
		.amdhsa_exception_fp_ieee_invalid_op 0
		.amdhsa_exception_fp_denorm_src 0
		.amdhsa_exception_fp_ieee_div_zero 0
		.amdhsa_exception_fp_ieee_overflow 0
		.amdhsa_exception_fp_ieee_underflow 0
		.amdhsa_exception_fp_ieee_inexact 0
		.amdhsa_exception_int_div_zero 0
	.end_amdhsa_kernel
	.section	.text._ZN7rocprim17ROCPRIM_400000_NS6detail17trampoline_kernelINS0_14default_configENS1_27upper_bound_config_selectorIdlEEZNS1_14transform_implILb0ES3_S5_N6thrust23THRUST_200600_302600_NS17counting_iteratorIdNS8_11use_defaultESA_SA_EEPlZNS1_13binary_searchIS3_S5_PdSB_SC_NS1_21upper_bound_search_opENS8_6detail16wrapped_functionINS0_4lessIvEEbEEEE10hipError_tPvRmT1_T2_T3_mmT4_T5_P12ihipStream_tbEUlRKdE_EESL_SP_SQ_mSR_SU_bEUlT_E_NS1_11comp_targetILNS1_3genE3ELNS1_11target_archE908ELNS1_3gpuE7ELNS1_3repE0EEENS1_30default_config_static_selectorELNS0_4arch9wavefront6targetE0EEEvSO_,"axG",@progbits,_ZN7rocprim17ROCPRIM_400000_NS6detail17trampoline_kernelINS0_14default_configENS1_27upper_bound_config_selectorIdlEEZNS1_14transform_implILb0ES3_S5_N6thrust23THRUST_200600_302600_NS17counting_iteratorIdNS8_11use_defaultESA_SA_EEPlZNS1_13binary_searchIS3_S5_PdSB_SC_NS1_21upper_bound_search_opENS8_6detail16wrapped_functionINS0_4lessIvEEbEEEE10hipError_tPvRmT1_T2_T3_mmT4_T5_P12ihipStream_tbEUlRKdE_EESL_SP_SQ_mSR_SU_bEUlT_E_NS1_11comp_targetILNS1_3genE3ELNS1_11target_archE908ELNS1_3gpuE7ELNS1_3repE0EEENS1_30default_config_static_selectorELNS0_4arch9wavefront6targetE0EEEvSO_,comdat
.Lfunc_end92:
	.size	_ZN7rocprim17ROCPRIM_400000_NS6detail17trampoline_kernelINS0_14default_configENS1_27upper_bound_config_selectorIdlEEZNS1_14transform_implILb0ES3_S5_N6thrust23THRUST_200600_302600_NS17counting_iteratorIdNS8_11use_defaultESA_SA_EEPlZNS1_13binary_searchIS3_S5_PdSB_SC_NS1_21upper_bound_search_opENS8_6detail16wrapped_functionINS0_4lessIvEEbEEEE10hipError_tPvRmT1_T2_T3_mmT4_T5_P12ihipStream_tbEUlRKdE_EESL_SP_SQ_mSR_SU_bEUlT_E_NS1_11comp_targetILNS1_3genE3ELNS1_11target_archE908ELNS1_3gpuE7ELNS1_3repE0EEENS1_30default_config_static_selectorELNS0_4arch9wavefront6targetE0EEEvSO_, .Lfunc_end92-_ZN7rocprim17ROCPRIM_400000_NS6detail17trampoline_kernelINS0_14default_configENS1_27upper_bound_config_selectorIdlEEZNS1_14transform_implILb0ES3_S5_N6thrust23THRUST_200600_302600_NS17counting_iteratorIdNS8_11use_defaultESA_SA_EEPlZNS1_13binary_searchIS3_S5_PdSB_SC_NS1_21upper_bound_search_opENS8_6detail16wrapped_functionINS0_4lessIvEEbEEEE10hipError_tPvRmT1_T2_T3_mmT4_T5_P12ihipStream_tbEUlRKdE_EESL_SP_SQ_mSR_SU_bEUlT_E_NS1_11comp_targetILNS1_3genE3ELNS1_11target_archE908ELNS1_3gpuE7ELNS1_3repE0EEENS1_30default_config_static_selectorELNS0_4arch9wavefront6targetE0EEEvSO_
                                        ; -- End function
	.section	.AMDGPU.csdata,"",@progbits
; Kernel info:
; codeLenInByte = 0
; NumSgprs: 0
; NumVgprs: 0
; ScratchSize: 0
; MemoryBound: 0
; FloatMode: 240
; IeeeMode: 1
; LDSByteSize: 0 bytes/workgroup (compile time only)
; SGPRBlocks: 0
; VGPRBlocks: 0
; NumSGPRsForWavesPerEU: 1
; NumVGPRsForWavesPerEU: 1
; Occupancy: 16
; WaveLimiterHint : 0
; COMPUTE_PGM_RSRC2:SCRATCH_EN: 0
; COMPUTE_PGM_RSRC2:USER_SGPR: 15
; COMPUTE_PGM_RSRC2:TRAP_HANDLER: 0
; COMPUTE_PGM_RSRC2:TGID_X_EN: 1
; COMPUTE_PGM_RSRC2:TGID_Y_EN: 0
; COMPUTE_PGM_RSRC2:TGID_Z_EN: 0
; COMPUTE_PGM_RSRC2:TIDIG_COMP_CNT: 0
	.section	.text._ZN7rocprim17ROCPRIM_400000_NS6detail17trampoline_kernelINS0_14default_configENS1_27upper_bound_config_selectorIdlEEZNS1_14transform_implILb0ES3_S5_N6thrust23THRUST_200600_302600_NS17counting_iteratorIdNS8_11use_defaultESA_SA_EEPlZNS1_13binary_searchIS3_S5_PdSB_SC_NS1_21upper_bound_search_opENS8_6detail16wrapped_functionINS0_4lessIvEEbEEEE10hipError_tPvRmT1_T2_T3_mmT4_T5_P12ihipStream_tbEUlRKdE_EESL_SP_SQ_mSR_SU_bEUlT_E_NS1_11comp_targetILNS1_3genE2ELNS1_11target_archE906ELNS1_3gpuE6ELNS1_3repE0EEENS1_30default_config_static_selectorELNS0_4arch9wavefront6targetE0EEEvSO_,"axG",@progbits,_ZN7rocprim17ROCPRIM_400000_NS6detail17trampoline_kernelINS0_14default_configENS1_27upper_bound_config_selectorIdlEEZNS1_14transform_implILb0ES3_S5_N6thrust23THRUST_200600_302600_NS17counting_iteratorIdNS8_11use_defaultESA_SA_EEPlZNS1_13binary_searchIS3_S5_PdSB_SC_NS1_21upper_bound_search_opENS8_6detail16wrapped_functionINS0_4lessIvEEbEEEE10hipError_tPvRmT1_T2_T3_mmT4_T5_P12ihipStream_tbEUlRKdE_EESL_SP_SQ_mSR_SU_bEUlT_E_NS1_11comp_targetILNS1_3genE2ELNS1_11target_archE906ELNS1_3gpuE6ELNS1_3repE0EEENS1_30default_config_static_selectorELNS0_4arch9wavefront6targetE0EEEvSO_,comdat
	.protected	_ZN7rocprim17ROCPRIM_400000_NS6detail17trampoline_kernelINS0_14default_configENS1_27upper_bound_config_selectorIdlEEZNS1_14transform_implILb0ES3_S5_N6thrust23THRUST_200600_302600_NS17counting_iteratorIdNS8_11use_defaultESA_SA_EEPlZNS1_13binary_searchIS3_S5_PdSB_SC_NS1_21upper_bound_search_opENS8_6detail16wrapped_functionINS0_4lessIvEEbEEEE10hipError_tPvRmT1_T2_T3_mmT4_T5_P12ihipStream_tbEUlRKdE_EESL_SP_SQ_mSR_SU_bEUlT_E_NS1_11comp_targetILNS1_3genE2ELNS1_11target_archE906ELNS1_3gpuE6ELNS1_3repE0EEENS1_30default_config_static_selectorELNS0_4arch9wavefront6targetE0EEEvSO_ ; -- Begin function _ZN7rocprim17ROCPRIM_400000_NS6detail17trampoline_kernelINS0_14default_configENS1_27upper_bound_config_selectorIdlEEZNS1_14transform_implILb0ES3_S5_N6thrust23THRUST_200600_302600_NS17counting_iteratorIdNS8_11use_defaultESA_SA_EEPlZNS1_13binary_searchIS3_S5_PdSB_SC_NS1_21upper_bound_search_opENS8_6detail16wrapped_functionINS0_4lessIvEEbEEEE10hipError_tPvRmT1_T2_T3_mmT4_T5_P12ihipStream_tbEUlRKdE_EESL_SP_SQ_mSR_SU_bEUlT_E_NS1_11comp_targetILNS1_3genE2ELNS1_11target_archE906ELNS1_3gpuE6ELNS1_3repE0EEENS1_30default_config_static_selectorELNS0_4arch9wavefront6targetE0EEEvSO_
	.globl	_ZN7rocprim17ROCPRIM_400000_NS6detail17trampoline_kernelINS0_14default_configENS1_27upper_bound_config_selectorIdlEEZNS1_14transform_implILb0ES3_S5_N6thrust23THRUST_200600_302600_NS17counting_iteratorIdNS8_11use_defaultESA_SA_EEPlZNS1_13binary_searchIS3_S5_PdSB_SC_NS1_21upper_bound_search_opENS8_6detail16wrapped_functionINS0_4lessIvEEbEEEE10hipError_tPvRmT1_T2_T3_mmT4_T5_P12ihipStream_tbEUlRKdE_EESL_SP_SQ_mSR_SU_bEUlT_E_NS1_11comp_targetILNS1_3genE2ELNS1_11target_archE906ELNS1_3gpuE6ELNS1_3repE0EEENS1_30default_config_static_selectorELNS0_4arch9wavefront6targetE0EEEvSO_
	.p2align	8
	.type	_ZN7rocprim17ROCPRIM_400000_NS6detail17trampoline_kernelINS0_14default_configENS1_27upper_bound_config_selectorIdlEEZNS1_14transform_implILb0ES3_S5_N6thrust23THRUST_200600_302600_NS17counting_iteratorIdNS8_11use_defaultESA_SA_EEPlZNS1_13binary_searchIS3_S5_PdSB_SC_NS1_21upper_bound_search_opENS8_6detail16wrapped_functionINS0_4lessIvEEbEEEE10hipError_tPvRmT1_T2_T3_mmT4_T5_P12ihipStream_tbEUlRKdE_EESL_SP_SQ_mSR_SU_bEUlT_E_NS1_11comp_targetILNS1_3genE2ELNS1_11target_archE906ELNS1_3gpuE6ELNS1_3repE0EEENS1_30default_config_static_selectorELNS0_4arch9wavefront6targetE0EEEvSO_,@function
_ZN7rocprim17ROCPRIM_400000_NS6detail17trampoline_kernelINS0_14default_configENS1_27upper_bound_config_selectorIdlEEZNS1_14transform_implILb0ES3_S5_N6thrust23THRUST_200600_302600_NS17counting_iteratorIdNS8_11use_defaultESA_SA_EEPlZNS1_13binary_searchIS3_S5_PdSB_SC_NS1_21upper_bound_search_opENS8_6detail16wrapped_functionINS0_4lessIvEEbEEEE10hipError_tPvRmT1_T2_T3_mmT4_T5_P12ihipStream_tbEUlRKdE_EESL_SP_SQ_mSR_SU_bEUlT_E_NS1_11comp_targetILNS1_3genE2ELNS1_11target_archE906ELNS1_3gpuE6ELNS1_3repE0EEENS1_30default_config_static_selectorELNS0_4arch9wavefront6targetE0EEEvSO_: ; @_ZN7rocprim17ROCPRIM_400000_NS6detail17trampoline_kernelINS0_14default_configENS1_27upper_bound_config_selectorIdlEEZNS1_14transform_implILb0ES3_S5_N6thrust23THRUST_200600_302600_NS17counting_iteratorIdNS8_11use_defaultESA_SA_EEPlZNS1_13binary_searchIS3_S5_PdSB_SC_NS1_21upper_bound_search_opENS8_6detail16wrapped_functionINS0_4lessIvEEbEEEE10hipError_tPvRmT1_T2_T3_mmT4_T5_P12ihipStream_tbEUlRKdE_EESL_SP_SQ_mSR_SU_bEUlT_E_NS1_11comp_targetILNS1_3genE2ELNS1_11target_archE906ELNS1_3gpuE6ELNS1_3repE0EEENS1_30default_config_static_selectorELNS0_4arch9wavefront6targetE0EEEvSO_
; %bb.0:
	.section	.rodata,"a",@progbits
	.p2align	6, 0x0
	.amdhsa_kernel _ZN7rocprim17ROCPRIM_400000_NS6detail17trampoline_kernelINS0_14default_configENS1_27upper_bound_config_selectorIdlEEZNS1_14transform_implILb0ES3_S5_N6thrust23THRUST_200600_302600_NS17counting_iteratorIdNS8_11use_defaultESA_SA_EEPlZNS1_13binary_searchIS3_S5_PdSB_SC_NS1_21upper_bound_search_opENS8_6detail16wrapped_functionINS0_4lessIvEEbEEEE10hipError_tPvRmT1_T2_T3_mmT4_T5_P12ihipStream_tbEUlRKdE_EESL_SP_SQ_mSR_SU_bEUlT_E_NS1_11comp_targetILNS1_3genE2ELNS1_11target_archE906ELNS1_3gpuE6ELNS1_3repE0EEENS1_30default_config_static_selectorELNS0_4arch9wavefront6targetE0EEEvSO_
		.amdhsa_group_segment_fixed_size 0
		.amdhsa_private_segment_fixed_size 0
		.amdhsa_kernarg_size 56
		.amdhsa_user_sgpr_count 15
		.amdhsa_user_sgpr_dispatch_ptr 0
		.amdhsa_user_sgpr_queue_ptr 0
		.amdhsa_user_sgpr_kernarg_segment_ptr 1
		.amdhsa_user_sgpr_dispatch_id 0
		.amdhsa_user_sgpr_private_segment_size 0
		.amdhsa_wavefront_size32 1
		.amdhsa_uses_dynamic_stack 0
		.amdhsa_enable_private_segment 0
		.amdhsa_system_sgpr_workgroup_id_x 1
		.amdhsa_system_sgpr_workgroup_id_y 0
		.amdhsa_system_sgpr_workgroup_id_z 0
		.amdhsa_system_sgpr_workgroup_info 0
		.amdhsa_system_vgpr_workitem_id 0
		.amdhsa_next_free_vgpr 1
		.amdhsa_next_free_sgpr 1
		.amdhsa_reserve_vcc 0
		.amdhsa_float_round_mode_32 0
		.amdhsa_float_round_mode_16_64 0
		.amdhsa_float_denorm_mode_32 3
		.amdhsa_float_denorm_mode_16_64 3
		.amdhsa_dx10_clamp 1
		.amdhsa_ieee_mode 1
		.amdhsa_fp16_overflow 0
		.amdhsa_workgroup_processor_mode 1
		.amdhsa_memory_ordered 1
		.amdhsa_forward_progress 0
		.amdhsa_shared_vgpr_count 0
		.amdhsa_exception_fp_ieee_invalid_op 0
		.amdhsa_exception_fp_denorm_src 0
		.amdhsa_exception_fp_ieee_div_zero 0
		.amdhsa_exception_fp_ieee_overflow 0
		.amdhsa_exception_fp_ieee_underflow 0
		.amdhsa_exception_fp_ieee_inexact 0
		.amdhsa_exception_int_div_zero 0
	.end_amdhsa_kernel
	.section	.text._ZN7rocprim17ROCPRIM_400000_NS6detail17trampoline_kernelINS0_14default_configENS1_27upper_bound_config_selectorIdlEEZNS1_14transform_implILb0ES3_S5_N6thrust23THRUST_200600_302600_NS17counting_iteratorIdNS8_11use_defaultESA_SA_EEPlZNS1_13binary_searchIS3_S5_PdSB_SC_NS1_21upper_bound_search_opENS8_6detail16wrapped_functionINS0_4lessIvEEbEEEE10hipError_tPvRmT1_T2_T3_mmT4_T5_P12ihipStream_tbEUlRKdE_EESL_SP_SQ_mSR_SU_bEUlT_E_NS1_11comp_targetILNS1_3genE2ELNS1_11target_archE906ELNS1_3gpuE6ELNS1_3repE0EEENS1_30default_config_static_selectorELNS0_4arch9wavefront6targetE0EEEvSO_,"axG",@progbits,_ZN7rocprim17ROCPRIM_400000_NS6detail17trampoline_kernelINS0_14default_configENS1_27upper_bound_config_selectorIdlEEZNS1_14transform_implILb0ES3_S5_N6thrust23THRUST_200600_302600_NS17counting_iteratorIdNS8_11use_defaultESA_SA_EEPlZNS1_13binary_searchIS3_S5_PdSB_SC_NS1_21upper_bound_search_opENS8_6detail16wrapped_functionINS0_4lessIvEEbEEEE10hipError_tPvRmT1_T2_T3_mmT4_T5_P12ihipStream_tbEUlRKdE_EESL_SP_SQ_mSR_SU_bEUlT_E_NS1_11comp_targetILNS1_3genE2ELNS1_11target_archE906ELNS1_3gpuE6ELNS1_3repE0EEENS1_30default_config_static_selectorELNS0_4arch9wavefront6targetE0EEEvSO_,comdat
.Lfunc_end93:
	.size	_ZN7rocprim17ROCPRIM_400000_NS6detail17trampoline_kernelINS0_14default_configENS1_27upper_bound_config_selectorIdlEEZNS1_14transform_implILb0ES3_S5_N6thrust23THRUST_200600_302600_NS17counting_iteratorIdNS8_11use_defaultESA_SA_EEPlZNS1_13binary_searchIS3_S5_PdSB_SC_NS1_21upper_bound_search_opENS8_6detail16wrapped_functionINS0_4lessIvEEbEEEE10hipError_tPvRmT1_T2_T3_mmT4_T5_P12ihipStream_tbEUlRKdE_EESL_SP_SQ_mSR_SU_bEUlT_E_NS1_11comp_targetILNS1_3genE2ELNS1_11target_archE906ELNS1_3gpuE6ELNS1_3repE0EEENS1_30default_config_static_selectorELNS0_4arch9wavefront6targetE0EEEvSO_, .Lfunc_end93-_ZN7rocprim17ROCPRIM_400000_NS6detail17trampoline_kernelINS0_14default_configENS1_27upper_bound_config_selectorIdlEEZNS1_14transform_implILb0ES3_S5_N6thrust23THRUST_200600_302600_NS17counting_iteratorIdNS8_11use_defaultESA_SA_EEPlZNS1_13binary_searchIS3_S5_PdSB_SC_NS1_21upper_bound_search_opENS8_6detail16wrapped_functionINS0_4lessIvEEbEEEE10hipError_tPvRmT1_T2_T3_mmT4_T5_P12ihipStream_tbEUlRKdE_EESL_SP_SQ_mSR_SU_bEUlT_E_NS1_11comp_targetILNS1_3genE2ELNS1_11target_archE906ELNS1_3gpuE6ELNS1_3repE0EEENS1_30default_config_static_selectorELNS0_4arch9wavefront6targetE0EEEvSO_
                                        ; -- End function
	.section	.AMDGPU.csdata,"",@progbits
; Kernel info:
; codeLenInByte = 0
; NumSgprs: 0
; NumVgprs: 0
; ScratchSize: 0
; MemoryBound: 0
; FloatMode: 240
; IeeeMode: 1
; LDSByteSize: 0 bytes/workgroup (compile time only)
; SGPRBlocks: 0
; VGPRBlocks: 0
; NumSGPRsForWavesPerEU: 1
; NumVGPRsForWavesPerEU: 1
; Occupancy: 16
; WaveLimiterHint : 0
; COMPUTE_PGM_RSRC2:SCRATCH_EN: 0
; COMPUTE_PGM_RSRC2:USER_SGPR: 15
; COMPUTE_PGM_RSRC2:TRAP_HANDLER: 0
; COMPUTE_PGM_RSRC2:TGID_X_EN: 1
; COMPUTE_PGM_RSRC2:TGID_Y_EN: 0
; COMPUTE_PGM_RSRC2:TGID_Z_EN: 0
; COMPUTE_PGM_RSRC2:TIDIG_COMP_CNT: 0
	.section	.text._ZN7rocprim17ROCPRIM_400000_NS6detail17trampoline_kernelINS0_14default_configENS1_27upper_bound_config_selectorIdlEEZNS1_14transform_implILb0ES3_S5_N6thrust23THRUST_200600_302600_NS17counting_iteratorIdNS8_11use_defaultESA_SA_EEPlZNS1_13binary_searchIS3_S5_PdSB_SC_NS1_21upper_bound_search_opENS8_6detail16wrapped_functionINS0_4lessIvEEbEEEE10hipError_tPvRmT1_T2_T3_mmT4_T5_P12ihipStream_tbEUlRKdE_EESL_SP_SQ_mSR_SU_bEUlT_E_NS1_11comp_targetILNS1_3genE10ELNS1_11target_archE1201ELNS1_3gpuE5ELNS1_3repE0EEENS1_30default_config_static_selectorELNS0_4arch9wavefront6targetE0EEEvSO_,"axG",@progbits,_ZN7rocprim17ROCPRIM_400000_NS6detail17trampoline_kernelINS0_14default_configENS1_27upper_bound_config_selectorIdlEEZNS1_14transform_implILb0ES3_S5_N6thrust23THRUST_200600_302600_NS17counting_iteratorIdNS8_11use_defaultESA_SA_EEPlZNS1_13binary_searchIS3_S5_PdSB_SC_NS1_21upper_bound_search_opENS8_6detail16wrapped_functionINS0_4lessIvEEbEEEE10hipError_tPvRmT1_T2_T3_mmT4_T5_P12ihipStream_tbEUlRKdE_EESL_SP_SQ_mSR_SU_bEUlT_E_NS1_11comp_targetILNS1_3genE10ELNS1_11target_archE1201ELNS1_3gpuE5ELNS1_3repE0EEENS1_30default_config_static_selectorELNS0_4arch9wavefront6targetE0EEEvSO_,comdat
	.protected	_ZN7rocprim17ROCPRIM_400000_NS6detail17trampoline_kernelINS0_14default_configENS1_27upper_bound_config_selectorIdlEEZNS1_14transform_implILb0ES3_S5_N6thrust23THRUST_200600_302600_NS17counting_iteratorIdNS8_11use_defaultESA_SA_EEPlZNS1_13binary_searchIS3_S5_PdSB_SC_NS1_21upper_bound_search_opENS8_6detail16wrapped_functionINS0_4lessIvEEbEEEE10hipError_tPvRmT1_T2_T3_mmT4_T5_P12ihipStream_tbEUlRKdE_EESL_SP_SQ_mSR_SU_bEUlT_E_NS1_11comp_targetILNS1_3genE10ELNS1_11target_archE1201ELNS1_3gpuE5ELNS1_3repE0EEENS1_30default_config_static_selectorELNS0_4arch9wavefront6targetE0EEEvSO_ ; -- Begin function _ZN7rocprim17ROCPRIM_400000_NS6detail17trampoline_kernelINS0_14default_configENS1_27upper_bound_config_selectorIdlEEZNS1_14transform_implILb0ES3_S5_N6thrust23THRUST_200600_302600_NS17counting_iteratorIdNS8_11use_defaultESA_SA_EEPlZNS1_13binary_searchIS3_S5_PdSB_SC_NS1_21upper_bound_search_opENS8_6detail16wrapped_functionINS0_4lessIvEEbEEEE10hipError_tPvRmT1_T2_T3_mmT4_T5_P12ihipStream_tbEUlRKdE_EESL_SP_SQ_mSR_SU_bEUlT_E_NS1_11comp_targetILNS1_3genE10ELNS1_11target_archE1201ELNS1_3gpuE5ELNS1_3repE0EEENS1_30default_config_static_selectorELNS0_4arch9wavefront6targetE0EEEvSO_
	.globl	_ZN7rocprim17ROCPRIM_400000_NS6detail17trampoline_kernelINS0_14default_configENS1_27upper_bound_config_selectorIdlEEZNS1_14transform_implILb0ES3_S5_N6thrust23THRUST_200600_302600_NS17counting_iteratorIdNS8_11use_defaultESA_SA_EEPlZNS1_13binary_searchIS3_S5_PdSB_SC_NS1_21upper_bound_search_opENS8_6detail16wrapped_functionINS0_4lessIvEEbEEEE10hipError_tPvRmT1_T2_T3_mmT4_T5_P12ihipStream_tbEUlRKdE_EESL_SP_SQ_mSR_SU_bEUlT_E_NS1_11comp_targetILNS1_3genE10ELNS1_11target_archE1201ELNS1_3gpuE5ELNS1_3repE0EEENS1_30default_config_static_selectorELNS0_4arch9wavefront6targetE0EEEvSO_
	.p2align	8
	.type	_ZN7rocprim17ROCPRIM_400000_NS6detail17trampoline_kernelINS0_14default_configENS1_27upper_bound_config_selectorIdlEEZNS1_14transform_implILb0ES3_S5_N6thrust23THRUST_200600_302600_NS17counting_iteratorIdNS8_11use_defaultESA_SA_EEPlZNS1_13binary_searchIS3_S5_PdSB_SC_NS1_21upper_bound_search_opENS8_6detail16wrapped_functionINS0_4lessIvEEbEEEE10hipError_tPvRmT1_T2_T3_mmT4_T5_P12ihipStream_tbEUlRKdE_EESL_SP_SQ_mSR_SU_bEUlT_E_NS1_11comp_targetILNS1_3genE10ELNS1_11target_archE1201ELNS1_3gpuE5ELNS1_3repE0EEENS1_30default_config_static_selectorELNS0_4arch9wavefront6targetE0EEEvSO_,@function
_ZN7rocprim17ROCPRIM_400000_NS6detail17trampoline_kernelINS0_14default_configENS1_27upper_bound_config_selectorIdlEEZNS1_14transform_implILb0ES3_S5_N6thrust23THRUST_200600_302600_NS17counting_iteratorIdNS8_11use_defaultESA_SA_EEPlZNS1_13binary_searchIS3_S5_PdSB_SC_NS1_21upper_bound_search_opENS8_6detail16wrapped_functionINS0_4lessIvEEbEEEE10hipError_tPvRmT1_T2_T3_mmT4_T5_P12ihipStream_tbEUlRKdE_EESL_SP_SQ_mSR_SU_bEUlT_E_NS1_11comp_targetILNS1_3genE10ELNS1_11target_archE1201ELNS1_3gpuE5ELNS1_3repE0EEENS1_30default_config_static_selectorELNS0_4arch9wavefront6targetE0EEEvSO_: ; @_ZN7rocprim17ROCPRIM_400000_NS6detail17trampoline_kernelINS0_14default_configENS1_27upper_bound_config_selectorIdlEEZNS1_14transform_implILb0ES3_S5_N6thrust23THRUST_200600_302600_NS17counting_iteratorIdNS8_11use_defaultESA_SA_EEPlZNS1_13binary_searchIS3_S5_PdSB_SC_NS1_21upper_bound_search_opENS8_6detail16wrapped_functionINS0_4lessIvEEbEEEE10hipError_tPvRmT1_T2_T3_mmT4_T5_P12ihipStream_tbEUlRKdE_EESL_SP_SQ_mSR_SU_bEUlT_E_NS1_11comp_targetILNS1_3genE10ELNS1_11target_archE1201ELNS1_3gpuE5ELNS1_3repE0EEENS1_30default_config_static_selectorELNS0_4arch9wavefront6targetE0EEEvSO_
; %bb.0:
	.section	.rodata,"a",@progbits
	.p2align	6, 0x0
	.amdhsa_kernel _ZN7rocprim17ROCPRIM_400000_NS6detail17trampoline_kernelINS0_14default_configENS1_27upper_bound_config_selectorIdlEEZNS1_14transform_implILb0ES3_S5_N6thrust23THRUST_200600_302600_NS17counting_iteratorIdNS8_11use_defaultESA_SA_EEPlZNS1_13binary_searchIS3_S5_PdSB_SC_NS1_21upper_bound_search_opENS8_6detail16wrapped_functionINS0_4lessIvEEbEEEE10hipError_tPvRmT1_T2_T3_mmT4_T5_P12ihipStream_tbEUlRKdE_EESL_SP_SQ_mSR_SU_bEUlT_E_NS1_11comp_targetILNS1_3genE10ELNS1_11target_archE1201ELNS1_3gpuE5ELNS1_3repE0EEENS1_30default_config_static_selectorELNS0_4arch9wavefront6targetE0EEEvSO_
		.amdhsa_group_segment_fixed_size 0
		.amdhsa_private_segment_fixed_size 0
		.amdhsa_kernarg_size 56
		.amdhsa_user_sgpr_count 15
		.amdhsa_user_sgpr_dispatch_ptr 0
		.amdhsa_user_sgpr_queue_ptr 0
		.amdhsa_user_sgpr_kernarg_segment_ptr 1
		.amdhsa_user_sgpr_dispatch_id 0
		.amdhsa_user_sgpr_private_segment_size 0
		.amdhsa_wavefront_size32 1
		.amdhsa_uses_dynamic_stack 0
		.amdhsa_enable_private_segment 0
		.amdhsa_system_sgpr_workgroup_id_x 1
		.amdhsa_system_sgpr_workgroup_id_y 0
		.amdhsa_system_sgpr_workgroup_id_z 0
		.amdhsa_system_sgpr_workgroup_info 0
		.amdhsa_system_vgpr_workitem_id 0
		.amdhsa_next_free_vgpr 1
		.amdhsa_next_free_sgpr 1
		.amdhsa_reserve_vcc 0
		.amdhsa_float_round_mode_32 0
		.amdhsa_float_round_mode_16_64 0
		.amdhsa_float_denorm_mode_32 3
		.amdhsa_float_denorm_mode_16_64 3
		.amdhsa_dx10_clamp 1
		.amdhsa_ieee_mode 1
		.amdhsa_fp16_overflow 0
		.amdhsa_workgroup_processor_mode 1
		.amdhsa_memory_ordered 1
		.amdhsa_forward_progress 0
		.amdhsa_shared_vgpr_count 0
		.amdhsa_exception_fp_ieee_invalid_op 0
		.amdhsa_exception_fp_denorm_src 0
		.amdhsa_exception_fp_ieee_div_zero 0
		.amdhsa_exception_fp_ieee_overflow 0
		.amdhsa_exception_fp_ieee_underflow 0
		.amdhsa_exception_fp_ieee_inexact 0
		.amdhsa_exception_int_div_zero 0
	.end_amdhsa_kernel
	.section	.text._ZN7rocprim17ROCPRIM_400000_NS6detail17trampoline_kernelINS0_14default_configENS1_27upper_bound_config_selectorIdlEEZNS1_14transform_implILb0ES3_S5_N6thrust23THRUST_200600_302600_NS17counting_iteratorIdNS8_11use_defaultESA_SA_EEPlZNS1_13binary_searchIS3_S5_PdSB_SC_NS1_21upper_bound_search_opENS8_6detail16wrapped_functionINS0_4lessIvEEbEEEE10hipError_tPvRmT1_T2_T3_mmT4_T5_P12ihipStream_tbEUlRKdE_EESL_SP_SQ_mSR_SU_bEUlT_E_NS1_11comp_targetILNS1_3genE10ELNS1_11target_archE1201ELNS1_3gpuE5ELNS1_3repE0EEENS1_30default_config_static_selectorELNS0_4arch9wavefront6targetE0EEEvSO_,"axG",@progbits,_ZN7rocprim17ROCPRIM_400000_NS6detail17trampoline_kernelINS0_14default_configENS1_27upper_bound_config_selectorIdlEEZNS1_14transform_implILb0ES3_S5_N6thrust23THRUST_200600_302600_NS17counting_iteratorIdNS8_11use_defaultESA_SA_EEPlZNS1_13binary_searchIS3_S5_PdSB_SC_NS1_21upper_bound_search_opENS8_6detail16wrapped_functionINS0_4lessIvEEbEEEE10hipError_tPvRmT1_T2_T3_mmT4_T5_P12ihipStream_tbEUlRKdE_EESL_SP_SQ_mSR_SU_bEUlT_E_NS1_11comp_targetILNS1_3genE10ELNS1_11target_archE1201ELNS1_3gpuE5ELNS1_3repE0EEENS1_30default_config_static_selectorELNS0_4arch9wavefront6targetE0EEEvSO_,comdat
.Lfunc_end94:
	.size	_ZN7rocprim17ROCPRIM_400000_NS6detail17trampoline_kernelINS0_14default_configENS1_27upper_bound_config_selectorIdlEEZNS1_14transform_implILb0ES3_S5_N6thrust23THRUST_200600_302600_NS17counting_iteratorIdNS8_11use_defaultESA_SA_EEPlZNS1_13binary_searchIS3_S5_PdSB_SC_NS1_21upper_bound_search_opENS8_6detail16wrapped_functionINS0_4lessIvEEbEEEE10hipError_tPvRmT1_T2_T3_mmT4_T5_P12ihipStream_tbEUlRKdE_EESL_SP_SQ_mSR_SU_bEUlT_E_NS1_11comp_targetILNS1_3genE10ELNS1_11target_archE1201ELNS1_3gpuE5ELNS1_3repE0EEENS1_30default_config_static_selectorELNS0_4arch9wavefront6targetE0EEEvSO_, .Lfunc_end94-_ZN7rocprim17ROCPRIM_400000_NS6detail17trampoline_kernelINS0_14default_configENS1_27upper_bound_config_selectorIdlEEZNS1_14transform_implILb0ES3_S5_N6thrust23THRUST_200600_302600_NS17counting_iteratorIdNS8_11use_defaultESA_SA_EEPlZNS1_13binary_searchIS3_S5_PdSB_SC_NS1_21upper_bound_search_opENS8_6detail16wrapped_functionINS0_4lessIvEEbEEEE10hipError_tPvRmT1_T2_T3_mmT4_T5_P12ihipStream_tbEUlRKdE_EESL_SP_SQ_mSR_SU_bEUlT_E_NS1_11comp_targetILNS1_3genE10ELNS1_11target_archE1201ELNS1_3gpuE5ELNS1_3repE0EEENS1_30default_config_static_selectorELNS0_4arch9wavefront6targetE0EEEvSO_
                                        ; -- End function
	.section	.AMDGPU.csdata,"",@progbits
; Kernel info:
; codeLenInByte = 0
; NumSgprs: 0
; NumVgprs: 0
; ScratchSize: 0
; MemoryBound: 0
; FloatMode: 240
; IeeeMode: 1
; LDSByteSize: 0 bytes/workgroup (compile time only)
; SGPRBlocks: 0
; VGPRBlocks: 0
; NumSGPRsForWavesPerEU: 1
; NumVGPRsForWavesPerEU: 1
; Occupancy: 16
; WaveLimiterHint : 0
; COMPUTE_PGM_RSRC2:SCRATCH_EN: 0
; COMPUTE_PGM_RSRC2:USER_SGPR: 15
; COMPUTE_PGM_RSRC2:TRAP_HANDLER: 0
; COMPUTE_PGM_RSRC2:TGID_X_EN: 1
; COMPUTE_PGM_RSRC2:TGID_Y_EN: 0
; COMPUTE_PGM_RSRC2:TGID_Z_EN: 0
; COMPUTE_PGM_RSRC2:TIDIG_COMP_CNT: 0
	.section	.text._ZN7rocprim17ROCPRIM_400000_NS6detail17trampoline_kernelINS0_14default_configENS1_27upper_bound_config_selectorIdlEEZNS1_14transform_implILb0ES3_S5_N6thrust23THRUST_200600_302600_NS17counting_iteratorIdNS8_11use_defaultESA_SA_EEPlZNS1_13binary_searchIS3_S5_PdSB_SC_NS1_21upper_bound_search_opENS8_6detail16wrapped_functionINS0_4lessIvEEbEEEE10hipError_tPvRmT1_T2_T3_mmT4_T5_P12ihipStream_tbEUlRKdE_EESL_SP_SQ_mSR_SU_bEUlT_E_NS1_11comp_targetILNS1_3genE10ELNS1_11target_archE1200ELNS1_3gpuE4ELNS1_3repE0EEENS1_30default_config_static_selectorELNS0_4arch9wavefront6targetE0EEEvSO_,"axG",@progbits,_ZN7rocprim17ROCPRIM_400000_NS6detail17trampoline_kernelINS0_14default_configENS1_27upper_bound_config_selectorIdlEEZNS1_14transform_implILb0ES3_S5_N6thrust23THRUST_200600_302600_NS17counting_iteratorIdNS8_11use_defaultESA_SA_EEPlZNS1_13binary_searchIS3_S5_PdSB_SC_NS1_21upper_bound_search_opENS8_6detail16wrapped_functionINS0_4lessIvEEbEEEE10hipError_tPvRmT1_T2_T3_mmT4_T5_P12ihipStream_tbEUlRKdE_EESL_SP_SQ_mSR_SU_bEUlT_E_NS1_11comp_targetILNS1_3genE10ELNS1_11target_archE1200ELNS1_3gpuE4ELNS1_3repE0EEENS1_30default_config_static_selectorELNS0_4arch9wavefront6targetE0EEEvSO_,comdat
	.protected	_ZN7rocprim17ROCPRIM_400000_NS6detail17trampoline_kernelINS0_14default_configENS1_27upper_bound_config_selectorIdlEEZNS1_14transform_implILb0ES3_S5_N6thrust23THRUST_200600_302600_NS17counting_iteratorIdNS8_11use_defaultESA_SA_EEPlZNS1_13binary_searchIS3_S5_PdSB_SC_NS1_21upper_bound_search_opENS8_6detail16wrapped_functionINS0_4lessIvEEbEEEE10hipError_tPvRmT1_T2_T3_mmT4_T5_P12ihipStream_tbEUlRKdE_EESL_SP_SQ_mSR_SU_bEUlT_E_NS1_11comp_targetILNS1_3genE10ELNS1_11target_archE1200ELNS1_3gpuE4ELNS1_3repE0EEENS1_30default_config_static_selectorELNS0_4arch9wavefront6targetE0EEEvSO_ ; -- Begin function _ZN7rocprim17ROCPRIM_400000_NS6detail17trampoline_kernelINS0_14default_configENS1_27upper_bound_config_selectorIdlEEZNS1_14transform_implILb0ES3_S5_N6thrust23THRUST_200600_302600_NS17counting_iteratorIdNS8_11use_defaultESA_SA_EEPlZNS1_13binary_searchIS3_S5_PdSB_SC_NS1_21upper_bound_search_opENS8_6detail16wrapped_functionINS0_4lessIvEEbEEEE10hipError_tPvRmT1_T2_T3_mmT4_T5_P12ihipStream_tbEUlRKdE_EESL_SP_SQ_mSR_SU_bEUlT_E_NS1_11comp_targetILNS1_3genE10ELNS1_11target_archE1200ELNS1_3gpuE4ELNS1_3repE0EEENS1_30default_config_static_selectorELNS0_4arch9wavefront6targetE0EEEvSO_
	.globl	_ZN7rocprim17ROCPRIM_400000_NS6detail17trampoline_kernelINS0_14default_configENS1_27upper_bound_config_selectorIdlEEZNS1_14transform_implILb0ES3_S5_N6thrust23THRUST_200600_302600_NS17counting_iteratorIdNS8_11use_defaultESA_SA_EEPlZNS1_13binary_searchIS3_S5_PdSB_SC_NS1_21upper_bound_search_opENS8_6detail16wrapped_functionINS0_4lessIvEEbEEEE10hipError_tPvRmT1_T2_T3_mmT4_T5_P12ihipStream_tbEUlRKdE_EESL_SP_SQ_mSR_SU_bEUlT_E_NS1_11comp_targetILNS1_3genE10ELNS1_11target_archE1200ELNS1_3gpuE4ELNS1_3repE0EEENS1_30default_config_static_selectorELNS0_4arch9wavefront6targetE0EEEvSO_
	.p2align	8
	.type	_ZN7rocprim17ROCPRIM_400000_NS6detail17trampoline_kernelINS0_14default_configENS1_27upper_bound_config_selectorIdlEEZNS1_14transform_implILb0ES3_S5_N6thrust23THRUST_200600_302600_NS17counting_iteratorIdNS8_11use_defaultESA_SA_EEPlZNS1_13binary_searchIS3_S5_PdSB_SC_NS1_21upper_bound_search_opENS8_6detail16wrapped_functionINS0_4lessIvEEbEEEE10hipError_tPvRmT1_T2_T3_mmT4_T5_P12ihipStream_tbEUlRKdE_EESL_SP_SQ_mSR_SU_bEUlT_E_NS1_11comp_targetILNS1_3genE10ELNS1_11target_archE1200ELNS1_3gpuE4ELNS1_3repE0EEENS1_30default_config_static_selectorELNS0_4arch9wavefront6targetE0EEEvSO_,@function
_ZN7rocprim17ROCPRIM_400000_NS6detail17trampoline_kernelINS0_14default_configENS1_27upper_bound_config_selectorIdlEEZNS1_14transform_implILb0ES3_S5_N6thrust23THRUST_200600_302600_NS17counting_iteratorIdNS8_11use_defaultESA_SA_EEPlZNS1_13binary_searchIS3_S5_PdSB_SC_NS1_21upper_bound_search_opENS8_6detail16wrapped_functionINS0_4lessIvEEbEEEE10hipError_tPvRmT1_T2_T3_mmT4_T5_P12ihipStream_tbEUlRKdE_EESL_SP_SQ_mSR_SU_bEUlT_E_NS1_11comp_targetILNS1_3genE10ELNS1_11target_archE1200ELNS1_3gpuE4ELNS1_3repE0EEENS1_30default_config_static_selectorELNS0_4arch9wavefront6targetE0EEEvSO_: ; @_ZN7rocprim17ROCPRIM_400000_NS6detail17trampoline_kernelINS0_14default_configENS1_27upper_bound_config_selectorIdlEEZNS1_14transform_implILb0ES3_S5_N6thrust23THRUST_200600_302600_NS17counting_iteratorIdNS8_11use_defaultESA_SA_EEPlZNS1_13binary_searchIS3_S5_PdSB_SC_NS1_21upper_bound_search_opENS8_6detail16wrapped_functionINS0_4lessIvEEbEEEE10hipError_tPvRmT1_T2_T3_mmT4_T5_P12ihipStream_tbEUlRKdE_EESL_SP_SQ_mSR_SU_bEUlT_E_NS1_11comp_targetILNS1_3genE10ELNS1_11target_archE1200ELNS1_3gpuE4ELNS1_3repE0EEENS1_30default_config_static_selectorELNS0_4arch9wavefront6targetE0EEEvSO_
; %bb.0:
	.section	.rodata,"a",@progbits
	.p2align	6, 0x0
	.amdhsa_kernel _ZN7rocprim17ROCPRIM_400000_NS6detail17trampoline_kernelINS0_14default_configENS1_27upper_bound_config_selectorIdlEEZNS1_14transform_implILb0ES3_S5_N6thrust23THRUST_200600_302600_NS17counting_iteratorIdNS8_11use_defaultESA_SA_EEPlZNS1_13binary_searchIS3_S5_PdSB_SC_NS1_21upper_bound_search_opENS8_6detail16wrapped_functionINS0_4lessIvEEbEEEE10hipError_tPvRmT1_T2_T3_mmT4_T5_P12ihipStream_tbEUlRKdE_EESL_SP_SQ_mSR_SU_bEUlT_E_NS1_11comp_targetILNS1_3genE10ELNS1_11target_archE1200ELNS1_3gpuE4ELNS1_3repE0EEENS1_30default_config_static_selectorELNS0_4arch9wavefront6targetE0EEEvSO_
		.amdhsa_group_segment_fixed_size 0
		.amdhsa_private_segment_fixed_size 0
		.amdhsa_kernarg_size 56
		.amdhsa_user_sgpr_count 15
		.amdhsa_user_sgpr_dispatch_ptr 0
		.amdhsa_user_sgpr_queue_ptr 0
		.amdhsa_user_sgpr_kernarg_segment_ptr 1
		.amdhsa_user_sgpr_dispatch_id 0
		.amdhsa_user_sgpr_private_segment_size 0
		.amdhsa_wavefront_size32 1
		.amdhsa_uses_dynamic_stack 0
		.amdhsa_enable_private_segment 0
		.amdhsa_system_sgpr_workgroup_id_x 1
		.amdhsa_system_sgpr_workgroup_id_y 0
		.amdhsa_system_sgpr_workgroup_id_z 0
		.amdhsa_system_sgpr_workgroup_info 0
		.amdhsa_system_vgpr_workitem_id 0
		.amdhsa_next_free_vgpr 1
		.amdhsa_next_free_sgpr 1
		.amdhsa_reserve_vcc 0
		.amdhsa_float_round_mode_32 0
		.amdhsa_float_round_mode_16_64 0
		.amdhsa_float_denorm_mode_32 3
		.amdhsa_float_denorm_mode_16_64 3
		.amdhsa_dx10_clamp 1
		.amdhsa_ieee_mode 1
		.amdhsa_fp16_overflow 0
		.amdhsa_workgroup_processor_mode 1
		.amdhsa_memory_ordered 1
		.amdhsa_forward_progress 0
		.amdhsa_shared_vgpr_count 0
		.amdhsa_exception_fp_ieee_invalid_op 0
		.amdhsa_exception_fp_denorm_src 0
		.amdhsa_exception_fp_ieee_div_zero 0
		.amdhsa_exception_fp_ieee_overflow 0
		.amdhsa_exception_fp_ieee_underflow 0
		.amdhsa_exception_fp_ieee_inexact 0
		.amdhsa_exception_int_div_zero 0
	.end_amdhsa_kernel
	.section	.text._ZN7rocprim17ROCPRIM_400000_NS6detail17trampoline_kernelINS0_14default_configENS1_27upper_bound_config_selectorIdlEEZNS1_14transform_implILb0ES3_S5_N6thrust23THRUST_200600_302600_NS17counting_iteratorIdNS8_11use_defaultESA_SA_EEPlZNS1_13binary_searchIS3_S5_PdSB_SC_NS1_21upper_bound_search_opENS8_6detail16wrapped_functionINS0_4lessIvEEbEEEE10hipError_tPvRmT1_T2_T3_mmT4_T5_P12ihipStream_tbEUlRKdE_EESL_SP_SQ_mSR_SU_bEUlT_E_NS1_11comp_targetILNS1_3genE10ELNS1_11target_archE1200ELNS1_3gpuE4ELNS1_3repE0EEENS1_30default_config_static_selectorELNS0_4arch9wavefront6targetE0EEEvSO_,"axG",@progbits,_ZN7rocprim17ROCPRIM_400000_NS6detail17trampoline_kernelINS0_14default_configENS1_27upper_bound_config_selectorIdlEEZNS1_14transform_implILb0ES3_S5_N6thrust23THRUST_200600_302600_NS17counting_iteratorIdNS8_11use_defaultESA_SA_EEPlZNS1_13binary_searchIS3_S5_PdSB_SC_NS1_21upper_bound_search_opENS8_6detail16wrapped_functionINS0_4lessIvEEbEEEE10hipError_tPvRmT1_T2_T3_mmT4_T5_P12ihipStream_tbEUlRKdE_EESL_SP_SQ_mSR_SU_bEUlT_E_NS1_11comp_targetILNS1_3genE10ELNS1_11target_archE1200ELNS1_3gpuE4ELNS1_3repE0EEENS1_30default_config_static_selectorELNS0_4arch9wavefront6targetE0EEEvSO_,comdat
.Lfunc_end95:
	.size	_ZN7rocprim17ROCPRIM_400000_NS6detail17trampoline_kernelINS0_14default_configENS1_27upper_bound_config_selectorIdlEEZNS1_14transform_implILb0ES3_S5_N6thrust23THRUST_200600_302600_NS17counting_iteratorIdNS8_11use_defaultESA_SA_EEPlZNS1_13binary_searchIS3_S5_PdSB_SC_NS1_21upper_bound_search_opENS8_6detail16wrapped_functionINS0_4lessIvEEbEEEE10hipError_tPvRmT1_T2_T3_mmT4_T5_P12ihipStream_tbEUlRKdE_EESL_SP_SQ_mSR_SU_bEUlT_E_NS1_11comp_targetILNS1_3genE10ELNS1_11target_archE1200ELNS1_3gpuE4ELNS1_3repE0EEENS1_30default_config_static_selectorELNS0_4arch9wavefront6targetE0EEEvSO_, .Lfunc_end95-_ZN7rocprim17ROCPRIM_400000_NS6detail17trampoline_kernelINS0_14default_configENS1_27upper_bound_config_selectorIdlEEZNS1_14transform_implILb0ES3_S5_N6thrust23THRUST_200600_302600_NS17counting_iteratorIdNS8_11use_defaultESA_SA_EEPlZNS1_13binary_searchIS3_S5_PdSB_SC_NS1_21upper_bound_search_opENS8_6detail16wrapped_functionINS0_4lessIvEEbEEEE10hipError_tPvRmT1_T2_T3_mmT4_T5_P12ihipStream_tbEUlRKdE_EESL_SP_SQ_mSR_SU_bEUlT_E_NS1_11comp_targetILNS1_3genE10ELNS1_11target_archE1200ELNS1_3gpuE4ELNS1_3repE0EEENS1_30default_config_static_selectorELNS0_4arch9wavefront6targetE0EEEvSO_
                                        ; -- End function
	.section	.AMDGPU.csdata,"",@progbits
; Kernel info:
; codeLenInByte = 0
; NumSgprs: 0
; NumVgprs: 0
; ScratchSize: 0
; MemoryBound: 0
; FloatMode: 240
; IeeeMode: 1
; LDSByteSize: 0 bytes/workgroup (compile time only)
; SGPRBlocks: 0
; VGPRBlocks: 0
; NumSGPRsForWavesPerEU: 1
; NumVGPRsForWavesPerEU: 1
; Occupancy: 16
; WaveLimiterHint : 0
; COMPUTE_PGM_RSRC2:SCRATCH_EN: 0
; COMPUTE_PGM_RSRC2:USER_SGPR: 15
; COMPUTE_PGM_RSRC2:TRAP_HANDLER: 0
; COMPUTE_PGM_RSRC2:TGID_X_EN: 1
; COMPUTE_PGM_RSRC2:TGID_Y_EN: 0
; COMPUTE_PGM_RSRC2:TGID_Z_EN: 0
; COMPUTE_PGM_RSRC2:TIDIG_COMP_CNT: 0
	.section	.text._ZN7rocprim17ROCPRIM_400000_NS6detail17trampoline_kernelINS0_14default_configENS1_27upper_bound_config_selectorIdlEEZNS1_14transform_implILb0ES3_S5_N6thrust23THRUST_200600_302600_NS17counting_iteratorIdNS8_11use_defaultESA_SA_EEPlZNS1_13binary_searchIS3_S5_PdSB_SC_NS1_21upper_bound_search_opENS8_6detail16wrapped_functionINS0_4lessIvEEbEEEE10hipError_tPvRmT1_T2_T3_mmT4_T5_P12ihipStream_tbEUlRKdE_EESL_SP_SQ_mSR_SU_bEUlT_E_NS1_11comp_targetILNS1_3genE9ELNS1_11target_archE1100ELNS1_3gpuE3ELNS1_3repE0EEENS1_30default_config_static_selectorELNS0_4arch9wavefront6targetE0EEEvSO_,"axG",@progbits,_ZN7rocprim17ROCPRIM_400000_NS6detail17trampoline_kernelINS0_14default_configENS1_27upper_bound_config_selectorIdlEEZNS1_14transform_implILb0ES3_S5_N6thrust23THRUST_200600_302600_NS17counting_iteratorIdNS8_11use_defaultESA_SA_EEPlZNS1_13binary_searchIS3_S5_PdSB_SC_NS1_21upper_bound_search_opENS8_6detail16wrapped_functionINS0_4lessIvEEbEEEE10hipError_tPvRmT1_T2_T3_mmT4_T5_P12ihipStream_tbEUlRKdE_EESL_SP_SQ_mSR_SU_bEUlT_E_NS1_11comp_targetILNS1_3genE9ELNS1_11target_archE1100ELNS1_3gpuE3ELNS1_3repE0EEENS1_30default_config_static_selectorELNS0_4arch9wavefront6targetE0EEEvSO_,comdat
	.protected	_ZN7rocprim17ROCPRIM_400000_NS6detail17trampoline_kernelINS0_14default_configENS1_27upper_bound_config_selectorIdlEEZNS1_14transform_implILb0ES3_S5_N6thrust23THRUST_200600_302600_NS17counting_iteratorIdNS8_11use_defaultESA_SA_EEPlZNS1_13binary_searchIS3_S5_PdSB_SC_NS1_21upper_bound_search_opENS8_6detail16wrapped_functionINS0_4lessIvEEbEEEE10hipError_tPvRmT1_T2_T3_mmT4_T5_P12ihipStream_tbEUlRKdE_EESL_SP_SQ_mSR_SU_bEUlT_E_NS1_11comp_targetILNS1_3genE9ELNS1_11target_archE1100ELNS1_3gpuE3ELNS1_3repE0EEENS1_30default_config_static_selectorELNS0_4arch9wavefront6targetE0EEEvSO_ ; -- Begin function _ZN7rocprim17ROCPRIM_400000_NS6detail17trampoline_kernelINS0_14default_configENS1_27upper_bound_config_selectorIdlEEZNS1_14transform_implILb0ES3_S5_N6thrust23THRUST_200600_302600_NS17counting_iteratorIdNS8_11use_defaultESA_SA_EEPlZNS1_13binary_searchIS3_S5_PdSB_SC_NS1_21upper_bound_search_opENS8_6detail16wrapped_functionINS0_4lessIvEEbEEEE10hipError_tPvRmT1_T2_T3_mmT4_T5_P12ihipStream_tbEUlRKdE_EESL_SP_SQ_mSR_SU_bEUlT_E_NS1_11comp_targetILNS1_3genE9ELNS1_11target_archE1100ELNS1_3gpuE3ELNS1_3repE0EEENS1_30default_config_static_selectorELNS0_4arch9wavefront6targetE0EEEvSO_
	.globl	_ZN7rocprim17ROCPRIM_400000_NS6detail17trampoline_kernelINS0_14default_configENS1_27upper_bound_config_selectorIdlEEZNS1_14transform_implILb0ES3_S5_N6thrust23THRUST_200600_302600_NS17counting_iteratorIdNS8_11use_defaultESA_SA_EEPlZNS1_13binary_searchIS3_S5_PdSB_SC_NS1_21upper_bound_search_opENS8_6detail16wrapped_functionINS0_4lessIvEEbEEEE10hipError_tPvRmT1_T2_T3_mmT4_T5_P12ihipStream_tbEUlRKdE_EESL_SP_SQ_mSR_SU_bEUlT_E_NS1_11comp_targetILNS1_3genE9ELNS1_11target_archE1100ELNS1_3gpuE3ELNS1_3repE0EEENS1_30default_config_static_selectorELNS0_4arch9wavefront6targetE0EEEvSO_
	.p2align	8
	.type	_ZN7rocprim17ROCPRIM_400000_NS6detail17trampoline_kernelINS0_14default_configENS1_27upper_bound_config_selectorIdlEEZNS1_14transform_implILb0ES3_S5_N6thrust23THRUST_200600_302600_NS17counting_iteratorIdNS8_11use_defaultESA_SA_EEPlZNS1_13binary_searchIS3_S5_PdSB_SC_NS1_21upper_bound_search_opENS8_6detail16wrapped_functionINS0_4lessIvEEbEEEE10hipError_tPvRmT1_T2_T3_mmT4_T5_P12ihipStream_tbEUlRKdE_EESL_SP_SQ_mSR_SU_bEUlT_E_NS1_11comp_targetILNS1_3genE9ELNS1_11target_archE1100ELNS1_3gpuE3ELNS1_3repE0EEENS1_30default_config_static_selectorELNS0_4arch9wavefront6targetE0EEEvSO_,@function
_ZN7rocprim17ROCPRIM_400000_NS6detail17trampoline_kernelINS0_14default_configENS1_27upper_bound_config_selectorIdlEEZNS1_14transform_implILb0ES3_S5_N6thrust23THRUST_200600_302600_NS17counting_iteratorIdNS8_11use_defaultESA_SA_EEPlZNS1_13binary_searchIS3_S5_PdSB_SC_NS1_21upper_bound_search_opENS8_6detail16wrapped_functionINS0_4lessIvEEbEEEE10hipError_tPvRmT1_T2_T3_mmT4_T5_P12ihipStream_tbEUlRKdE_EESL_SP_SQ_mSR_SU_bEUlT_E_NS1_11comp_targetILNS1_3genE9ELNS1_11target_archE1100ELNS1_3gpuE3ELNS1_3repE0EEENS1_30default_config_static_selectorELNS0_4arch9wavefront6targetE0EEEvSO_: ; @_ZN7rocprim17ROCPRIM_400000_NS6detail17trampoline_kernelINS0_14default_configENS1_27upper_bound_config_selectorIdlEEZNS1_14transform_implILb0ES3_S5_N6thrust23THRUST_200600_302600_NS17counting_iteratorIdNS8_11use_defaultESA_SA_EEPlZNS1_13binary_searchIS3_S5_PdSB_SC_NS1_21upper_bound_search_opENS8_6detail16wrapped_functionINS0_4lessIvEEbEEEE10hipError_tPvRmT1_T2_T3_mmT4_T5_P12ihipStream_tbEUlRKdE_EESL_SP_SQ_mSR_SU_bEUlT_E_NS1_11comp_targetILNS1_3genE9ELNS1_11target_archE1100ELNS1_3gpuE3ELNS1_3repE0EEENS1_30default_config_static_selectorELNS0_4arch9wavefront6targetE0EEEvSO_
; %bb.0:
	s_clause 0x3
	s_load_b128 s[8:11], s[0:1], 0x0
	s_load_b128 s[4:7], s[0:1], 0x18
	s_load_b32 s2, s[0:1], 0x38
	s_load_b64 s[12:13], s[0:1], 0x28
	s_mov_b32 s3, -1
	s_waitcnt lgkmcnt(0)
	v_cvt_f64_i32_e32 v[1:2], s11
	v_cvt_f64_u32_e32 v[3:4], s10
	s_add_i32 s2, s2, -1
	s_delay_alu instid0(VALU_DEP_2) | instskip(NEXT) | instid1(VALU_DEP_1)
	v_ldexp_f64 v[1:2], v[1:2], 32
	v_add_f64 v[1:2], v[1:2], v[3:4]
	s_delay_alu instid0(VALU_DEP_1)
	v_add_f64 v[3:4], s[8:9], v[1:2]
	s_lshl_b32 s8, s15, 8
	s_mov_b32 s9, 0
	s_cmp_lg_u32 s15, s2
	s_cbranch_scc0 .LBB96_6
; %bb.1:
	v_mov_b32_e32 v1, 0
	v_mov_b32_e32 v2, 0
	s_cmp_eq_u64 s[12:13], 0
	s_cbranch_scc1 .LBB96_5
; %bb.2:
	v_cvt_f64_u32_e32 v[1:2], s8
	v_cvt_f64_u32_e32 v[5:6], v0
	s_mov_b32 s3, 0
	v_dual_mov_b32 v7, s12 :: v_dual_mov_b32 v8, s13
	s_delay_alu instid0(VALU_DEP_3) | instskip(NEXT) | instid1(VALU_DEP_1)
	v_add_f64 v[1:2], v[3:4], v[1:2]
	v_add_f64 v[5:6], v[1:2], v[5:6]
	v_mov_b32_e32 v1, 0
	v_mov_b32_e32 v2, 0
	s_set_inst_prefetch_distance 0x1
	.p2align	6
.LBB96_3:                               ; =>This Inner Loop Header: Depth=1
	s_delay_alu instid0(VALU_DEP_2) | instskip(NEXT) | instid1(VALU_DEP_2)
	v_sub_co_u32 v9, vcc_lo, v7, v1
	v_sub_co_ci_u32_e32 v10, vcc_lo, v8, v2, vcc_lo
	s_delay_alu instid0(VALU_DEP_1) | instskip(SKIP_1) | instid1(VALU_DEP_2)
	v_lshrrev_b64 v[11:12], 1, v[9:10]
	v_lshrrev_b64 v[9:10], 6, v[9:10]
	v_add_co_u32 v11, vcc_lo, v11, v1
	s_delay_alu instid0(VALU_DEP_3) | instskip(NEXT) | instid1(VALU_DEP_2)
	v_add_co_ci_u32_e32 v12, vcc_lo, v12, v2, vcc_lo
	v_add_co_u32 v9, vcc_lo, v11, v9
	s_delay_alu instid0(VALU_DEP_2) | instskip(NEXT) | instid1(VALU_DEP_1)
	v_add_co_ci_u32_e32 v10, vcc_lo, v12, v10, vcc_lo
	v_lshlrev_b64 v[11:12], 3, v[9:10]
	s_delay_alu instid0(VALU_DEP_1) | instskip(NEXT) | instid1(VALU_DEP_2)
	v_add_co_u32 v11, vcc_lo, s6, v11
	v_add_co_ci_u32_e32 v12, vcc_lo, s7, v12, vcc_lo
	global_load_b64 v[11:12], v[11:12], off
	s_waitcnt vmcnt(0)
	v_cmp_gt_f64_e32 vcc_lo, v[11:12], v[5:6]
	v_add_co_u32 v11, s2, v9, 1
	s_delay_alu instid0(VALU_DEP_1) | instskip(SKIP_1) | instid1(VALU_DEP_2)
	v_add_co_ci_u32_e64 v12, s2, 0, v10, s2
	v_dual_cndmask_b32 v8, v8, v10 :: v_dual_cndmask_b32 v7, v7, v9
	v_dual_cndmask_b32 v2, v12, v2 :: v_dual_cndmask_b32 v1, v11, v1
	s_delay_alu instid0(VALU_DEP_1) | instskip(SKIP_1) | instid1(SALU_CYCLE_1)
	v_cmp_ge_u64_e32 vcc_lo, v[1:2], v[7:8]
	s_or_b32 s3, vcc_lo, s3
	s_and_not1_b32 exec_lo, exec_lo, s3
	s_cbranch_execnz .LBB96_3
; %bb.4:
	s_set_inst_prefetch_distance 0x2
	s_or_b32 exec_lo, exec_lo, s3
.LBB96_5:
	s_mov_b32 s2, -1
	s_cbranch_execz .LBB96_7
	s_branch .LBB96_13
.LBB96_6:
	s_mov_b32 s2, s9
                                        ; implicit-def: $vgpr1_vgpr2
	s_and_not1_b32 vcc_lo, exec_lo, s3
	s_cbranch_vccnz .LBB96_13
.LBB96_7:
	s_load_b32 s0, s[0:1], 0x10
                                        ; implicit-def: $vgpr1_vgpr2
	s_waitcnt lgkmcnt(0)
	s_sub_i32 s0, s0, s8
	s_delay_alu instid0(SALU_CYCLE_1) | instskip(NEXT) | instid1(VALU_DEP_1)
	v_cmp_gt_u32_e64 s2, s0, v0
	s_and_saveexec_b32 s1, s2
	s_cbranch_execz .LBB96_12
; %bb.8:
	v_mov_b32_e32 v1, 0
	v_mov_b32_e32 v2, 0
	s_cmp_eq_u64 s[12:13], 0
	s_cbranch_scc1 .LBB96_12
; %bb.9:
	v_cvt_f64_u32_e32 v[1:2], s8
	s_mov_b32 s3, 0
	v_dual_mov_b32 v5, s12 :: v_dual_mov_b32 v6, s13
	s_delay_alu instid0(VALU_DEP_2) | instskip(SKIP_1) | instid1(VALU_DEP_1)
	v_add_f64 v[1:2], v[3:4], v[1:2]
	v_cvt_f64_u32_e32 v[3:4], v0
	v_add_f64 v[3:4], v[1:2], v[3:4]
	v_mov_b32_e32 v1, 0
	v_mov_b32_e32 v2, 0
	s_set_inst_prefetch_distance 0x1
	.p2align	6
.LBB96_10:                              ; =>This Inner Loop Header: Depth=1
	s_delay_alu instid0(VALU_DEP_2) | instskip(NEXT) | instid1(VALU_DEP_2)
	v_sub_co_u32 v7, vcc_lo, v5, v1
	v_sub_co_ci_u32_e32 v8, vcc_lo, v6, v2, vcc_lo
	s_delay_alu instid0(VALU_DEP_1) | instskip(SKIP_1) | instid1(VALU_DEP_2)
	v_lshrrev_b64 v[9:10], 1, v[7:8]
	v_lshrrev_b64 v[7:8], 6, v[7:8]
	v_add_co_u32 v9, vcc_lo, v9, v1
	s_delay_alu instid0(VALU_DEP_3) | instskip(NEXT) | instid1(VALU_DEP_2)
	v_add_co_ci_u32_e32 v10, vcc_lo, v10, v2, vcc_lo
	v_add_co_u32 v7, vcc_lo, v9, v7
	s_delay_alu instid0(VALU_DEP_2) | instskip(NEXT) | instid1(VALU_DEP_1)
	v_add_co_ci_u32_e32 v8, vcc_lo, v10, v8, vcc_lo
	v_lshlrev_b64 v[9:10], 3, v[7:8]
	s_delay_alu instid0(VALU_DEP_1) | instskip(NEXT) | instid1(VALU_DEP_2)
	v_add_co_u32 v9, vcc_lo, s6, v9
	v_add_co_ci_u32_e32 v10, vcc_lo, s7, v10, vcc_lo
	global_load_b64 v[9:10], v[9:10], off
	s_waitcnt vmcnt(0)
	v_cmp_gt_f64_e32 vcc_lo, v[9:10], v[3:4]
	v_add_co_u32 v9, s0, v7, 1
	s_delay_alu instid0(VALU_DEP_1) | instskip(SKIP_1) | instid1(VALU_DEP_2)
	v_add_co_ci_u32_e64 v10, s0, 0, v8, s0
	v_dual_cndmask_b32 v6, v6, v8 :: v_dual_cndmask_b32 v5, v5, v7
	v_dual_cndmask_b32 v2, v10, v2 :: v_dual_cndmask_b32 v1, v9, v1
	s_delay_alu instid0(VALU_DEP_1) | instskip(SKIP_1) | instid1(SALU_CYCLE_1)
	v_cmp_ge_u64_e32 vcc_lo, v[1:2], v[5:6]
	s_or_b32 s3, vcc_lo, s3
	s_and_not1_b32 exec_lo, exec_lo, s3
	s_cbranch_execnz .LBB96_10
; %bb.11:
	s_set_inst_prefetch_distance 0x2
	s_or_b32 exec_lo, exec_lo, s3
.LBB96_12:
	s_delay_alu instid0(SALU_CYCLE_1)
	s_or_b32 exec_lo, exec_lo, s1
.LBB96_13:
	s_and_saveexec_b32 s0, s2
	s_cbranch_execnz .LBB96_15
; %bb.14:
	s_endpgm
.LBB96_15:
	s_lshl_b64 s[0:1], s[10:11], 3
	v_lshlrev_b32_e32 v0, 3, v0
	s_add_u32 s2, s4, s0
	s_addc_u32 s3, s5, s1
	s_lshl_b64 s[0:1], s[8:9], 3
	s_delay_alu instid0(SALU_CYCLE_1)
	s_add_u32 s0, s2, s0
	s_addc_u32 s1, s3, s1
	global_store_b64 v0, v[1:2], s[0:1]
	s_nop 0
	s_sendmsg sendmsg(MSG_DEALLOC_VGPRS)
	s_endpgm
	.section	.rodata,"a",@progbits
	.p2align	6, 0x0
	.amdhsa_kernel _ZN7rocprim17ROCPRIM_400000_NS6detail17trampoline_kernelINS0_14default_configENS1_27upper_bound_config_selectorIdlEEZNS1_14transform_implILb0ES3_S5_N6thrust23THRUST_200600_302600_NS17counting_iteratorIdNS8_11use_defaultESA_SA_EEPlZNS1_13binary_searchIS3_S5_PdSB_SC_NS1_21upper_bound_search_opENS8_6detail16wrapped_functionINS0_4lessIvEEbEEEE10hipError_tPvRmT1_T2_T3_mmT4_T5_P12ihipStream_tbEUlRKdE_EESL_SP_SQ_mSR_SU_bEUlT_E_NS1_11comp_targetILNS1_3genE9ELNS1_11target_archE1100ELNS1_3gpuE3ELNS1_3repE0EEENS1_30default_config_static_selectorELNS0_4arch9wavefront6targetE0EEEvSO_
		.amdhsa_group_segment_fixed_size 0
		.amdhsa_private_segment_fixed_size 0
		.amdhsa_kernarg_size 312
		.amdhsa_user_sgpr_count 15
		.amdhsa_user_sgpr_dispatch_ptr 0
		.amdhsa_user_sgpr_queue_ptr 0
		.amdhsa_user_sgpr_kernarg_segment_ptr 1
		.amdhsa_user_sgpr_dispatch_id 0
		.amdhsa_user_sgpr_private_segment_size 0
		.amdhsa_wavefront_size32 1
		.amdhsa_uses_dynamic_stack 0
		.amdhsa_enable_private_segment 0
		.amdhsa_system_sgpr_workgroup_id_x 1
		.amdhsa_system_sgpr_workgroup_id_y 0
		.amdhsa_system_sgpr_workgroup_id_z 0
		.amdhsa_system_sgpr_workgroup_info 0
		.amdhsa_system_vgpr_workitem_id 0
		.amdhsa_next_free_vgpr 13
		.amdhsa_next_free_sgpr 16
		.amdhsa_reserve_vcc 1
		.amdhsa_float_round_mode_32 0
		.amdhsa_float_round_mode_16_64 0
		.amdhsa_float_denorm_mode_32 3
		.amdhsa_float_denorm_mode_16_64 3
		.amdhsa_dx10_clamp 1
		.amdhsa_ieee_mode 1
		.amdhsa_fp16_overflow 0
		.amdhsa_workgroup_processor_mode 1
		.amdhsa_memory_ordered 1
		.amdhsa_forward_progress 0
		.amdhsa_shared_vgpr_count 0
		.amdhsa_exception_fp_ieee_invalid_op 0
		.amdhsa_exception_fp_denorm_src 0
		.amdhsa_exception_fp_ieee_div_zero 0
		.amdhsa_exception_fp_ieee_overflow 0
		.amdhsa_exception_fp_ieee_underflow 0
		.amdhsa_exception_fp_ieee_inexact 0
		.amdhsa_exception_int_div_zero 0
	.end_amdhsa_kernel
	.section	.text._ZN7rocprim17ROCPRIM_400000_NS6detail17trampoline_kernelINS0_14default_configENS1_27upper_bound_config_selectorIdlEEZNS1_14transform_implILb0ES3_S5_N6thrust23THRUST_200600_302600_NS17counting_iteratorIdNS8_11use_defaultESA_SA_EEPlZNS1_13binary_searchIS3_S5_PdSB_SC_NS1_21upper_bound_search_opENS8_6detail16wrapped_functionINS0_4lessIvEEbEEEE10hipError_tPvRmT1_T2_T3_mmT4_T5_P12ihipStream_tbEUlRKdE_EESL_SP_SQ_mSR_SU_bEUlT_E_NS1_11comp_targetILNS1_3genE9ELNS1_11target_archE1100ELNS1_3gpuE3ELNS1_3repE0EEENS1_30default_config_static_selectorELNS0_4arch9wavefront6targetE0EEEvSO_,"axG",@progbits,_ZN7rocprim17ROCPRIM_400000_NS6detail17trampoline_kernelINS0_14default_configENS1_27upper_bound_config_selectorIdlEEZNS1_14transform_implILb0ES3_S5_N6thrust23THRUST_200600_302600_NS17counting_iteratorIdNS8_11use_defaultESA_SA_EEPlZNS1_13binary_searchIS3_S5_PdSB_SC_NS1_21upper_bound_search_opENS8_6detail16wrapped_functionINS0_4lessIvEEbEEEE10hipError_tPvRmT1_T2_T3_mmT4_T5_P12ihipStream_tbEUlRKdE_EESL_SP_SQ_mSR_SU_bEUlT_E_NS1_11comp_targetILNS1_3genE9ELNS1_11target_archE1100ELNS1_3gpuE3ELNS1_3repE0EEENS1_30default_config_static_selectorELNS0_4arch9wavefront6targetE0EEEvSO_,comdat
.Lfunc_end96:
	.size	_ZN7rocprim17ROCPRIM_400000_NS6detail17trampoline_kernelINS0_14default_configENS1_27upper_bound_config_selectorIdlEEZNS1_14transform_implILb0ES3_S5_N6thrust23THRUST_200600_302600_NS17counting_iteratorIdNS8_11use_defaultESA_SA_EEPlZNS1_13binary_searchIS3_S5_PdSB_SC_NS1_21upper_bound_search_opENS8_6detail16wrapped_functionINS0_4lessIvEEbEEEE10hipError_tPvRmT1_T2_T3_mmT4_T5_P12ihipStream_tbEUlRKdE_EESL_SP_SQ_mSR_SU_bEUlT_E_NS1_11comp_targetILNS1_3genE9ELNS1_11target_archE1100ELNS1_3gpuE3ELNS1_3repE0EEENS1_30default_config_static_selectorELNS0_4arch9wavefront6targetE0EEEvSO_, .Lfunc_end96-_ZN7rocprim17ROCPRIM_400000_NS6detail17trampoline_kernelINS0_14default_configENS1_27upper_bound_config_selectorIdlEEZNS1_14transform_implILb0ES3_S5_N6thrust23THRUST_200600_302600_NS17counting_iteratorIdNS8_11use_defaultESA_SA_EEPlZNS1_13binary_searchIS3_S5_PdSB_SC_NS1_21upper_bound_search_opENS8_6detail16wrapped_functionINS0_4lessIvEEbEEEE10hipError_tPvRmT1_T2_T3_mmT4_T5_P12ihipStream_tbEUlRKdE_EESL_SP_SQ_mSR_SU_bEUlT_E_NS1_11comp_targetILNS1_3genE9ELNS1_11target_archE1100ELNS1_3gpuE3ELNS1_3repE0EEENS1_30default_config_static_selectorELNS0_4arch9wavefront6targetE0EEEvSO_
                                        ; -- End function
	.section	.AMDGPU.csdata,"",@progbits
; Kernel info:
; codeLenInByte = 716
; NumSgprs: 18
; NumVgprs: 13
; ScratchSize: 0
; MemoryBound: 0
; FloatMode: 240
; IeeeMode: 1
; LDSByteSize: 0 bytes/workgroup (compile time only)
; SGPRBlocks: 2
; VGPRBlocks: 1
; NumSGPRsForWavesPerEU: 18
; NumVGPRsForWavesPerEU: 13
; Occupancy: 16
; WaveLimiterHint : 0
; COMPUTE_PGM_RSRC2:SCRATCH_EN: 0
; COMPUTE_PGM_RSRC2:USER_SGPR: 15
; COMPUTE_PGM_RSRC2:TRAP_HANDLER: 0
; COMPUTE_PGM_RSRC2:TGID_X_EN: 1
; COMPUTE_PGM_RSRC2:TGID_Y_EN: 0
; COMPUTE_PGM_RSRC2:TGID_Z_EN: 0
; COMPUTE_PGM_RSRC2:TIDIG_COMP_CNT: 0
	.section	.text._ZN7rocprim17ROCPRIM_400000_NS6detail17trampoline_kernelINS0_14default_configENS1_27upper_bound_config_selectorIdlEEZNS1_14transform_implILb0ES3_S5_N6thrust23THRUST_200600_302600_NS17counting_iteratorIdNS8_11use_defaultESA_SA_EEPlZNS1_13binary_searchIS3_S5_PdSB_SC_NS1_21upper_bound_search_opENS8_6detail16wrapped_functionINS0_4lessIvEEbEEEE10hipError_tPvRmT1_T2_T3_mmT4_T5_P12ihipStream_tbEUlRKdE_EESL_SP_SQ_mSR_SU_bEUlT_E_NS1_11comp_targetILNS1_3genE8ELNS1_11target_archE1030ELNS1_3gpuE2ELNS1_3repE0EEENS1_30default_config_static_selectorELNS0_4arch9wavefront6targetE0EEEvSO_,"axG",@progbits,_ZN7rocprim17ROCPRIM_400000_NS6detail17trampoline_kernelINS0_14default_configENS1_27upper_bound_config_selectorIdlEEZNS1_14transform_implILb0ES3_S5_N6thrust23THRUST_200600_302600_NS17counting_iteratorIdNS8_11use_defaultESA_SA_EEPlZNS1_13binary_searchIS3_S5_PdSB_SC_NS1_21upper_bound_search_opENS8_6detail16wrapped_functionINS0_4lessIvEEbEEEE10hipError_tPvRmT1_T2_T3_mmT4_T5_P12ihipStream_tbEUlRKdE_EESL_SP_SQ_mSR_SU_bEUlT_E_NS1_11comp_targetILNS1_3genE8ELNS1_11target_archE1030ELNS1_3gpuE2ELNS1_3repE0EEENS1_30default_config_static_selectorELNS0_4arch9wavefront6targetE0EEEvSO_,comdat
	.protected	_ZN7rocprim17ROCPRIM_400000_NS6detail17trampoline_kernelINS0_14default_configENS1_27upper_bound_config_selectorIdlEEZNS1_14transform_implILb0ES3_S5_N6thrust23THRUST_200600_302600_NS17counting_iteratorIdNS8_11use_defaultESA_SA_EEPlZNS1_13binary_searchIS3_S5_PdSB_SC_NS1_21upper_bound_search_opENS8_6detail16wrapped_functionINS0_4lessIvEEbEEEE10hipError_tPvRmT1_T2_T3_mmT4_T5_P12ihipStream_tbEUlRKdE_EESL_SP_SQ_mSR_SU_bEUlT_E_NS1_11comp_targetILNS1_3genE8ELNS1_11target_archE1030ELNS1_3gpuE2ELNS1_3repE0EEENS1_30default_config_static_selectorELNS0_4arch9wavefront6targetE0EEEvSO_ ; -- Begin function _ZN7rocprim17ROCPRIM_400000_NS6detail17trampoline_kernelINS0_14default_configENS1_27upper_bound_config_selectorIdlEEZNS1_14transform_implILb0ES3_S5_N6thrust23THRUST_200600_302600_NS17counting_iteratorIdNS8_11use_defaultESA_SA_EEPlZNS1_13binary_searchIS3_S5_PdSB_SC_NS1_21upper_bound_search_opENS8_6detail16wrapped_functionINS0_4lessIvEEbEEEE10hipError_tPvRmT1_T2_T3_mmT4_T5_P12ihipStream_tbEUlRKdE_EESL_SP_SQ_mSR_SU_bEUlT_E_NS1_11comp_targetILNS1_3genE8ELNS1_11target_archE1030ELNS1_3gpuE2ELNS1_3repE0EEENS1_30default_config_static_selectorELNS0_4arch9wavefront6targetE0EEEvSO_
	.globl	_ZN7rocprim17ROCPRIM_400000_NS6detail17trampoline_kernelINS0_14default_configENS1_27upper_bound_config_selectorIdlEEZNS1_14transform_implILb0ES3_S5_N6thrust23THRUST_200600_302600_NS17counting_iteratorIdNS8_11use_defaultESA_SA_EEPlZNS1_13binary_searchIS3_S5_PdSB_SC_NS1_21upper_bound_search_opENS8_6detail16wrapped_functionINS0_4lessIvEEbEEEE10hipError_tPvRmT1_T2_T3_mmT4_T5_P12ihipStream_tbEUlRKdE_EESL_SP_SQ_mSR_SU_bEUlT_E_NS1_11comp_targetILNS1_3genE8ELNS1_11target_archE1030ELNS1_3gpuE2ELNS1_3repE0EEENS1_30default_config_static_selectorELNS0_4arch9wavefront6targetE0EEEvSO_
	.p2align	8
	.type	_ZN7rocprim17ROCPRIM_400000_NS6detail17trampoline_kernelINS0_14default_configENS1_27upper_bound_config_selectorIdlEEZNS1_14transform_implILb0ES3_S5_N6thrust23THRUST_200600_302600_NS17counting_iteratorIdNS8_11use_defaultESA_SA_EEPlZNS1_13binary_searchIS3_S5_PdSB_SC_NS1_21upper_bound_search_opENS8_6detail16wrapped_functionINS0_4lessIvEEbEEEE10hipError_tPvRmT1_T2_T3_mmT4_T5_P12ihipStream_tbEUlRKdE_EESL_SP_SQ_mSR_SU_bEUlT_E_NS1_11comp_targetILNS1_3genE8ELNS1_11target_archE1030ELNS1_3gpuE2ELNS1_3repE0EEENS1_30default_config_static_selectorELNS0_4arch9wavefront6targetE0EEEvSO_,@function
_ZN7rocprim17ROCPRIM_400000_NS6detail17trampoline_kernelINS0_14default_configENS1_27upper_bound_config_selectorIdlEEZNS1_14transform_implILb0ES3_S5_N6thrust23THRUST_200600_302600_NS17counting_iteratorIdNS8_11use_defaultESA_SA_EEPlZNS1_13binary_searchIS3_S5_PdSB_SC_NS1_21upper_bound_search_opENS8_6detail16wrapped_functionINS0_4lessIvEEbEEEE10hipError_tPvRmT1_T2_T3_mmT4_T5_P12ihipStream_tbEUlRKdE_EESL_SP_SQ_mSR_SU_bEUlT_E_NS1_11comp_targetILNS1_3genE8ELNS1_11target_archE1030ELNS1_3gpuE2ELNS1_3repE0EEENS1_30default_config_static_selectorELNS0_4arch9wavefront6targetE0EEEvSO_: ; @_ZN7rocprim17ROCPRIM_400000_NS6detail17trampoline_kernelINS0_14default_configENS1_27upper_bound_config_selectorIdlEEZNS1_14transform_implILb0ES3_S5_N6thrust23THRUST_200600_302600_NS17counting_iteratorIdNS8_11use_defaultESA_SA_EEPlZNS1_13binary_searchIS3_S5_PdSB_SC_NS1_21upper_bound_search_opENS8_6detail16wrapped_functionINS0_4lessIvEEbEEEE10hipError_tPvRmT1_T2_T3_mmT4_T5_P12ihipStream_tbEUlRKdE_EESL_SP_SQ_mSR_SU_bEUlT_E_NS1_11comp_targetILNS1_3genE8ELNS1_11target_archE1030ELNS1_3gpuE2ELNS1_3repE0EEENS1_30default_config_static_selectorELNS0_4arch9wavefront6targetE0EEEvSO_
; %bb.0:
	.section	.rodata,"a",@progbits
	.p2align	6, 0x0
	.amdhsa_kernel _ZN7rocprim17ROCPRIM_400000_NS6detail17trampoline_kernelINS0_14default_configENS1_27upper_bound_config_selectorIdlEEZNS1_14transform_implILb0ES3_S5_N6thrust23THRUST_200600_302600_NS17counting_iteratorIdNS8_11use_defaultESA_SA_EEPlZNS1_13binary_searchIS3_S5_PdSB_SC_NS1_21upper_bound_search_opENS8_6detail16wrapped_functionINS0_4lessIvEEbEEEE10hipError_tPvRmT1_T2_T3_mmT4_T5_P12ihipStream_tbEUlRKdE_EESL_SP_SQ_mSR_SU_bEUlT_E_NS1_11comp_targetILNS1_3genE8ELNS1_11target_archE1030ELNS1_3gpuE2ELNS1_3repE0EEENS1_30default_config_static_selectorELNS0_4arch9wavefront6targetE0EEEvSO_
		.amdhsa_group_segment_fixed_size 0
		.amdhsa_private_segment_fixed_size 0
		.amdhsa_kernarg_size 56
		.amdhsa_user_sgpr_count 15
		.amdhsa_user_sgpr_dispatch_ptr 0
		.amdhsa_user_sgpr_queue_ptr 0
		.amdhsa_user_sgpr_kernarg_segment_ptr 1
		.amdhsa_user_sgpr_dispatch_id 0
		.amdhsa_user_sgpr_private_segment_size 0
		.amdhsa_wavefront_size32 1
		.amdhsa_uses_dynamic_stack 0
		.amdhsa_enable_private_segment 0
		.amdhsa_system_sgpr_workgroup_id_x 1
		.amdhsa_system_sgpr_workgroup_id_y 0
		.amdhsa_system_sgpr_workgroup_id_z 0
		.amdhsa_system_sgpr_workgroup_info 0
		.amdhsa_system_vgpr_workitem_id 0
		.amdhsa_next_free_vgpr 1
		.amdhsa_next_free_sgpr 1
		.amdhsa_reserve_vcc 0
		.amdhsa_float_round_mode_32 0
		.amdhsa_float_round_mode_16_64 0
		.amdhsa_float_denorm_mode_32 3
		.amdhsa_float_denorm_mode_16_64 3
		.amdhsa_dx10_clamp 1
		.amdhsa_ieee_mode 1
		.amdhsa_fp16_overflow 0
		.amdhsa_workgroup_processor_mode 1
		.amdhsa_memory_ordered 1
		.amdhsa_forward_progress 0
		.amdhsa_shared_vgpr_count 0
		.amdhsa_exception_fp_ieee_invalid_op 0
		.amdhsa_exception_fp_denorm_src 0
		.amdhsa_exception_fp_ieee_div_zero 0
		.amdhsa_exception_fp_ieee_overflow 0
		.amdhsa_exception_fp_ieee_underflow 0
		.amdhsa_exception_fp_ieee_inexact 0
		.amdhsa_exception_int_div_zero 0
	.end_amdhsa_kernel
	.section	.text._ZN7rocprim17ROCPRIM_400000_NS6detail17trampoline_kernelINS0_14default_configENS1_27upper_bound_config_selectorIdlEEZNS1_14transform_implILb0ES3_S5_N6thrust23THRUST_200600_302600_NS17counting_iteratorIdNS8_11use_defaultESA_SA_EEPlZNS1_13binary_searchIS3_S5_PdSB_SC_NS1_21upper_bound_search_opENS8_6detail16wrapped_functionINS0_4lessIvEEbEEEE10hipError_tPvRmT1_T2_T3_mmT4_T5_P12ihipStream_tbEUlRKdE_EESL_SP_SQ_mSR_SU_bEUlT_E_NS1_11comp_targetILNS1_3genE8ELNS1_11target_archE1030ELNS1_3gpuE2ELNS1_3repE0EEENS1_30default_config_static_selectorELNS0_4arch9wavefront6targetE0EEEvSO_,"axG",@progbits,_ZN7rocprim17ROCPRIM_400000_NS6detail17trampoline_kernelINS0_14default_configENS1_27upper_bound_config_selectorIdlEEZNS1_14transform_implILb0ES3_S5_N6thrust23THRUST_200600_302600_NS17counting_iteratorIdNS8_11use_defaultESA_SA_EEPlZNS1_13binary_searchIS3_S5_PdSB_SC_NS1_21upper_bound_search_opENS8_6detail16wrapped_functionINS0_4lessIvEEbEEEE10hipError_tPvRmT1_T2_T3_mmT4_T5_P12ihipStream_tbEUlRKdE_EESL_SP_SQ_mSR_SU_bEUlT_E_NS1_11comp_targetILNS1_3genE8ELNS1_11target_archE1030ELNS1_3gpuE2ELNS1_3repE0EEENS1_30default_config_static_selectorELNS0_4arch9wavefront6targetE0EEEvSO_,comdat
.Lfunc_end97:
	.size	_ZN7rocprim17ROCPRIM_400000_NS6detail17trampoline_kernelINS0_14default_configENS1_27upper_bound_config_selectorIdlEEZNS1_14transform_implILb0ES3_S5_N6thrust23THRUST_200600_302600_NS17counting_iteratorIdNS8_11use_defaultESA_SA_EEPlZNS1_13binary_searchIS3_S5_PdSB_SC_NS1_21upper_bound_search_opENS8_6detail16wrapped_functionINS0_4lessIvEEbEEEE10hipError_tPvRmT1_T2_T3_mmT4_T5_P12ihipStream_tbEUlRKdE_EESL_SP_SQ_mSR_SU_bEUlT_E_NS1_11comp_targetILNS1_3genE8ELNS1_11target_archE1030ELNS1_3gpuE2ELNS1_3repE0EEENS1_30default_config_static_selectorELNS0_4arch9wavefront6targetE0EEEvSO_, .Lfunc_end97-_ZN7rocprim17ROCPRIM_400000_NS6detail17trampoline_kernelINS0_14default_configENS1_27upper_bound_config_selectorIdlEEZNS1_14transform_implILb0ES3_S5_N6thrust23THRUST_200600_302600_NS17counting_iteratorIdNS8_11use_defaultESA_SA_EEPlZNS1_13binary_searchIS3_S5_PdSB_SC_NS1_21upper_bound_search_opENS8_6detail16wrapped_functionINS0_4lessIvEEbEEEE10hipError_tPvRmT1_T2_T3_mmT4_T5_P12ihipStream_tbEUlRKdE_EESL_SP_SQ_mSR_SU_bEUlT_E_NS1_11comp_targetILNS1_3genE8ELNS1_11target_archE1030ELNS1_3gpuE2ELNS1_3repE0EEENS1_30default_config_static_selectorELNS0_4arch9wavefront6targetE0EEEvSO_
                                        ; -- End function
	.section	.AMDGPU.csdata,"",@progbits
; Kernel info:
; codeLenInByte = 0
; NumSgprs: 0
; NumVgprs: 0
; ScratchSize: 0
; MemoryBound: 0
; FloatMode: 240
; IeeeMode: 1
; LDSByteSize: 0 bytes/workgroup (compile time only)
; SGPRBlocks: 0
; VGPRBlocks: 0
; NumSGPRsForWavesPerEU: 1
; NumVGPRsForWavesPerEU: 1
; Occupancy: 16
; WaveLimiterHint : 0
; COMPUTE_PGM_RSRC2:SCRATCH_EN: 0
; COMPUTE_PGM_RSRC2:USER_SGPR: 15
; COMPUTE_PGM_RSRC2:TRAP_HANDLER: 0
; COMPUTE_PGM_RSRC2:TGID_X_EN: 1
; COMPUTE_PGM_RSRC2:TGID_Y_EN: 0
; COMPUTE_PGM_RSRC2:TGID_Z_EN: 0
; COMPUTE_PGM_RSRC2:TIDIG_COMP_CNT: 0
	.section	.text._Z18upper_bound_kernelIfEvmPT_Pl,"axG",@progbits,_Z18upper_bound_kernelIfEvmPT_Pl,comdat
	.protected	_Z18upper_bound_kernelIfEvmPT_Pl ; -- Begin function _Z18upper_bound_kernelIfEvmPT_Pl
	.globl	_Z18upper_bound_kernelIfEvmPT_Pl
	.p2align	8
	.type	_Z18upper_bound_kernelIfEvmPT_Pl,@function
_Z18upper_bound_kernelIfEvmPT_Pl:       ; @_Z18upper_bound_kernelIfEvmPT_Pl
; %bb.0:
	s_clause 0x1
	s_load_b128 s[4:7], s[0:1], 0x0
	s_load_b64 s[2:3], s[0:1], 0x10
	v_mov_b32_e32 v0, 0
	s_waitcnt lgkmcnt(0)
	v_cmp_gt_i64_e64 s0, s[4:5], 0
	s_delay_alu instid0(VALU_DEP_1) | instskip(NEXT) | instid1(VALU_DEP_1)
	v_cndmask_b32_e64 v1, 0, 1, s0
	v_cmp_ne_u32_e64 s0, 1, v1
	v_mov_b32_e32 v1, 0
	s_branch .LBB98_2
.LBB98_1:                               ;   in Loop: Header=BB98_2 Depth=1
	v_add_f32_e32 v1, 1.0, v1
	s_delay_alu instid0(VALU_DEP_1) | instskip(NEXT) | instid1(VALU_DEP_1)
	v_sub_f32_e32 v2, 0x41200000, v1
	v_trunc_f32_e32 v2, v2
	s_delay_alu instid0(VALU_DEP_1) | instskip(SKIP_1) | instid1(VALU_DEP_2)
	v_mul_f32_e64 v3, 0x2f800000, |v2|
	v_ashrrev_i32_e32 v5, 31, v2
	v_floor_f32_e32 v3, v3
	s_delay_alu instid0(VALU_DEP_1) | instskip(SKIP_1) | instid1(VALU_DEP_2)
	v_fma_f32 v4, 0xcf800000, v3, |v2|
	v_cvt_u32_f32_e32 v3, v3
	v_cvt_u32_f32_e32 v2, v4
	s_delay_alu instid0(VALU_DEP_2) | instskip(NEXT) | instid1(VALU_DEP_2)
	v_xor_b32_e32 v3, v3, v5
	v_xor_b32_e32 v2, v2, v5
	s_delay_alu instid0(VALU_DEP_1) | instskip(NEXT) | instid1(VALU_DEP_3)
	v_sub_co_u32 v2, vcc_lo, v2, v5
	v_sub_co_ci_u32_e32 v3, vcc_lo, v3, v5, vcc_lo
	v_dual_mov_b32 v4, s8 :: v_dual_mov_b32 v5, s9
	s_delay_alu instid0(VALU_DEP_2)
	v_cmp_ne_u64_e32 vcc_lo, 0, v[2:3]
	global_store_b64 v0, v[4:5], s[2:3]
	s_add_u32 s2, s2, 8
	s_addc_u32 s3, s3, 0
	s_cbranch_vccz .LBB98_5
.LBB98_2:                               ; =>This Loop Header: Depth=1
                                        ;     Child Loop BB98_4 Depth 2
	s_delay_alu instid0(VALU_DEP_2)
	s_and_b32 vcc_lo, exec_lo, s0
	s_mov_b64 s[8:9], 0
	s_cbranch_vccnz .LBB98_1
; %bb.3:                                ;   in Loop: Header=BB98_2 Depth=1
	s_mov_b64 s[10:11], s[4:5]
	.p2align	6
.LBB98_4:                               ;   Parent Loop BB98_2 Depth=1
                                        ; =>  This Inner Loop Header: Depth=2
	s_delay_alu instid0(SALU_CYCLE_1) | instskip(SKIP_1) | instid1(SALU_CYCLE_1)
	s_sub_u32 s1, s10, s8
	s_subb_u32 s13, s11, s9
	s_lshr_b32 s12, s13, 31
	s_delay_alu instid0(SALU_CYCLE_1) | instskip(SKIP_1) | instid1(SALU_CYCLE_1)
	s_add_u32 s12, s1, s12
	s_addc_u32 s13, s13, 0
	s_ashr_i64 s[12:13], s[12:13], 1
	s_delay_alu instid0(SALU_CYCLE_1) | instskip(SKIP_1) | instid1(SALU_CYCLE_1)
	s_add_u32 s12, s12, s8
	s_addc_u32 s13, s13, s9
	s_lshl_b64 s[14:15], s[12:13], 2
	s_delay_alu instid0(SALU_CYCLE_1)
	s_add_u32 s14, s6, s14
	s_addc_u32 s15, s7, s15
	s_load_b32 s1, s[14:15], 0x0
	s_add_u32 s14, s12, 1
	s_waitcnt lgkmcnt(0)
	v_cmp_gt_f32_e32 vcc_lo, s1, v1
	s_addc_u32 s1, s13, 0
	s_and_b32 s15, vcc_lo, exec_lo
	s_cselect_b32 s9, s9, s1
	s_cselect_b32 s8, s8, s14
	;; [unrolled: 1-line block ×4, first 2 shown]
	s_delay_alu instid0(SALU_CYCLE_1) | instskip(NEXT) | instid1(VALU_DEP_1)
	v_cmp_lt_i64_e64 s1, s[8:9], s[10:11]
	s_and_b32 vcc_lo, exec_lo, s1
	s_cbranch_vccnz .LBB98_4
	s_branch .LBB98_1
.LBB98_5:
	s_nop 0
	s_sendmsg sendmsg(MSG_DEALLOC_VGPRS)
	s_endpgm
	.section	.rodata,"a",@progbits
	.p2align	6, 0x0
	.amdhsa_kernel _Z18upper_bound_kernelIfEvmPT_Pl
		.amdhsa_group_segment_fixed_size 0
		.amdhsa_private_segment_fixed_size 0
		.amdhsa_kernarg_size 24
		.amdhsa_user_sgpr_count 15
		.amdhsa_user_sgpr_dispatch_ptr 0
		.amdhsa_user_sgpr_queue_ptr 0
		.amdhsa_user_sgpr_kernarg_segment_ptr 1
		.amdhsa_user_sgpr_dispatch_id 0
		.amdhsa_user_sgpr_private_segment_size 0
		.amdhsa_wavefront_size32 1
		.amdhsa_uses_dynamic_stack 0
		.amdhsa_enable_private_segment 0
		.amdhsa_system_sgpr_workgroup_id_x 1
		.amdhsa_system_sgpr_workgroup_id_y 0
		.amdhsa_system_sgpr_workgroup_id_z 0
		.amdhsa_system_sgpr_workgroup_info 0
		.amdhsa_system_vgpr_workitem_id 0
		.amdhsa_next_free_vgpr 6
		.amdhsa_next_free_sgpr 16
		.amdhsa_reserve_vcc 1
		.amdhsa_float_round_mode_32 0
		.amdhsa_float_round_mode_16_64 0
		.amdhsa_float_denorm_mode_32 3
		.amdhsa_float_denorm_mode_16_64 3
		.amdhsa_dx10_clamp 1
		.amdhsa_ieee_mode 1
		.amdhsa_fp16_overflow 0
		.amdhsa_workgroup_processor_mode 1
		.amdhsa_memory_ordered 1
		.amdhsa_forward_progress 0
		.amdhsa_shared_vgpr_count 0
		.amdhsa_exception_fp_ieee_invalid_op 0
		.amdhsa_exception_fp_denorm_src 0
		.amdhsa_exception_fp_ieee_div_zero 0
		.amdhsa_exception_fp_ieee_overflow 0
		.amdhsa_exception_fp_ieee_underflow 0
		.amdhsa_exception_fp_ieee_inexact 0
		.amdhsa_exception_int_div_zero 0
	.end_amdhsa_kernel
	.section	.text._Z18upper_bound_kernelIfEvmPT_Pl,"axG",@progbits,_Z18upper_bound_kernelIfEvmPT_Pl,comdat
.Lfunc_end98:
	.size	_Z18upper_bound_kernelIfEvmPT_Pl, .Lfunc_end98-_Z18upper_bound_kernelIfEvmPT_Pl
                                        ; -- End function
	.section	.AMDGPU.csdata,"",@progbits
; Kernel info:
; codeLenInByte = 356
; NumSgprs: 18
; NumVgprs: 6
; ScratchSize: 0
; MemoryBound: 0
; FloatMode: 240
; IeeeMode: 1
; LDSByteSize: 0 bytes/workgroup (compile time only)
; SGPRBlocks: 2
; VGPRBlocks: 0
; NumSGPRsForWavesPerEU: 18
; NumVGPRsForWavesPerEU: 6
; Occupancy: 16
; WaveLimiterHint : 0
; COMPUTE_PGM_RSRC2:SCRATCH_EN: 0
; COMPUTE_PGM_RSRC2:USER_SGPR: 15
; COMPUTE_PGM_RSRC2:TRAP_HANDLER: 0
; COMPUTE_PGM_RSRC2:TGID_X_EN: 1
; COMPUTE_PGM_RSRC2:TGID_Y_EN: 0
; COMPUTE_PGM_RSRC2:TGID_Z_EN: 0
; COMPUTE_PGM_RSRC2:TIDIG_COMP_CNT: 0
	.section	.text._ZN7rocprim17ROCPRIM_400000_NS6detail17trampoline_kernelINS0_14default_configENS1_27upper_bound_config_selectorIflEEZNS1_14transform_implILb0ES3_S5_N6thrust23THRUST_200600_302600_NS17counting_iteratorIfNS8_11use_defaultESA_SA_EEPlZNS1_13binary_searchIS3_S5_PfSB_SC_NS1_21upper_bound_search_opENS8_6detail16wrapped_functionINS0_4lessIvEEbEEEE10hipError_tPvRmT1_T2_T3_mmT4_T5_P12ihipStream_tbEUlRKfE_EESL_SP_SQ_mSR_SU_bEUlT_E_NS1_11comp_targetILNS1_3genE0ELNS1_11target_archE4294967295ELNS1_3gpuE0ELNS1_3repE0EEENS1_30default_config_static_selectorELNS0_4arch9wavefront6targetE0EEEvSO_,"axG",@progbits,_ZN7rocprim17ROCPRIM_400000_NS6detail17trampoline_kernelINS0_14default_configENS1_27upper_bound_config_selectorIflEEZNS1_14transform_implILb0ES3_S5_N6thrust23THRUST_200600_302600_NS17counting_iteratorIfNS8_11use_defaultESA_SA_EEPlZNS1_13binary_searchIS3_S5_PfSB_SC_NS1_21upper_bound_search_opENS8_6detail16wrapped_functionINS0_4lessIvEEbEEEE10hipError_tPvRmT1_T2_T3_mmT4_T5_P12ihipStream_tbEUlRKfE_EESL_SP_SQ_mSR_SU_bEUlT_E_NS1_11comp_targetILNS1_3genE0ELNS1_11target_archE4294967295ELNS1_3gpuE0ELNS1_3repE0EEENS1_30default_config_static_selectorELNS0_4arch9wavefront6targetE0EEEvSO_,comdat
	.protected	_ZN7rocprim17ROCPRIM_400000_NS6detail17trampoline_kernelINS0_14default_configENS1_27upper_bound_config_selectorIflEEZNS1_14transform_implILb0ES3_S5_N6thrust23THRUST_200600_302600_NS17counting_iteratorIfNS8_11use_defaultESA_SA_EEPlZNS1_13binary_searchIS3_S5_PfSB_SC_NS1_21upper_bound_search_opENS8_6detail16wrapped_functionINS0_4lessIvEEbEEEE10hipError_tPvRmT1_T2_T3_mmT4_T5_P12ihipStream_tbEUlRKfE_EESL_SP_SQ_mSR_SU_bEUlT_E_NS1_11comp_targetILNS1_3genE0ELNS1_11target_archE4294967295ELNS1_3gpuE0ELNS1_3repE0EEENS1_30default_config_static_selectorELNS0_4arch9wavefront6targetE0EEEvSO_ ; -- Begin function _ZN7rocprim17ROCPRIM_400000_NS6detail17trampoline_kernelINS0_14default_configENS1_27upper_bound_config_selectorIflEEZNS1_14transform_implILb0ES3_S5_N6thrust23THRUST_200600_302600_NS17counting_iteratorIfNS8_11use_defaultESA_SA_EEPlZNS1_13binary_searchIS3_S5_PfSB_SC_NS1_21upper_bound_search_opENS8_6detail16wrapped_functionINS0_4lessIvEEbEEEE10hipError_tPvRmT1_T2_T3_mmT4_T5_P12ihipStream_tbEUlRKfE_EESL_SP_SQ_mSR_SU_bEUlT_E_NS1_11comp_targetILNS1_3genE0ELNS1_11target_archE4294967295ELNS1_3gpuE0ELNS1_3repE0EEENS1_30default_config_static_selectorELNS0_4arch9wavefront6targetE0EEEvSO_
	.globl	_ZN7rocprim17ROCPRIM_400000_NS6detail17trampoline_kernelINS0_14default_configENS1_27upper_bound_config_selectorIflEEZNS1_14transform_implILb0ES3_S5_N6thrust23THRUST_200600_302600_NS17counting_iteratorIfNS8_11use_defaultESA_SA_EEPlZNS1_13binary_searchIS3_S5_PfSB_SC_NS1_21upper_bound_search_opENS8_6detail16wrapped_functionINS0_4lessIvEEbEEEE10hipError_tPvRmT1_T2_T3_mmT4_T5_P12ihipStream_tbEUlRKfE_EESL_SP_SQ_mSR_SU_bEUlT_E_NS1_11comp_targetILNS1_3genE0ELNS1_11target_archE4294967295ELNS1_3gpuE0ELNS1_3repE0EEENS1_30default_config_static_selectorELNS0_4arch9wavefront6targetE0EEEvSO_
	.p2align	8
	.type	_ZN7rocprim17ROCPRIM_400000_NS6detail17trampoline_kernelINS0_14default_configENS1_27upper_bound_config_selectorIflEEZNS1_14transform_implILb0ES3_S5_N6thrust23THRUST_200600_302600_NS17counting_iteratorIfNS8_11use_defaultESA_SA_EEPlZNS1_13binary_searchIS3_S5_PfSB_SC_NS1_21upper_bound_search_opENS8_6detail16wrapped_functionINS0_4lessIvEEbEEEE10hipError_tPvRmT1_T2_T3_mmT4_T5_P12ihipStream_tbEUlRKfE_EESL_SP_SQ_mSR_SU_bEUlT_E_NS1_11comp_targetILNS1_3genE0ELNS1_11target_archE4294967295ELNS1_3gpuE0ELNS1_3repE0EEENS1_30default_config_static_selectorELNS0_4arch9wavefront6targetE0EEEvSO_,@function
_ZN7rocprim17ROCPRIM_400000_NS6detail17trampoline_kernelINS0_14default_configENS1_27upper_bound_config_selectorIflEEZNS1_14transform_implILb0ES3_S5_N6thrust23THRUST_200600_302600_NS17counting_iteratorIfNS8_11use_defaultESA_SA_EEPlZNS1_13binary_searchIS3_S5_PfSB_SC_NS1_21upper_bound_search_opENS8_6detail16wrapped_functionINS0_4lessIvEEbEEEE10hipError_tPvRmT1_T2_T3_mmT4_T5_P12ihipStream_tbEUlRKfE_EESL_SP_SQ_mSR_SU_bEUlT_E_NS1_11comp_targetILNS1_3genE0ELNS1_11target_archE4294967295ELNS1_3gpuE0ELNS1_3repE0EEENS1_30default_config_static_selectorELNS0_4arch9wavefront6targetE0EEEvSO_: ; @_ZN7rocprim17ROCPRIM_400000_NS6detail17trampoline_kernelINS0_14default_configENS1_27upper_bound_config_selectorIflEEZNS1_14transform_implILb0ES3_S5_N6thrust23THRUST_200600_302600_NS17counting_iteratorIfNS8_11use_defaultESA_SA_EEPlZNS1_13binary_searchIS3_S5_PfSB_SC_NS1_21upper_bound_search_opENS8_6detail16wrapped_functionINS0_4lessIvEEbEEEE10hipError_tPvRmT1_T2_T3_mmT4_T5_P12ihipStream_tbEUlRKfE_EESL_SP_SQ_mSR_SU_bEUlT_E_NS1_11comp_targetILNS1_3genE0ELNS1_11target_archE4294967295ELNS1_3gpuE0ELNS1_3repE0EEENS1_30default_config_static_selectorELNS0_4arch9wavefront6targetE0EEEvSO_
; %bb.0:
	.section	.rodata,"a",@progbits
	.p2align	6, 0x0
	.amdhsa_kernel _ZN7rocprim17ROCPRIM_400000_NS6detail17trampoline_kernelINS0_14default_configENS1_27upper_bound_config_selectorIflEEZNS1_14transform_implILb0ES3_S5_N6thrust23THRUST_200600_302600_NS17counting_iteratorIfNS8_11use_defaultESA_SA_EEPlZNS1_13binary_searchIS3_S5_PfSB_SC_NS1_21upper_bound_search_opENS8_6detail16wrapped_functionINS0_4lessIvEEbEEEE10hipError_tPvRmT1_T2_T3_mmT4_T5_P12ihipStream_tbEUlRKfE_EESL_SP_SQ_mSR_SU_bEUlT_E_NS1_11comp_targetILNS1_3genE0ELNS1_11target_archE4294967295ELNS1_3gpuE0ELNS1_3repE0EEENS1_30default_config_static_selectorELNS0_4arch9wavefront6targetE0EEEvSO_
		.amdhsa_group_segment_fixed_size 0
		.amdhsa_private_segment_fixed_size 0
		.amdhsa_kernarg_size 56
		.amdhsa_user_sgpr_count 15
		.amdhsa_user_sgpr_dispatch_ptr 0
		.amdhsa_user_sgpr_queue_ptr 0
		.amdhsa_user_sgpr_kernarg_segment_ptr 1
		.amdhsa_user_sgpr_dispatch_id 0
		.amdhsa_user_sgpr_private_segment_size 0
		.amdhsa_wavefront_size32 1
		.amdhsa_uses_dynamic_stack 0
		.amdhsa_enable_private_segment 0
		.amdhsa_system_sgpr_workgroup_id_x 1
		.amdhsa_system_sgpr_workgroup_id_y 0
		.amdhsa_system_sgpr_workgroup_id_z 0
		.amdhsa_system_sgpr_workgroup_info 0
		.amdhsa_system_vgpr_workitem_id 0
		.amdhsa_next_free_vgpr 1
		.amdhsa_next_free_sgpr 1
		.amdhsa_reserve_vcc 0
		.amdhsa_float_round_mode_32 0
		.amdhsa_float_round_mode_16_64 0
		.amdhsa_float_denorm_mode_32 3
		.amdhsa_float_denorm_mode_16_64 3
		.amdhsa_dx10_clamp 1
		.amdhsa_ieee_mode 1
		.amdhsa_fp16_overflow 0
		.amdhsa_workgroup_processor_mode 1
		.amdhsa_memory_ordered 1
		.amdhsa_forward_progress 0
		.amdhsa_shared_vgpr_count 0
		.amdhsa_exception_fp_ieee_invalid_op 0
		.amdhsa_exception_fp_denorm_src 0
		.amdhsa_exception_fp_ieee_div_zero 0
		.amdhsa_exception_fp_ieee_overflow 0
		.amdhsa_exception_fp_ieee_underflow 0
		.amdhsa_exception_fp_ieee_inexact 0
		.amdhsa_exception_int_div_zero 0
	.end_amdhsa_kernel
	.section	.text._ZN7rocprim17ROCPRIM_400000_NS6detail17trampoline_kernelINS0_14default_configENS1_27upper_bound_config_selectorIflEEZNS1_14transform_implILb0ES3_S5_N6thrust23THRUST_200600_302600_NS17counting_iteratorIfNS8_11use_defaultESA_SA_EEPlZNS1_13binary_searchIS3_S5_PfSB_SC_NS1_21upper_bound_search_opENS8_6detail16wrapped_functionINS0_4lessIvEEbEEEE10hipError_tPvRmT1_T2_T3_mmT4_T5_P12ihipStream_tbEUlRKfE_EESL_SP_SQ_mSR_SU_bEUlT_E_NS1_11comp_targetILNS1_3genE0ELNS1_11target_archE4294967295ELNS1_3gpuE0ELNS1_3repE0EEENS1_30default_config_static_selectorELNS0_4arch9wavefront6targetE0EEEvSO_,"axG",@progbits,_ZN7rocprim17ROCPRIM_400000_NS6detail17trampoline_kernelINS0_14default_configENS1_27upper_bound_config_selectorIflEEZNS1_14transform_implILb0ES3_S5_N6thrust23THRUST_200600_302600_NS17counting_iteratorIfNS8_11use_defaultESA_SA_EEPlZNS1_13binary_searchIS3_S5_PfSB_SC_NS1_21upper_bound_search_opENS8_6detail16wrapped_functionINS0_4lessIvEEbEEEE10hipError_tPvRmT1_T2_T3_mmT4_T5_P12ihipStream_tbEUlRKfE_EESL_SP_SQ_mSR_SU_bEUlT_E_NS1_11comp_targetILNS1_3genE0ELNS1_11target_archE4294967295ELNS1_3gpuE0ELNS1_3repE0EEENS1_30default_config_static_selectorELNS0_4arch9wavefront6targetE0EEEvSO_,comdat
.Lfunc_end99:
	.size	_ZN7rocprim17ROCPRIM_400000_NS6detail17trampoline_kernelINS0_14default_configENS1_27upper_bound_config_selectorIflEEZNS1_14transform_implILb0ES3_S5_N6thrust23THRUST_200600_302600_NS17counting_iteratorIfNS8_11use_defaultESA_SA_EEPlZNS1_13binary_searchIS3_S5_PfSB_SC_NS1_21upper_bound_search_opENS8_6detail16wrapped_functionINS0_4lessIvEEbEEEE10hipError_tPvRmT1_T2_T3_mmT4_T5_P12ihipStream_tbEUlRKfE_EESL_SP_SQ_mSR_SU_bEUlT_E_NS1_11comp_targetILNS1_3genE0ELNS1_11target_archE4294967295ELNS1_3gpuE0ELNS1_3repE0EEENS1_30default_config_static_selectorELNS0_4arch9wavefront6targetE0EEEvSO_, .Lfunc_end99-_ZN7rocprim17ROCPRIM_400000_NS6detail17trampoline_kernelINS0_14default_configENS1_27upper_bound_config_selectorIflEEZNS1_14transform_implILb0ES3_S5_N6thrust23THRUST_200600_302600_NS17counting_iteratorIfNS8_11use_defaultESA_SA_EEPlZNS1_13binary_searchIS3_S5_PfSB_SC_NS1_21upper_bound_search_opENS8_6detail16wrapped_functionINS0_4lessIvEEbEEEE10hipError_tPvRmT1_T2_T3_mmT4_T5_P12ihipStream_tbEUlRKfE_EESL_SP_SQ_mSR_SU_bEUlT_E_NS1_11comp_targetILNS1_3genE0ELNS1_11target_archE4294967295ELNS1_3gpuE0ELNS1_3repE0EEENS1_30default_config_static_selectorELNS0_4arch9wavefront6targetE0EEEvSO_
                                        ; -- End function
	.section	.AMDGPU.csdata,"",@progbits
; Kernel info:
; codeLenInByte = 0
; NumSgprs: 0
; NumVgprs: 0
; ScratchSize: 0
; MemoryBound: 0
; FloatMode: 240
; IeeeMode: 1
; LDSByteSize: 0 bytes/workgroup (compile time only)
; SGPRBlocks: 0
; VGPRBlocks: 0
; NumSGPRsForWavesPerEU: 1
; NumVGPRsForWavesPerEU: 1
; Occupancy: 16
; WaveLimiterHint : 0
; COMPUTE_PGM_RSRC2:SCRATCH_EN: 0
; COMPUTE_PGM_RSRC2:USER_SGPR: 15
; COMPUTE_PGM_RSRC2:TRAP_HANDLER: 0
; COMPUTE_PGM_RSRC2:TGID_X_EN: 1
; COMPUTE_PGM_RSRC2:TGID_Y_EN: 0
; COMPUTE_PGM_RSRC2:TGID_Z_EN: 0
; COMPUTE_PGM_RSRC2:TIDIG_COMP_CNT: 0
	.section	.text._ZN7rocprim17ROCPRIM_400000_NS6detail17trampoline_kernelINS0_14default_configENS1_27upper_bound_config_selectorIflEEZNS1_14transform_implILb0ES3_S5_N6thrust23THRUST_200600_302600_NS17counting_iteratorIfNS8_11use_defaultESA_SA_EEPlZNS1_13binary_searchIS3_S5_PfSB_SC_NS1_21upper_bound_search_opENS8_6detail16wrapped_functionINS0_4lessIvEEbEEEE10hipError_tPvRmT1_T2_T3_mmT4_T5_P12ihipStream_tbEUlRKfE_EESL_SP_SQ_mSR_SU_bEUlT_E_NS1_11comp_targetILNS1_3genE5ELNS1_11target_archE942ELNS1_3gpuE9ELNS1_3repE0EEENS1_30default_config_static_selectorELNS0_4arch9wavefront6targetE0EEEvSO_,"axG",@progbits,_ZN7rocprim17ROCPRIM_400000_NS6detail17trampoline_kernelINS0_14default_configENS1_27upper_bound_config_selectorIflEEZNS1_14transform_implILb0ES3_S5_N6thrust23THRUST_200600_302600_NS17counting_iteratorIfNS8_11use_defaultESA_SA_EEPlZNS1_13binary_searchIS3_S5_PfSB_SC_NS1_21upper_bound_search_opENS8_6detail16wrapped_functionINS0_4lessIvEEbEEEE10hipError_tPvRmT1_T2_T3_mmT4_T5_P12ihipStream_tbEUlRKfE_EESL_SP_SQ_mSR_SU_bEUlT_E_NS1_11comp_targetILNS1_3genE5ELNS1_11target_archE942ELNS1_3gpuE9ELNS1_3repE0EEENS1_30default_config_static_selectorELNS0_4arch9wavefront6targetE0EEEvSO_,comdat
	.protected	_ZN7rocprim17ROCPRIM_400000_NS6detail17trampoline_kernelINS0_14default_configENS1_27upper_bound_config_selectorIflEEZNS1_14transform_implILb0ES3_S5_N6thrust23THRUST_200600_302600_NS17counting_iteratorIfNS8_11use_defaultESA_SA_EEPlZNS1_13binary_searchIS3_S5_PfSB_SC_NS1_21upper_bound_search_opENS8_6detail16wrapped_functionINS0_4lessIvEEbEEEE10hipError_tPvRmT1_T2_T3_mmT4_T5_P12ihipStream_tbEUlRKfE_EESL_SP_SQ_mSR_SU_bEUlT_E_NS1_11comp_targetILNS1_3genE5ELNS1_11target_archE942ELNS1_3gpuE9ELNS1_3repE0EEENS1_30default_config_static_selectorELNS0_4arch9wavefront6targetE0EEEvSO_ ; -- Begin function _ZN7rocprim17ROCPRIM_400000_NS6detail17trampoline_kernelINS0_14default_configENS1_27upper_bound_config_selectorIflEEZNS1_14transform_implILb0ES3_S5_N6thrust23THRUST_200600_302600_NS17counting_iteratorIfNS8_11use_defaultESA_SA_EEPlZNS1_13binary_searchIS3_S5_PfSB_SC_NS1_21upper_bound_search_opENS8_6detail16wrapped_functionINS0_4lessIvEEbEEEE10hipError_tPvRmT1_T2_T3_mmT4_T5_P12ihipStream_tbEUlRKfE_EESL_SP_SQ_mSR_SU_bEUlT_E_NS1_11comp_targetILNS1_3genE5ELNS1_11target_archE942ELNS1_3gpuE9ELNS1_3repE0EEENS1_30default_config_static_selectorELNS0_4arch9wavefront6targetE0EEEvSO_
	.globl	_ZN7rocprim17ROCPRIM_400000_NS6detail17trampoline_kernelINS0_14default_configENS1_27upper_bound_config_selectorIflEEZNS1_14transform_implILb0ES3_S5_N6thrust23THRUST_200600_302600_NS17counting_iteratorIfNS8_11use_defaultESA_SA_EEPlZNS1_13binary_searchIS3_S5_PfSB_SC_NS1_21upper_bound_search_opENS8_6detail16wrapped_functionINS0_4lessIvEEbEEEE10hipError_tPvRmT1_T2_T3_mmT4_T5_P12ihipStream_tbEUlRKfE_EESL_SP_SQ_mSR_SU_bEUlT_E_NS1_11comp_targetILNS1_3genE5ELNS1_11target_archE942ELNS1_3gpuE9ELNS1_3repE0EEENS1_30default_config_static_selectorELNS0_4arch9wavefront6targetE0EEEvSO_
	.p2align	8
	.type	_ZN7rocprim17ROCPRIM_400000_NS6detail17trampoline_kernelINS0_14default_configENS1_27upper_bound_config_selectorIflEEZNS1_14transform_implILb0ES3_S5_N6thrust23THRUST_200600_302600_NS17counting_iteratorIfNS8_11use_defaultESA_SA_EEPlZNS1_13binary_searchIS3_S5_PfSB_SC_NS1_21upper_bound_search_opENS8_6detail16wrapped_functionINS0_4lessIvEEbEEEE10hipError_tPvRmT1_T2_T3_mmT4_T5_P12ihipStream_tbEUlRKfE_EESL_SP_SQ_mSR_SU_bEUlT_E_NS1_11comp_targetILNS1_3genE5ELNS1_11target_archE942ELNS1_3gpuE9ELNS1_3repE0EEENS1_30default_config_static_selectorELNS0_4arch9wavefront6targetE0EEEvSO_,@function
_ZN7rocprim17ROCPRIM_400000_NS6detail17trampoline_kernelINS0_14default_configENS1_27upper_bound_config_selectorIflEEZNS1_14transform_implILb0ES3_S5_N6thrust23THRUST_200600_302600_NS17counting_iteratorIfNS8_11use_defaultESA_SA_EEPlZNS1_13binary_searchIS3_S5_PfSB_SC_NS1_21upper_bound_search_opENS8_6detail16wrapped_functionINS0_4lessIvEEbEEEE10hipError_tPvRmT1_T2_T3_mmT4_T5_P12ihipStream_tbEUlRKfE_EESL_SP_SQ_mSR_SU_bEUlT_E_NS1_11comp_targetILNS1_3genE5ELNS1_11target_archE942ELNS1_3gpuE9ELNS1_3repE0EEENS1_30default_config_static_selectorELNS0_4arch9wavefront6targetE0EEEvSO_: ; @_ZN7rocprim17ROCPRIM_400000_NS6detail17trampoline_kernelINS0_14default_configENS1_27upper_bound_config_selectorIflEEZNS1_14transform_implILb0ES3_S5_N6thrust23THRUST_200600_302600_NS17counting_iteratorIfNS8_11use_defaultESA_SA_EEPlZNS1_13binary_searchIS3_S5_PfSB_SC_NS1_21upper_bound_search_opENS8_6detail16wrapped_functionINS0_4lessIvEEbEEEE10hipError_tPvRmT1_T2_T3_mmT4_T5_P12ihipStream_tbEUlRKfE_EESL_SP_SQ_mSR_SU_bEUlT_E_NS1_11comp_targetILNS1_3genE5ELNS1_11target_archE942ELNS1_3gpuE9ELNS1_3repE0EEENS1_30default_config_static_selectorELNS0_4arch9wavefront6targetE0EEEvSO_
; %bb.0:
	.section	.rodata,"a",@progbits
	.p2align	6, 0x0
	.amdhsa_kernel _ZN7rocprim17ROCPRIM_400000_NS6detail17trampoline_kernelINS0_14default_configENS1_27upper_bound_config_selectorIflEEZNS1_14transform_implILb0ES3_S5_N6thrust23THRUST_200600_302600_NS17counting_iteratorIfNS8_11use_defaultESA_SA_EEPlZNS1_13binary_searchIS3_S5_PfSB_SC_NS1_21upper_bound_search_opENS8_6detail16wrapped_functionINS0_4lessIvEEbEEEE10hipError_tPvRmT1_T2_T3_mmT4_T5_P12ihipStream_tbEUlRKfE_EESL_SP_SQ_mSR_SU_bEUlT_E_NS1_11comp_targetILNS1_3genE5ELNS1_11target_archE942ELNS1_3gpuE9ELNS1_3repE0EEENS1_30default_config_static_selectorELNS0_4arch9wavefront6targetE0EEEvSO_
		.amdhsa_group_segment_fixed_size 0
		.amdhsa_private_segment_fixed_size 0
		.amdhsa_kernarg_size 56
		.amdhsa_user_sgpr_count 15
		.amdhsa_user_sgpr_dispatch_ptr 0
		.amdhsa_user_sgpr_queue_ptr 0
		.amdhsa_user_sgpr_kernarg_segment_ptr 1
		.amdhsa_user_sgpr_dispatch_id 0
		.amdhsa_user_sgpr_private_segment_size 0
		.amdhsa_wavefront_size32 1
		.amdhsa_uses_dynamic_stack 0
		.amdhsa_enable_private_segment 0
		.amdhsa_system_sgpr_workgroup_id_x 1
		.amdhsa_system_sgpr_workgroup_id_y 0
		.amdhsa_system_sgpr_workgroup_id_z 0
		.amdhsa_system_sgpr_workgroup_info 0
		.amdhsa_system_vgpr_workitem_id 0
		.amdhsa_next_free_vgpr 1
		.amdhsa_next_free_sgpr 1
		.amdhsa_reserve_vcc 0
		.amdhsa_float_round_mode_32 0
		.amdhsa_float_round_mode_16_64 0
		.amdhsa_float_denorm_mode_32 3
		.amdhsa_float_denorm_mode_16_64 3
		.amdhsa_dx10_clamp 1
		.amdhsa_ieee_mode 1
		.amdhsa_fp16_overflow 0
		.amdhsa_workgroup_processor_mode 1
		.amdhsa_memory_ordered 1
		.amdhsa_forward_progress 0
		.amdhsa_shared_vgpr_count 0
		.amdhsa_exception_fp_ieee_invalid_op 0
		.amdhsa_exception_fp_denorm_src 0
		.amdhsa_exception_fp_ieee_div_zero 0
		.amdhsa_exception_fp_ieee_overflow 0
		.amdhsa_exception_fp_ieee_underflow 0
		.amdhsa_exception_fp_ieee_inexact 0
		.amdhsa_exception_int_div_zero 0
	.end_amdhsa_kernel
	.section	.text._ZN7rocprim17ROCPRIM_400000_NS6detail17trampoline_kernelINS0_14default_configENS1_27upper_bound_config_selectorIflEEZNS1_14transform_implILb0ES3_S5_N6thrust23THRUST_200600_302600_NS17counting_iteratorIfNS8_11use_defaultESA_SA_EEPlZNS1_13binary_searchIS3_S5_PfSB_SC_NS1_21upper_bound_search_opENS8_6detail16wrapped_functionINS0_4lessIvEEbEEEE10hipError_tPvRmT1_T2_T3_mmT4_T5_P12ihipStream_tbEUlRKfE_EESL_SP_SQ_mSR_SU_bEUlT_E_NS1_11comp_targetILNS1_3genE5ELNS1_11target_archE942ELNS1_3gpuE9ELNS1_3repE0EEENS1_30default_config_static_selectorELNS0_4arch9wavefront6targetE0EEEvSO_,"axG",@progbits,_ZN7rocprim17ROCPRIM_400000_NS6detail17trampoline_kernelINS0_14default_configENS1_27upper_bound_config_selectorIflEEZNS1_14transform_implILb0ES3_S5_N6thrust23THRUST_200600_302600_NS17counting_iteratorIfNS8_11use_defaultESA_SA_EEPlZNS1_13binary_searchIS3_S5_PfSB_SC_NS1_21upper_bound_search_opENS8_6detail16wrapped_functionINS0_4lessIvEEbEEEE10hipError_tPvRmT1_T2_T3_mmT4_T5_P12ihipStream_tbEUlRKfE_EESL_SP_SQ_mSR_SU_bEUlT_E_NS1_11comp_targetILNS1_3genE5ELNS1_11target_archE942ELNS1_3gpuE9ELNS1_3repE0EEENS1_30default_config_static_selectorELNS0_4arch9wavefront6targetE0EEEvSO_,comdat
.Lfunc_end100:
	.size	_ZN7rocprim17ROCPRIM_400000_NS6detail17trampoline_kernelINS0_14default_configENS1_27upper_bound_config_selectorIflEEZNS1_14transform_implILb0ES3_S5_N6thrust23THRUST_200600_302600_NS17counting_iteratorIfNS8_11use_defaultESA_SA_EEPlZNS1_13binary_searchIS3_S5_PfSB_SC_NS1_21upper_bound_search_opENS8_6detail16wrapped_functionINS0_4lessIvEEbEEEE10hipError_tPvRmT1_T2_T3_mmT4_T5_P12ihipStream_tbEUlRKfE_EESL_SP_SQ_mSR_SU_bEUlT_E_NS1_11comp_targetILNS1_3genE5ELNS1_11target_archE942ELNS1_3gpuE9ELNS1_3repE0EEENS1_30default_config_static_selectorELNS0_4arch9wavefront6targetE0EEEvSO_, .Lfunc_end100-_ZN7rocprim17ROCPRIM_400000_NS6detail17trampoline_kernelINS0_14default_configENS1_27upper_bound_config_selectorIflEEZNS1_14transform_implILb0ES3_S5_N6thrust23THRUST_200600_302600_NS17counting_iteratorIfNS8_11use_defaultESA_SA_EEPlZNS1_13binary_searchIS3_S5_PfSB_SC_NS1_21upper_bound_search_opENS8_6detail16wrapped_functionINS0_4lessIvEEbEEEE10hipError_tPvRmT1_T2_T3_mmT4_T5_P12ihipStream_tbEUlRKfE_EESL_SP_SQ_mSR_SU_bEUlT_E_NS1_11comp_targetILNS1_3genE5ELNS1_11target_archE942ELNS1_3gpuE9ELNS1_3repE0EEENS1_30default_config_static_selectorELNS0_4arch9wavefront6targetE0EEEvSO_
                                        ; -- End function
	.section	.AMDGPU.csdata,"",@progbits
; Kernel info:
; codeLenInByte = 0
; NumSgprs: 0
; NumVgprs: 0
; ScratchSize: 0
; MemoryBound: 0
; FloatMode: 240
; IeeeMode: 1
; LDSByteSize: 0 bytes/workgroup (compile time only)
; SGPRBlocks: 0
; VGPRBlocks: 0
; NumSGPRsForWavesPerEU: 1
; NumVGPRsForWavesPerEU: 1
; Occupancy: 16
; WaveLimiterHint : 0
; COMPUTE_PGM_RSRC2:SCRATCH_EN: 0
; COMPUTE_PGM_RSRC2:USER_SGPR: 15
; COMPUTE_PGM_RSRC2:TRAP_HANDLER: 0
; COMPUTE_PGM_RSRC2:TGID_X_EN: 1
; COMPUTE_PGM_RSRC2:TGID_Y_EN: 0
; COMPUTE_PGM_RSRC2:TGID_Z_EN: 0
; COMPUTE_PGM_RSRC2:TIDIG_COMP_CNT: 0
	.section	.text._ZN7rocprim17ROCPRIM_400000_NS6detail17trampoline_kernelINS0_14default_configENS1_27upper_bound_config_selectorIflEEZNS1_14transform_implILb0ES3_S5_N6thrust23THRUST_200600_302600_NS17counting_iteratorIfNS8_11use_defaultESA_SA_EEPlZNS1_13binary_searchIS3_S5_PfSB_SC_NS1_21upper_bound_search_opENS8_6detail16wrapped_functionINS0_4lessIvEEbEEEE10hipError_tPvRmT1_T2_T3_mmT4_T5_P12ihipStream_tbEUlRKfE_EESL_SP_SQ_mSR_SU_bEUlT_E_NS1_11comp_targetILNS1_3genE4ELNS1_11target_archE910ELNS1_3gpuE8ELNS1_3repE0EEENS1_30default_config_static_selectorELNS0_4arch9wavefront6targetE0EEEvSO_,"axG",@progbits,_ZN7rocprim17ROCPRIM_400000_NS6detail17trampoline_kernelINS0_14default_configENS1_27upper_bound_config_selectorIflEEZNS1_14transform_implILb0ES3_S5_N6thrust23THRUST_200600_302600_NS17counting_iteratorIfNS8_11use_defaultESA_SA_EEPlZNS1_13binary_searchIS3_S5_PfSB_SC_NS1_21upper_bound_search_opENS8_6detail16wrapped_functionINS0_4lessIvEEbEEEE10hipError_tPvRmT1_T2_T3_mmT4_T5_P12ihipStream_tbEUlRKfE_EESL_SP_SQ_mSR_SU_bEUlT_E_NS1_11comp_targetILNS1_3genE4ELNS1_11target_archE910ELNS1_3gpuE8ELNS1_3repE0EEENS1_30default_config_static_selectorELNS0_4arch9wavefront6targetE0EEEvSO_,comdat
	.protected	_ZN7rocprim17ROCPRIM_400000_NS6detail17trampoline_kernelINS0_14default_configENS1_27upper_bound_config_selectorIflEEZNS1_14transform_implILb0ES3_S5_N6thrust23THRUST_200600_302600_NS17counting_iteratorIfNS8_11use_defaultESA_SA_EEPlZNS1_13binary_searchIS3_S5_PfSB_SC_NS1_21upper_bound_search_opENS8_6detail16wrapped_functionINS0_4lessIvEEbEEEE10hipError_tPvRmT1_T2_T3_mmT4_T5_P12ihipStream_tbEUlRKfE_EESL_SP_SQ_mSR_SU_bEUlT_E_NS1_11comp_targetILNS1_3genE4ELNS1_11target_archE910ELNS1_3gpuE8ELNS1_3repE0EEENS1_30default_config_static_selectorELNS0_4arch9wavefront6targetE0EEEvSO_ ; -- Begin function _ZN7rocprim17ROCPRIM_400000_NS6detail17trampoline_kernelINS0_14default_configENS1_27upper_bound_config_selectorIflEEZNS1_14transform_implILb0ES3_S5_N6thrust23THRUST_200600_302600_NS17counting_iteratorIfNS8_11use_defaultESA_SA_EEPlZNS1_13binary_searchIS3_S5_PfSB_SC_NS1_21upper_bound_search_opENS8_6detail16wrapped_functionINS0_4lessIvEEbEEEE10hipError_tPvRmT1_T2_T3_mmT4_T5_P12ihipStream_tbEUlRKfE_EESL_SP_SQ_mSR_SU_bEUlT_E_NS1_11comp_targetILNS1_3genE4ELNS1_11target_archE910ELNS1_3gpuE8ELNS1_3repE0EEENS1_30default_config_static_selectorELNS0_4arch9wavefront6targetE0EEEvSO_
	.globl	_ZN7rocprim17ROCPRIM_400000_NS6detail17trampoline_kernelINS0_14default_configENS1_27upper_bound_config_selectorIflEEZNS1_14transform_implILb0ES3_S5_N6thrust23THRUST_200600_302600_NS17counting_iteratorIfNS8_11use_defaultESA_SA_EEPlZNS1_13binary_searchIS3_S5_PfSB_SC_NS1_21upper_bound_search_opENS8_6detail16wrapped_functionINS0_4lessIvEEbEEEE10hipError_tPvRmT1_T2_T3_mmT4_T5_P12ihipStream_tbEUlRKfE_EESL_SP_SQ_mSR_SU_bEUlT_E_NS1_11comp_targetILNS1_3genE4ELNS1_11target_archE910ELNS1_3gpuE8ELNS1_3repE0EEENS1_30default_config_static_selectorELNS0_4arch9wavefront6targetE0EEEvSO_
	.p2align	8
	.type	_ZN7rocprim17ROCPRIM_400000_NS6detail17trampoline_kernelINS0_14default_configENS1_27upper_bound_config_selectorIflEEZNS1_14transform_implILb0ES3_S5_N6thrust23THRUST_200600_302600_NS17counting_iteratorIfNS8_11use_defaultESA_SA_EEPlZNS1_13binary_searchIS3_S5_PfSB_SC_NS1_21upper_bound_search_opENS8_6detail16wrapped_functionINS0_4lessIvEEbEEEE10hipError_tPvRmT1_T2_T3_mmT4_T5_P12ihipStream_tbEUlRKfE_EESL_SP_SQ_mSR_SU_bEUlT_E_NS1_11comp_targetILNS1_3genE4ELNS1_11target_archE910ELNS1_3gpuE8ELNS1_3repE0EEENS1_30default_config_static_selectorELNS0_4arch9wavefront6targetE0EEEvSO_,@function
_ZN7rocprim17ROCPRIM_400000_NS6detail17trampoline_kernelINS0_14default_configENS1_27upper_bound_config_selectorIflEEZNS1_14transform_implILb0ES3_S5_N6thrust23THRUST_200600_302600_NS17counting_iteratorIfNS8_11use_defaultESA_SA_EEPlZNS1_13binary_searchIS3_S5_PfSB_SC_NS1_21upper_bound_search_opENS8_6detail16wrapped_functionINS0_4lessIvEEbEEEE10hipError_tPvRmT1_T2_T3_mmT4_T5_P12ihipStream_tbEUlRKfE_EESL_SP_SQ_mSR_SU_bEUlT_E_NS1_11comp_targetILNS1_3genE4ELNS1_11target_archE910ELNS1_3gpuE8ELNS1_3repE0EEENS1_30default_config_static_selectorELNS0_4arch9wavefront6targetE0EEEvSO_: ; @_ZN7rocprim17ROCPRIM_400000_NS6detail17trampoline_kernelINS0_14default_configENS1_27upper_bound_config_selectorIflEEZNS1_14transform_implILb0ES3_S5_N6thrust23THRUST_200600_302600_NS17counting_iteratorIfNS8_11use_defaultESA_SA_EEPlZNS1_13binary_searchIS3_S5_PfSB_SC_NS1_21upper_bound_search_opENS8_6detail16wrapped_functionINS0_4lessIvEEbEEEE10hipError_tPvRmT1_T2_T3_mmT4_T5_P12ihipStream_tbEUlRKfE_EESL_SP_SQ_mSR_SU_bEUlT_E_NS1_11comp_targetILNS1_3genE4ELNS1_11target_archE910ELNS1_3gpuE8ELNS1_3repE0EEENS1_30default_config_static_selectorELNS0_4arch9wavefront6targetE0EEEvSO_
; %bb.0:
	.section	.rodata,"a",@progbits
	.p2align	6, 0x0
	.amdhsa_kernel _ZN7rocprim17ROCPRIM_400000_NS6detail17trampoline_kernelINS0_14default_configENS1_27upper_bound_config_selectorIflEEZNS1_14transform_implILb0ES3_S5_N6thrust23THRUST_200600_302600_NS17counting_iteratorIfNS8_11use_defaultESA_SA_EEPlZNS1_13binary_searchIS3_S5_PfSB_SC_NS1_21upper_bound_search_opENS8_6detail16wrapped_functionINS0_4lessIvEEbEEEE10hipError_tPvRmT1_T2_T3_mmT4_T5_P12ihipStream_tbEUlRKfE_EESL_SP_SQ_mSR_SU_bEUlT_E_NS1_11comp_targetILNS1_3genE4ELNS1_11target_archE910ELNS1_3gpuE8ELNS1_3repE0EEENS1_30default_config_static_selectorELNS0_4arch9wavefront6targetE0EEEvSO_
		.amdhsa_group_segment_fixed_size 0
		.amdhsa_private_segment_fixed_size 0
		.amdhsa_kernarg_size 56
		.amdhsa_user_sgpr_count 15
		.amdhsa_user_sgpr_dispatch_ptr 0
		.amdhsa_user_sgpr_queue_ptr 0
		.amdhsa_user_sgpr_kernarg_segment_ptr 1
		.amdhsa_user_sgpr_dispatch_id 0
		.amdhsa_user_sgpr_private_segment_size 0
		.amdhsa_wavefront_size32 1
		.amdhsa_uses_dynamic_stack 0
		.amdhsa_enable_private_segment 0
		.amdhsa_system_sgpr_workgroup_id_x 1
		.amdhsa_system_sgpr_workgroup_id_y 0
		.amdhsa_system_sgpr_workgroup_id_z 0
		.amdhsa_system_sgpr_workgroup_info 0
		.amdhsa_system_vgpr_workitem_id 0
		.amdhsa_next_free_vgpr 1
		.amdhsa_next_free_sgpr 1
		.amdhsa_reserve_vcc 0
		.amdhsa_float_round_mode_32 0
		.amdhsa_float_round_mode_16_64 0
		.amdhsa_float_denorm_mode_32 3
		.amdhsa_float_denorm_mode_16_64 3
		.amdhsa_dx10_clamp 1
		.amdhsa_ieee_mode 1
		.amdhsa_fp16_overflow 0
		.amdhsa_workgroup_processor_mode 1
		.amdhsa_memory_ordered 1
		.amdhsa_forward_progress 0
		.amdhsa_shared_vgpr_count 0
		.amdhsa_exception_fp_ieee_invalid_op 0
		.amdhsa_exception_fp_denorm_src 0
		.amdhsa_exception_fp_ieee_div_zero 0
		.amdhsa_exception_fp_ieee_overflow 0
		.amdhsa_exception_fp_ieee_underflow 0
		.amdhsa_exception_fp_ieee_inexact 0
		.amdhsa_exception_int_div_zero 0
	.end_amdhsa_kernel
	.section	.text._ZN7rocprim17ROCPRIM_400000_NS6detail17trampoline_kernelINS0_14default_configENS1_27upper_bound_config_selectorIflEEZNS1_14transform_implILb0ES3_S5_N6thrust23THRUST_200600_302600_NS17counting_iteratorIfNS8_11use_defaultESA_SA_EEPlZNS1_13binary_searchIS3_S5_PfSB_SC_NS1_21upper_bound_search_opENS8_6detail16wrapped_functionINS0_4lessIvEEbEEEE10hipError_tPvRmT1_T2_T3_mmT4_T5_P12ihipStream_tbEUlRKfE_EESL_SP_SQ_mSR_SU_bEUlT_E_NS1_11comp_targetILNS1_3genE4ELNS1_11target_archE910ELNS1_3gpuE8ELNS1_3repE0EEENS1_30default_config_static_selectorELNS0_4arch9wavefront6targetE0EEEvSO_,"axG",@progbits,_ZN7rocprim17ROCPRIM_400000_NS6detail17trampoline_kernelINS0_14default_configENS1_27upper_bound_config_selectorIflEEZNS1_14transform_implILb0ES3_S5_N6thrust23THRUST_200600_302600_NS17counting_iteratorIfNS8_11use_defaultESA_SA_EEPlZNS1_13binary_searchIS3_S5_PfSB_SC_NS1_21upper_bound_search_opENS8_6detail16wrapped_functionINS0_4lessIvEEbEEEE10hipError_tPvRmT1_T2_T3_mmT4_T5_P12ihipStream_tbEUlRKfE_EESL_SP_SQ_mSR_SU_bEUlT_E_NS1_11comp_targetILNS1_3genE4ELNS1_11target_archE910ELNS1_3gpuE8ELNS1_3repE0EEENS1_30default_config_static_selectorELNS0_4arch9wavefront6targetE0EEEvSO_,comdat
.Lfunc_end101:
	.size	_ZN7rocprim17ROCPRIM_400000_NS6detail17trampoline_kernelINS0_14default_configENS1_27upper_bound_config_selectorIflEEZNS1_14transform_implILb0ES3_S5_N6thrust23THRUST_200600_302600_NS17counting_iteratorIfNS8_11use_defaultESA_SA_EEPlZNS1_13binary_searchIS3_S5_PfSB_SC_NS1_21upper_bound_search_opENS8_6detail16wrapped_functionINS0_4lessIvEEbEEEE10hipError_tPvRmT1_T2_T3_mmT4_T5_P12ihipStream_tbEUlRKfE_EESL_SP_SQ_mSR_SU_bEUlT_E_NS1_11comp_targetILNS1_3genE4ELNS1_11target_archE910ELNS1_3gpuE8ELNS1_3repE0EEENS1_30default_config_static_selectorELNS0_4arch9wavefront6targetE0EEEvSO_, .Lfunc_end101-_ZN7rocprim17ROCPRIM_400000_NS6detail17trampoline_kernelINS0_14default_configENS1_27upper_bound_config_selectorIflEEZNS1_14transform_implILb0ES3_S5_N6thrust23THRUST_200600_302600_NS17counting_iteratorIfNS8_11use_defaultESA_SA_EEPlZNS1_13binary_searchIS3_S5_PfSB_SC_NS1_21upper_bound_search_opENS8_6detail16wrapped_functionINS0_4lessIvEEbEEEE10hipError_tPvRmT1_T2_T3_mmT4_T5_P12ihipStream_tbEUlRKfE_EESL_SP_SQ_mSR_SU_bEUlT_E_NS1_11comp_targetILNS1_3genE4ELNS1_11target_archE910ELNS1_3gpuE8ELNS1_3repE0EEENS1_30default_config_static_selectorELNS0_4arch9wavefront6targetE0EEEvSO_
                                        ; -- End function
	.section	.AMDGPU.csdata,"",@progbits
; Kernel info:
; codeLenInByte = 0
; NumSgprs: 0
; NumVgprs: 0
; ScratchSize: 0
; MemoryBound: 0
; FloatMode: 240
; IeeeMode: 1
; LDSByteSize: 0 bytes/workgroup (compile time only)
; SGPRBlocks: 0
; VGPRBlocks: 0
; NumSGPRsForWavesPerEU: 1
; NumVGPRsForWavesPerEU: 1
; Occupancy: 16
; WaveLimiterHint : 0
; COMPUTE_PGM_RSRC2:SCRATCH_EN: 0
; COMPUTE_PGM_RSRC2:USER_SGPR: 15
; COMPUTE_PGM_RSRC2:TRAP_HANDLER: 0
; COMPUTE_PGM_RSRC2:TGID_X_EN: 1
; COMPUTE_PGM_RSRC2:TGID_Y_EN: 0
; COMPUTE_PGM_RSRC2:TGID_Z_EN: 0
; COMPUTE_PGM_RSRC2:TIDIG_COMP_CNT: 0
	.section	.text._ZN7rocprim17ROCPRIM_400000_NS6detail17trampoline_kernelINS0_14default_configENS1_27upper_bound_config_selectorIflEEZNS1_14transform_implILb0ES3_S5_N6thrust23THRUST_200600_302600_NS17counting_iteratorIfNS8_11use_defaultESA_SA_EEPlZNS1_13binary_searchIS3_S5_PfSB_SC_NS1_21upper_bound_search_opENS8_6detail16wrapped_functionINS0_4lessIvEEbEEEE10hipError_tPvRmT1_T2_T3_mmT4_T5_P12ihipStream_tbEUlRKfE_EESL_SP_SQ_mSR_SU_bEUlT_E_NS1_11comp_targetILNS1_3genE3ELNS1_11target_archE908ELNS1_3gpuE7ELNS1_3repE0EEENS1_30default_config_static_selectorELNS0_4arch9wavefront6targetE0EEEvSO_,"axG",@progbits,_ZN7rocprim17ROCPRIM_400000_NS6detail17trampoline_kernelINS0_14default_configENS1_27upper_bound_config_selectorIflEEZNS1_14transform_implILb0ES3_S5_N6thrust23THRUST_200600_302600_NS17counting_iteratorIfNS8_11use_defaultESA_SA_EEPlZNS1_13binary_searchIS3_S5_PfSB_SC_NS1_21upper_bound_search_opENS8_6detail16wrapped_functionINS0_4lessIvEEbEEEE10hipError_tPvRmT1_T2_T3_mmT4_T5_P12ihipStream_tbEUlRKfE_EESL_SP_SQ_mSR_SU_bEUlT_E_NS1_11comp_targetILNS1_3genE3ELNS1_11target_archE908ELNS1_3gpuE7ELNS1_3repE0EEENS1_30default_config_static_selectorELNS0_4arch9wavefront6targetE0EEEvSO_,comdat
	.protected	_ZN7rocprim17ROCPRIM_400000_NS6detail17trampoline_kernelINS0_14default_configENS1_27upper_bound_config_selectorIflEEZNS1_14transform_implILb0ES3_S5_N6thrust23THRUST_200600_302600_NS17counting_iteratorIfNS8_11use_defaultESA_SA_EEPlZNS1_13binary_searchIS3_S5_PfSB_SC_NS1_21upper_bound_search_opENS8_6detail16wrapped_functionINS0_4lessIvEEbEEEE10hipError_tPvRmT1_T2_T3_mmT4_T5_P12ihipStream_tbEUlRKfE_EESL_SP_SQ_mSR_SU_bEUlT_E_NS1_11comp_targetILNS1_3genE3ELNS1_11target_archE908ELNS1_3gpuE7ELNS1_3repE0EEENS1_30default_config_static_selectorELNS0_4arch9wavefront6targetE0EEEvSO_ ; -- Begin function _ZN7rocprim17ROCPRIM_400000_NS6detail17trampoline_kernelINS0_14default_configENS1_27upper_bound_config_selectorIflEEZNS1_14transform_implILb0ES3_S5_N6thrust23THRUST_200600_302600_NS17counting_iteratorIfNS8_11use_defaultESA_SA_EEPlZNS1_13binary_searchIS3_S5_PfSB_SC_NS1_21upper_bound_search_opENS8_6detail16wrapped_functionINS0_4lessIvEEbEEEE10hipError_tPvRmT1_T2_T3_mmT4_T5_P12ihipStream_tbEUlRKfE_EESL_SP_SQ_mSR_SU_bEUlT_E_NS1_11comp_targetILNS1_3genE3ELNS1_11target_archE908ELNS1_3gpuE7ELNS1_3repE0EEENS1_30default_config_static_selectorELNS0_4arch9wavefront6targetE0EEEvSO_
	.globl	_ZN7rocprim17ROCPRIM_400000_NS6detail17trampoline_kernelINS0_14default_configENS1_27upper_bound_config_selectorIflEEZNS1_14transform_implILb0ES3_S5_N6thrust23THRUST_200600_302600_NS17counting_iteratorIfNS8_11use_defaultESA_SA_EEPlZNS1_13binary_searchIS3_S5_PfSB_SC_NS1_21upper_bound_search_opENS8_6detail16wrapped_functionINS0_4lessIvEEbEEEE10hipError_tPvRmT1_T2_T3_mmT4_T5_P12ihipStream_tbEUlRKfE_EESL_SP_SQ_mSR_SU_bEUlT_E_NS1_11comp_targetILNS1_3genE3ELNS1_11target_archE908ELNS1_3gpuE7ELNS1_3repE0EEENS1_30default_config_static_selectorELNS0_4arch9wavefront6targetE0EEEvSO_
	.p2align	8
	.type	_ZN7rocprim17ROCPRIM_400000_NS6detail17trampoline_kernelINS0_14default_configENS1_27upper_bound_config_selectorIflEEZNS1_14transform_implILb0ES3_S5_N6thrust23THRUST_200600_302600_NS17counting_iteratorIfNS8_11use_defaultESA_SA_EEPlZNS1_13binary_searchIS3_S5_PfSB_SC_NS1_21upper_bound_search_opENS8_6detail16wrapped_functionINS0_4lessIvEEbEEEE10hipError_tPvRmT1_T2_T3_mmT4_T5_P12ihipStream_tbEUlRKfE_EESL_SP_SQ_mSR_SU_bEUlT_E_NS1_11comp_targetILNS1_3genE3ELNS1_11target_archE908ELNS1_3gpuE7ELNS1_3repE0EEENS1_30default_config_static_selectorELNS0_4arch9wavefront6targetE0EEEvSO_,@function
_ZN7rocprim17ROCPRIM_400000_NS6detail17trampoline_kernelINS0_14default_configENS1_27upper_bound_config_selectorIflEEZNS1_14transform_implILb0ES3_S5_N6thrust23THRUST_200600_302600_NS17counting_iteratorIfNS8_11use_defaultESA_SA_EEPlZNS1_13binary_searchIS3_S5_PfSB_SC_NS1_21upper_bound_search_opENS8_6detail16wrapped_functionINS0_4lessIvEEbEEEE10hipError_tPvRmT1_T2_T3_mmT4_T5_P12ihipStream_tbEUlRKfE_EESL_SP_SQ_mSR_SU_bEUlT_E_NS1_11comp_targetILNS1_3genE3ELNS1_11target_archE908ELNS1_3gpuE7ELNS1_3repE0EEENS1_30default_config_static_selectorELNS0_4arch9wavefront6targetE0EEEvSO_: ; @_ZN7rocprim17ROCPRIM_400000_NS6detail17trampoline_kernelINS0_14default_configENS1_27upper_bound_config_selectorIflEEZNS1_14transform_implILb0ES3_S5_N6thrust23THRUST_200600_302600_NS17counting_iteratorIfNS8_11use_defaultESA_SA_EEPlZNS1_13binary_searchIS3_S5_PfSB_SC_NS1_21upper_bound_search_opENS8_6detail16wrapped_functionINS0_4lessIvEEbEEEE10hipError_tPvRmT1_T2_T3_mmT4_T5_P12ihipStream_tbEUlRKfE_EESL_SP_SQ_mSR_SU_bEUlT_E_NS1_11comp_targetILNS1_3genE3ELNS1_11target_archE908ELNS1_3gpuE7ELNS1_3repE0EEENS1_30default_config_static_selectorELNS0_4arch9wavefront6targetE0EEEvSO_
; %bb.0:
	.section	.rodata,"a",@progbits
	.p2align	6, 0x0
	.amdhsa_kernel _ZN7rocprim17ROCPRIM_400000_NS6detail17trampoline_kernelINS0_14default_configENS1_27upper_bound_config_selectorIflEEZNS1_14transform_implILb0ES3_S5_N6thrust23THRUST_200600_302600_NS17counting_iteratorIfNS8_11use_defaultESA_SA_EEPlZNS1_13binary_searchIS3_S5_PfSB_SC_NS1_21upper_bound_search_opENS8_6detail16wrapped_functionINS0_4lessIvEEbEEEE10hipError_tPvRmT1_T2_T3_mmT4_T5_P12ihipStream_tbEUlRKfE_EESL_SP_SQ_mSR_SU_bEUlT_E_NS1_11comp_targetILNS1_3genE3ELNS1_11target_archE908ELNS1_3gpuE7ELNS1_3repE0EEENS1_30default_config_static_selectorELNS0_4arch9wavefront6targetE0EEEvSO_
		.amdhsa_group_segment_fixed_size 0
		.amdhsa_private_segment_fixed_size 0
		.amdhsa_kernarg_size 56
		.amdhsa_user_sgpr_count 15
		.amdhsa_user_sgpr_dispatch_ptr 0
		.amdhsa_user_sgpr_queue_ptr 0
		.amdhsa_user_sgpr_kernarg_segment_ptr 1
		.amdhsa_user_sgpr_dispatch_id 0
		.amdhsa_user_sgpr_private_segment_size 0
		.amdhsa_wavefront_size32 1
		.amdhsa_uses_dynamic_stack 0
		.amdhsa_enable_private_segment 0
		.amdhsa_system_sgpr_workgroup_id_x 1
		.amdhsa_system_sgpr_workgroup_id_y 0
		.amdhsa_system_sgpr_workgroup_id_z 0
		.amdhsa_system_sgpr_workgroup_info 0
		.amdhsa_system_vgpr_workitem_id 0
		.amdhsa_next_free_vgpr 1
		.amdhsa_next_free_sgpr 1
		.amdhsa_reserve_vcc 0
		.amdhsa_float_round_mode_32 0
		.amdhsa_float_round_mode_16_64 0
		.amdhsa_float_denorm_mode_32 3
		.amdhsa_float_denorm_mode_16_64 3
		.amdhsa_dx10_clamp 1
		.amdhsa_ieee_mode 1
		.amdhsa_fp16_overflow 0
		.amdhsa_workgroup_processor_mode 1
		.amdhsa_memory_ordered 1
		.amdhsa_forward_progress 0
		.amdhsa_shared_vgpr_count 0
		.amdhsa_exception_fp_ieee_invalid_op 0
		.amdhsa_exception_fp_denorm_src 0
		.amdhsa_exception_fp_ieee_div_zero 0
		.amdhsa_exception_fp_ieee_overflow 0
		.amdhsa_exception_fp_ieee_underflow 0
		.amdhsa_exception_fp_ieee_inexact 0
		.amdhsa_exception_int_div_zero 0
	.end_amdhsa_kernel
	.section	.text._ZN7rocprim17ROCPRIM_400000_NS6detail17trampoline_kernelINS0_14default_configENS1_27upper_bound_config_selectorIflEEZNS1_14transform_implILb0ES3_S5_N6thrust23THRUST_200600_302600_NS17counting_iteratorIfNS8_11use_defaultESA_SA_EEPlZNS1_13binary_searchIS3_S5_PfSB_SC_NS1_21upper_bound_search_opENS8_6detail16wrapped_functionINS0_4lessIvEEbEEEE10hipError_tPvRmT1_T2_T3_mmT4_T5_P12ihipStream_tbEUlRKfE_EESL_SP_SQ_mSR_SU_bEUlT_E_NS1_11comp_targetILNS1_3genE3ELNS1_11target_archE908ELNS1_3gpuE7ELNS1_3repE0EEENS1_30default_config_static_selectorELNS0_4arch9wavefront6targetE0EEEvSO_,"axG",@progbits,_ZN7rocprim17ROCPRIM_400000_NS6detail17trampoline_kernelINS0_14default_configENS1_27upper_bound_config_selectorIflEEZNS1_14transform_implILb0ES3_S5_N6thrust23THRUST_200600_302600_NS17counting_iteratorIfNS8_11use_defaultESA_SA_EEPlZNS1_13binary_searchIS3_S5_PfSB_SC_NS1_21upper_bound_search_opENS8_6detail16wrapped_functionINS0_4lessIvEEbEEEE10hipError_tPvRmT1_T2_T3_mmT4_T5_P12ihipStream_tbEUlRKfE_EESL_SP_SQ_mSR_SU_bEUlT_E_NS1_11comp_targetILNS1_3genE3ELNS1_11target_archE908ELNS1_3gpuE7ELNS1_3repE0EEENS1_30default_config_static_selectorELNS0_4arch9wavefront6targetE0EEEvSO_,comdat
.Lfunc_end102:
	.size	_ZN7rocprim17ROCPRIM_400000_NS6detail17trampoline_kernelINS0_14default_configENS1_27upper_bound_config_selectorIflEEZNS1_14transform_implILb0ES3_S5_N6thrust23THRUST_200600_302600_NS17counting_iteratorIfNS8_11use_defaultESA_SA_EEPlZNS1_13binary_searchIS3_S5_PfSB_SC_NS1_21upper_bound_search_opENS8_6detail16wrapped_functionINS0_4lessIvEEbEEEE10hipError_tPvRmT1_T2_T3_mmT4_T5_P12ihipStream_tbEUlRKfE_EESL_SP_SQ_mSR_SU_bEUlT_E_NS1_11comp_targetILNS1_3genE3ELNS1_11target_archE908ELNS1_3gpuE7ELNS1_3repE0EEENS1_30default_config_static_selectorELNS0_4arch9wavefront6targetE0EEEvSO_, .Lfunc_end102-_ZN7rocprim17ROCPRIM_400000_NS6detail17trampoline_kernelINS0_14default_configENS1_27upper_bound_config_selectorIflEEZNS1_14transform_implILb0ES3_S5_N6thrust23THRUST_200600_302600_NS17counting_iteratorIfNS8_11use_defaultESA_SA_EEPlZNS1_13binary_searchIS3_S5_PfSB_SC_NS1_21upper_bound_search_opENS8_6detail16wrapped_functionINS0_4lessIvEEbEEEE10hipError_tPvRmT1_T2_T3_mmT4_T5_P12ihipStream_tbEUlRKfE_EESL_SP_SQ_mSR_SU_bEUlT_E_NS1_11comp_targetILNS1_3genE3ELNS1_11target_archE908ELNS1_3gpuE7ELNS1_3repE0EEENS1_30default_config_static_selectorELNS0_4arch9wavefront6targetE0EEEvSO_
                                        ; -- End function
	.section	.AMDGPU.csdata,"",@progbits
; Kernel info:
; codeLenInByte = 0
; NumSgprs: 0
; NumVgprs: 0
; ScratchSize: 0
; MemoryBound: 0
; FloatMode: 240
; IeeeMode: 1
; LDSByteSize: 0 bytes/workgroup (compile time only)
; SGPRBlocks: 0
; VGPRBlocks: 0
; NumSGPRsForWavesPerEU: 1
; NumVGPRsForWavesPerEU: 1
; Occupancy: 16
; WaveLimiterHint : 0
; COMPUTE_PGM_RSRC2:SCRATCH_EN: 0
; COMPUTE_PGM_RSRC2:USER_SGPR: 15
; COMPUTE_PGM_RSRC2:TRAP_HANDLER: 0
; COMPUTE_PGM_RSRC2:TGID_X_EN: 1
; COMPUTE_PGM_RSRC2:TGID_Y_EN: 0
; COMPUTE_PGM_RSRC2:TGID_Z_EN: 0
; COMPUTE_PGM_RSRC2:TIDIG_COMP_CNT: 0
	.section	.text._ZN7rocprim17ROCPRIM_400000_NS6detail17trampoline_kernelINS0_14default_configENS1_27upper_bound_config_selectorIflEEZNS1_14transform_implILb0ES3_S5_N6thrust23THRUST_200600_302600_NS17counting_iteratorIfNS8_11use_defaultESA_SA_EEPlZNS1_13binary_searchIS3_S5_PfSB_SC_NS1_21upper_bound_search_opENS8_6detail16wrapped_functionINS0_4lessIvEEbEEEE10hipError_tPvRmT1_T2_T3_mmT4_T5_P12ihipStream_tbEUlRKfE_EESL_SP_SQ_mSR_SU_bEUlT_E_NS1_11comp_targetILNS1_3genE2ELNS1_11target_archE906ELNS1_3gpuE6ELNS1_3repE0EEENS1_30default_config_static_selectorELNS0_4arch9wavefront6targetE0EEEvSO_,"axG",@progbits,_ZN7rocprim17ROCPRIM_400000_NS6detail17trampoline_kernelINS0_14default_configENS1_27upper_bound_config_selectorIflEEZNS1_14transform_implILb0ES3_S5_N6thrust23THRUST_200600_302600_NS17counting_iteratorIfNS8_11use_defaultESA_SA_EEPlZNS1_13binary_searchIS3_S5_PfSB_SC_NS1_21upper_bound_search_opENS8_6detail16wrapped_functionINS0_4lessIvEEbEEEE10hipError_tPvRmT1_T2_T3_mmT4_T5_P12ihipStream_tbEUlRKfE_EESL_SP_SQ_mSR_SU_bEUlT_E_NS1_11comp_targetILNS1_3genE2ELNS1_11target_archE906ELNS1_3gpuE6ELNS1_3repE0EEENS1_30default_config_static_selectorELNS0_4arch9wavefront6targetE0EEEvSO_,comdat
	.protected	_ZN7rocprim17ROCPRIM_400000_NS6detail17trampoline_kernelINS0_14default_configENS1_27upper_bound_config_selectorIflEEZNS1_14transform_implILb0ES3_S5_N6thrust23THRUST_200600_302600_NS17counting_iteratorIfNS8_11use_defaultESA_SA_EEPlZNS1_13binary_searchIS3_S5_PfSB_SC_NS1_21upper_bound_search_opENS8_6detail16wrapped_functionINS0_4lessIvEEbEEEE10hipError_tPvRmT1_T2_T3_mmT4_T5_P12ihipStream_tbEUlRKfE_EESL_SP_SQ_mSR_SU_bEUlT_E_NS1_11comp_targetILNS1_3genE2ELNS1_11target_archE906ELNS1_3gpuE6ELNS1_3repE0EEENS1_30default_config_static_selectorELNS0_4arch9wavefront6targetE0EEEvSO_ ; -- Begin function _ZN7rocprim17ROCPRIM_400000_NS6detail17trampoline_kernelINS0_14default_configENS1_27upper_bound_config_selectorIflEEZNS1_14transform_implILb0ES3_S5_N6thrust23THRUST_200600_302600_NS17counting_iteratorIfNS8_11use_defaultESA_SA_EEPlZNS1_13binary_searchIS3_S5_PfSB_SC_NS1_21upper_bound_search_opENS8_6detail16wrapped_functionINS0_4lessIvEEbEEEE10hipError_tPvRmT1_T2_T3_mmT4_T5_P12ihipStream_tbEUlRKfE_EESL_SP_SQ_mSR_SU_bEUlT_E_NS1_11comp_targetILNS1_3genE2ELNS1_11target_archE906ELNS1_3gpuE6ELNS1_3repE0EEENS1_30default_config_static_selectorELNS0_4arch9wavefront6targetE0EEEvSO_
	.globl	_ZN7rocprim17ROCPRIM_400000_NS6detail17trampoline_kernelINS0_14default_configENS1_27upper_bound_config_selectorIflEEZNS1_14transform_implILb0ES3_S5_N6thrust23THRUST_200600_302600_NS17counting_iteratorIfNS8_11use_defaultESA_SA_EEPlZNS1_13binary_searchIS3_S5_PfSB_SC_NS1_21upper_bound_search_opENS8_6detail16wrapped_functionINS0_4lessIvEEbEEEE10hipError_tPvRmT1_T2_T3_mmT4_T5_P12ihipStream_tbEUlRKfE_EESL_SP_SQ_mSR_SU_bEUlT_E_NS1_11comp_targetILNS1_3genE2ELNS1_11target_archE906ELNS1_3gpuE6ELNS1_3repE0EEENS1_30default_config_static_selectorELNS0_4arch9wavefront6targetE0EEEvSO_
	.p2align	8
	.type	_ZN7rocprim17ROCPRIM_400000_NS6detail17trampoline_kernelINS0_14default_configENS1_27upper_bound_config_selectorIflEEZNS1_14transform_implILb0ES3_S5_N6thrust23THRUST_200600_302600_NS17counting_iteratorIfNS8_11use_defaultESA_SA_EEPlZNS1_13binary_searchIS3_S5_PfSB_SC_NS1_21upper_bound_search_opENS8_6detail16wrapped_functionINS0_4lessIvEEbEEEE10hipError_tPvRmT1_T2_T3_mmT4_T5_P12ihipStream_tbEUlRKfE_EESL_SP_SQ_mSR_SU_bEUlT_E_NS1_11comp_targetILNS1_3genE2ELNS1_11target_archE906ELNS1_3gpuE6ELNS1_3repE0EEENS1_30default_config_static_selectorELNS0_4arch9wavefront6targetE0EEEvSO_,@function
_ZN7rocprim17ROCPRIM_400000_NS6detail17trampoline_kernelINS0_14default_configENS1_27upper_bound_config_selectorIflEEZNS1_14transform_implILb0ES3_S5_N6thrust23THRUST_200600_302600_NS17counting_iteratorIfNS8_11use_defaultESA_SA_EEPlZNS1_13binary_searchIS3_S5_PfSB_SC_NS1_21upper_bound_search_opENS8_6detail16wrapped_functionINS0_4lessIvEEbEEEE10hipError_tPvRmT1_T2_T3_mmT4_T5_P12ihipStream_tbEUlRKfE_EESL_SP_SQ_mSR_SU_bEUlT_E_NS1_11comp_targetILNS1_3genE2ELNS1_11target_archE906ELNS1_3gpuE6ELNS1_3repE0EEENS1_30default_config_static_selectorELNS0_4arch9wavefront6targetE0EEEvSO_: ; @_ZN7rocprim17ROCPRIM_400000_NS6detail17trampoline_kernelINS0_14default_configENS1_27upper_bound_config_selectorIflEEZNS1_14transform_implILb0ES3_S5_N6thrust23THRUST_200600_302600_NS17counting_iteratorIfNS8_11use_defaultESA_SA_EEPlZNS1_13binary_searchIS3_S5_PfSB_SC_NS1_21upper_bound_search_opENS8_6detail16wrapped_functionINS0_4lessIvEEbEEEE10hipError_tPvRmT1_T2_T3_mmT4_T5_P12ihipStream_tbEUlRKfE_EESL_SP_SQ_mSR_SU_bEUlT_E_NS1_11comp_targetILNS1_3genE2ELNS1_11target_archE906ELNS1_3gpuE6ELNS1_3repE0EEENS1_30default_config_static_selectorELNS0_4arch9wavefront6targetE0EEEvSO_
; %bb.0:
	.section	.rodata,"a",@progbits
	.p2align	6, 0x0
	.amdhsa_kernel _ZN7rocprim17ROCPRIM_400000_NS6detail17trampoline_kernelINS0_14default_configENS1_27upper_bound_config_selectorIflEEZNS1_14transform_implILb0ES3_S5_N6thrust23THRUST_200600_302600_NS17counting_iteratorIfNS8_11use_defaultESA_SA_EEPlZNS1_13binary_searchIS3_S5_PfSB_SC_NS1_21upper_bound_search_opENS8_6detail16wrapped_functionINS0_4lessIvEEbEEEE10hipError_tPvRmT1_T2_T3_mmT4_T5_P12ihipStream_tbEUlRKfE_EESL_SP_SQ_mSR_SU_bEUlT_E_NS1_11comp_targetILNS1_3genE2ELNS1_11target_archE906ELNS1_3gpuE6ELNS1_3repE0EEENS1_30default_config_static_selectorELNS0_4arch9wavefront6targetE0EEEvSO_
		.amdhsa_group_segment_fixed_size 0
		.amdhsa_private_segment_fixed_size 0
		.amdhsa_kernarg_size 56
		.amdhsa_user_sgpr_count 15
		.amdhsa_user_sgpr_dispatch_ptr 0
		.amdhsa_user_sgpr_queue_ptr 0
		.amdhsa_user_sgpr_kernarg_segment_ptr 1
		.amdhsa_user_sgpr_dispatch_id 0
		.amdhsa_user_sgpr_private_segment_size 0
		.amdhsa_wavefront_size32 1
		.amdhsa_uses_dynamic_stack 0
		.amdhsa_enable_private_segment 0
		.amdhsa_system_sgpr_workgroup_id_x 1
		.amdhsa_system_sgpr_workgroup_id_y 0
		.amdhsa_system_sgpr_workgroup_id_z 0
		.amdhsa_system_sgpr_workgroup_info 0
		.amdhsa_system_vgpr_workitem_id 0
		.amdhsa_next_free_vgpr 1
		.amdhsa_next_free_sgpr 1
		.amdhsa_reserve_vcc 0
		.amdhsa_float_round_mode_32 0
		.amdhsa_float_round_mode_16_64 0
		.amdhsa_float_denorm_mode_32 3
		.amdhsa_float_denorm_mode_16_64 3
		.amdhsa_dx10_clamp 1
		.amdhsa_ieee_mode 1
		.amdhsa_fp16_overflow 0
		.amdhsa_workgroup_processor_mode 1
		.amdhsa_memory_ordered 1
		.amdhsa_forward_progress 0
		.amdhsa_shared_vgpr_count 0
		.amdhsa_exception_fp_ieee_invalid_op 0
		.amdhsa_exception_fp_denorm_src 0
		.amdhsa_exception_fp_ieee_div_zero 0
		.amdhsa_exception_fp_ieee_overflow 0
		.amdhsa_exception_fp_ieee_underflow 0
		.amdhsa_exception_fp_ieee_inexact 0
		.amdhsa_exception_int_div_zero 0
	.end_amdhsa_kernel
	.section	.text._ZN7rocprim17ROCPRIM_400000_NS6detail17trampoline_kernelINS0_14default_configENS1_27upper_bound_config_selectorIflEEZNS1_14transform_implILb0ES3_S5_N6thrust23THRUST_200600_302600_NS17counting_iteratorIfNS8_11use_defaultESA_SA_EEPlZNS1_13binary_searchIS3_S5_PfSB_SC_NS1_21upper_bound_search_opENS8_6detail16wrapped_functionINS0_4lessIvEEbEEEE10hipError_tPvRmT1_T2_T3_mmT4_T5_P12ihipStream_tbEUlRKfE_EESL_SP_SQ_mSR_SU_bEUlT_E_NS1_11comp_targetILNS1_3genE2ELNS1_11target_archE906ELNS1_3gpuE6ELNS1_3repE0EEENS1_30default_config_static_selectorELNS0_4arch9wavefront6targetE0EEEvSO_,"axG",@progbits,_ZN7rocprim17ROCPRIM_400000_NS6detail17trampoline_kernelINS0_14default_configENS1_27upper_bound_config_selectorIflEEZNS1_14transform_implILb0ES3_S5_N6thrust23THRUST_200600_302600_NS17counting_iteratorIfNS8_11use_defaultESA_SA_EEPlZNS1_13binary_searchIS3_S5_PfSB_SC_NS1_21upper_bound_search_opENS8_6detail16wrapped_functionINS0_4lessIvEEbEEEE10hipError_tPvRmT1_T2_T3_mmT4_T5_P12ihipStream_tbEUlRKfE_EESL_SP_SQ_mSR_SU_bEUlT_E_NS1_11comp_targetILNS1_3genE2ELNS1_11target_archE906ELNS1_3gpuE6ELNS1_3repE0EEENS1_30default_config_static_selectorELNS0_4arch9wavefront6targetE0EEEvSO_,comdat
.Lfunc_end103:
	.size	_ZN7rocprim17ROCPRIM_400000_NS6detail17trampoline_kernelINS0_14default_configENS1_27upper_bound_config_selectorIflEEZNS1_14transform_implILb0ES3_S5_N6thrust23THRUST_200600_302600_NS17counting_iteratorIfNS8_11use_defaultESA_SA_EEPlZNS1_13binary_searchIS3_S5_PfSB_SC_NS1_21upper_bound_search_opENS8_6detail16wrapped_functionINS0_4lessIvEEbEEEE10hipError_tPvRmT1_T2_T3_mmT4_T5_P12ihipStream_tbEUlRKfE_EESL_SP_SQ_mSR_SU_bEUlT_E_NS1_11comp_targetILNS1_3genE2ELNS1_11target_archE906ELNS1_3gpuE6ELNS1_3repE0EEENS1_30default_config_static_selectorELNS0_4arch9wavefront6targetE0EEEvSO_, .Lfunc_end103-_ZN7rocprim17ROCPRIM_400000_NS6detail17trampoline_kernelINS0_14default_configENS1_27upper_bound_config_selectorIflEEZNS1_14transform_implILb0ES3_S5_N6thrust23THRUST_200600_302600_NS17counting_iteratorIfNS8_11use_defaultESA_SA_EEPlZNS1_13binary_searchIS3_S5_PfSB_SC_NS1_21upper_bound_search_opENS8_6detail16wrapped_functionINS0_4lessIvEEbEEEE10hipError_tPvRmT1_T2_T3_mmT4_T5_P12ihipStream_tbEUlRKfE_EESL_SP_SQ_mSR_SU_bEUlT_E_NS1_11comp_targetILNS1_3genE2ELNS1_11target_archE906ELNS1_3gpuE6ELNS1_3repE0EEENS1_30default_config_static_selectorELNS0_4arch9wavefront6targetE0EEEvSO_
                                        ; -- End function
	.section	.AMDGPU.csdata,"",@progbits
; Kernel info:
; codeLenInByte = 0
; NumSgprs: 0
; NumVgprs: 0
; ScratchSize: 0
; MemoryBound: 0
; FloatMode: 240
; IeeeMode: 1
; LDSByteSize: 0 bytes/workgroup (compile time only)
; SGPRBlocks: 0
; VGPRBlocks: 0
; NumSGPRsForWavesPerEU: 1
; NumVGPRsForWavesPerEU: 1
; Occupancy: 16
; WaveLimiterHint : 0
; COMPUTE_PGM_RSRC2:SCRATCH_EN: 0
; COMPUTE_PGM_RSRC2:USER_SGPR: 15
; COMPUTE_PGM_RSRC2:TRAP_HANDLER: 0
; COMPUTE_PGM_RSRC2:TGID_X_EN: 1
; COMPUTE_PGM_RSRC2:TGID_Y_EN: 0
; COMPUTE_PGM_RSRC2:TGID_Z_EN: 0
; COMPUTE_PGM_RSRC2:TIDIG_COMP_CNT: 0
	.section	.text._ZN7rocprim17ROCPRIM_400000_NS6detail17trampoline_kernelINS0_14default_configENS1_27upper_bound_config_selectorIflEEZNS1_14transform_implILb0ES3_S5_N6thrust23THRUST_200600_302600_NS17counting_iteratorIfNS8_11use_defaultESA_SA_EEPlZNS1_13binary_searchIS3_S5_PfSB_SC_NS1_21upper_bound_search_opENS8_6detail16wrapped_functionINS0_4lessIvEEbEEEE10hipError_tPvRmT1_T2_T3_mmT4_T5_P12ihipStream_tbEUlRKfE_EESL_SP_SQ_mSR_SU_bEUlT_E_NS1_11comp_targetILNS1_3genE10ELNS1_11target_archE1201ELNS1_3gpuE5ELNS1_3repE0EEENS1_30default_config_static_selectorELNS0_4arch9wavefront6targetE0EEEvSO_,"axG",@progbits,_ZN7rocprim17ROCPRIM_400000_NS6detail17trampoline_kernelINS0_14default_configENS1_27upper_bound_config_selectorIflEEZNS1_14transform_implILb0ES3_S5_N6thrust23THRUST_200600_302600_NS17counting_iteratorIfNS8_11use_defaultESA_SA_EEPlZNS1_13binary_searchIS3_S5_PfSB_SC_NS1_21upper_bound_search_opENS8_6detail16wrapped_functionINS0_4lessIvEEbEEEE10hipError_tPvRmT1_T2_T3_mmT4_T5_P12ihipStream_tbEUlRKfE_EESL_SP_SQ_mSR_SU_bEUlT_E_NS1_11comp_targetILNS1_3genE10ELNS1_11target_archE1201ELNS1_3gpuE5ELNS1_3repE0EEENS1_30default_config_static_selectorELNS0_4arch9wavefront6targetE0EEEvSO_,comdat
	.protected	_ZN7rocprim17ROCPRIM_400000_NS6detail17trampoline_kernelINS0_14default_configENS1_27upper_bound_config_selectorIflEEZNS1_14transform_implILb0ES3_S5_N6thrust23THRUST_200600_302600_NS17counting_iteratorIfNS8_11use_defaultESA_SA_EEPlZNS1_13binary_searchIS3_S5_PfSB_SC_NS1_21upper_bound_search_opENS8_6detail16wrapped_functionINS0_4lessIvEEbEEEE10hipError_tPvRmT1_T2_T3_mmT4_T5_P12ihipStream_tbEUlRKfE_EESL_SP_SQ_mSR_SU_bEUlT_E_NS1_11comp_targetILNS1_3genE10ELNS1_11target_archE1201ELNS1_3gpuE5ELNS1_3repE0EEENS1_30default_config_static_selectorELNS0_4arch9wavefront6targetE0EEEvSO_ ; -- Begin function _ZN7rocprim17ROCPRIM_400000_NS6detail17trampoline_kernelINS0_14default_configENS1_27upper_bound_config_selectorIflEEZNS1_14transform_implILb0ES3_S5_N6thrust23THRUST_200600_302600_NS17counting_iteratorIfNS8_11use_defaultESA_SA_EEPlZNS1_13binary_searchIS3_S5_PfSB_SC_NS1_21upper_bound_search_opENS8_6detail16wrapped_functionINS0_4lessIvEEbEEEE10hipError_tPvRmT1_T2_T3_mmT4_T5_P12ihipStream_tbEUlRKfE_EESL_SP_SQ_mSR_SU_bEUlT_E_NS1_11comp_targetILNS1_3genE10ELNS1_11target_archE1201ELNS1_3gpuE5ELNS1_3repE0EEENS1_30default_config_static_selectorELNS0_4arch9wavefront6targetE0EEEvSO_
	.globl	_ZN7rocprim17ROCPRIM_400000_NS6detail17trampoline_kernelINS0_14default_configENS1_27upper_bound_config_selectorIflEEZNS1_14transform_implILb0ES3_S5_N6thrust23THRUST_200600_302600_NS17counting_iteratorIfNS8_11use_defaultESA_SA_EEPlZNS1_13binary_searchIS3_S5_PfSB_SC_NS1_21upper_bound_search_opENS8_6detail16wrapped_functionINS0_4lessIvEEbEEEE10hipError_tPvRmT1_T2_T3_mmT4_T5_P12ihipStream_tbEUlRKfE_EESL_SP_SQ_mSR_SU_bEUlT_E_NS1_11comp_targetILNS1_3genE10ELNS1_11target_archE1201ELNS1_3gpuE5ELNS1_3repE0EEENS1_30default_config_static_selectorELNS0_4arch9wavefront6targetE0EEEvSO_
	.p2align	8
	.type	_ZN7rocprim17ROCPRIM_400000_NS6detail17trampoline_kernelINS0_14default_configENS1_27upper_bound_config_selectorIflEEZNS1_14transform_implILb0ES3_S5_N6thrust23THRUST_200600_302600_NS17counting_iteratorIfNS8_11use_defaultESA_SA_EEPlZNS1_13binary_searchIS3_S5_PfSB_SC_NS1_21upper_bound_search_opENS8_6detail16wrapped_functionINS0_4lessIvEEbEEEE10hipError_tPvRmT1_T2_T3_mmT4_T5_P12ihipStream_tbEUlRKfE_EESL_SP_SQ_mSR_SU_bEUlT_E_NS1_11comp_targetILNS1_3genE10ELNS1_11target_archE1201ELNS1_3gpuE5ELNS1_3repE0EEENS1_30default_config_static_selectorELNS0_4arch9wavefront6targetE0EEEvSO_,@function
_ZN7rocprim17ROCPRIM_400000_NS6detail17trampoline_kernelINS0_14default_configENS1_27upper_bound_config_selectorIflEEZNS1_14transform_implILb0ES3_S5_N6thrust23THRUST_200600_302600_NS17counting_iteratorIfNS8_11use_defaultESA_SA_EEPlZNS1_13binary_searchIS3_S5_PfSB_SC_NS1_21upper_bound_search_opENS8_6detail16wrapped_functionINS0_4lessIvEEbEEEE10hipError_tPvRmT1_T2_T3_mmT4_T5_P12ihipStream_tbEUlRKfE_EESL_SP_SQ_mSR_SU_bEUlT_E_NS1_11comp_targetILNS1_3genE10ELNS1_11target_archE1201ELNS1_3gpuE5ELNS1_3repE0EEENS1_30default_config_static_selectorELNS0_4arch9wavefront6targetE0EEEvSO_: ; @_ZN7rocprim17ROCPRIM_400000_NS6detail17trampoline_kernelINS0_14default_configENS1_27upper_bound_config_selectorIflEEZNS1_14transform_implILb0ES3_S5_N6thrust23THRUST_200600_302600_NS17counting_iteratorIfNS8_11use_defaultESA_SA_EEPlZNS1_13binary_searchIS3_S5_PfSB_SC_NS1_21upper_bound_search_opENS8_6detail16wrapped_functionINS0_4lessIvEEbEEEE10hipError_tPvRmT1_T2_T3_mmT4_T5_P12ihipStream_tbEUlRKfE_EESL_SP_SQ_mSR_SU_bEUlT_E_NS1_11comp_targetILNS1_3genE10ELNS1_11target_archE1201ELNS1_3gpuE5ELNS1_3repE0EEENS1_30default_config_static_selectorELNS0_4arch9wavefront6targetE0EEEvSO_
; %bb.0:
	.section	.rodata,"a",@progbits
	.p2align	6, 0x0
	.amdhsa_kernel _ZN7rocprim17ROCPRIM_400000_NS6detail17trampoline_kernelINS0_14default_configENS1_27upper_bound_config_selectorIflEEZNS1_14transform_implILb0ES3_S5_N6thrust23THRUST_200600_302600_NS17counting_iteratorIfNS8_11use_defaultESA_SA_EEPlZNS1_13binary_searchIS3_S5_PfSB_SC_NS1_21upper_bound_search_opENS8_6detail16wrapped_functionINS0_4lessIvEEbEEEE10hipError_tPvRmT1_T2_T3_mmT4_T5_P12ihipStream_tbEUlRKfE_EESL_SP_SQ_mSR_SU_bEUlT_E_NS1_11comp_targetILNS1_3genE10ELNS1_11target_archE1201ELNS1_3gpuE5ELNS1_3repE0EEENS1_30default_config_static_selectorELNS0_4arch9wavefront6targetE0EEEvSO_
		.amdhsa_group_segment_fixed_size 0
		.amdhsa_private_segment_fixed_size 0
		.amdhsa_kernarg_size 56
		.amdhsa_user_sgpr_count 15
		.amdhsa_user_sgpr_dispatch_ptr 0
		.amdhsa_user_sgpr_queue_ptr 0
		.amdhsa_user_sgpr_kernarg_segment_ptr 1
		.amdhsa_user_sgpr_dispatch_id 0
		.amdhsa_user_sgpr_private_segment_size 0
		.amdhsa_wavefront_size32 1
		.amdhsa_uses_dynamic_stack 0
		.amdhsa_enable_private_segment 0
		.amdhsa_system_sgpr_workgroup_id_x 1
		.amdhsa_system_sgpr_workgroup_id_y 0
		.amdhsa_system_sgpr_workgroup_id_z 0
		.amdhsa_system_sgpr_workgroup_info 0
		.amdhsa_system_vgpr_workitem_id 0
		.amdhsa_next_free_vgpr 1
		.amdhsa_next_free_sgpr 1
		.amdhsa_reserve_vcc 0
		.amdhsa_float_round_mode_32 0
		.amdhsa_float_round_mode_16_64 0
		.amdhsa_float_denorm_mode_32 3
		.amdhsa_float_denorm_mode_16_64 3
		.amdhsa_dx10_clamp 1
		.amdhsa_ieee_mode 1
		.amdhsa_fp16_overflow 0
		.amdhsa_workgroup_processor_mode 1
		.amdhsa_memory_ordered 1
		.amdhsa_forward_progress 0
		.amdhsa_shared_vgpr_count 0
		.amdhsa_exception_fp_ieee_invalid_op 0
		.amdhsa_exception_fp_denorm_src 0
		.amdhsa_exception_fp_ieee_div_zero 0
		.amdhsa_exception_fp_ieee_overflow 0
		.amdhsa_exception_fp_ieee_underflow 0
		.amdhsa_exception_fp_ieee_inexact 0
		.amdhsa_exception_int_div_zero 0
	.end_amdhsa_kernel
	.section	.text._ZN7rocprim17ROCPRIM_400000_NS6detail17trampoline_kernelINS0_14default_configENS1_27upper_bound_config_selectorIflEEZNS1_14transform_implILb0ES3_S5_N6thrust23THRUST_200600_302600_NS17counting_iteratorIfNS8_11use_defaultESA_SA_EEPlZNS1_13binary_searchIS3_S5_PfSB_SC_NS1_21upper_bound_search_opENS8_6detail16wrapped_functionINS0_4lessIvEEbEEEE10hipError_tPvRmT1_T2_T3_mmT4_T5_P12ihipStream_tbEUlRKfE_EESL_SP_SQ_mSR_SU_bEUlT_E_NS1_11comp_targetILNS1_3genE10ELNS1_11target_archE1201ELNS1_3gpuE5ELNS1_3repE0EEENS1_30default_config_static_selectorELNS0_4arch9wavefront6targetE0EEEvSO_,"axG",@progbits,_ZN7rocprim17ROCPRIM_400000_NS6detail17trampoline_kernelINS0_14default_configENS1_27upper_bound_config_selectorIflEEZNS1_14transform_implILb0ES3_S5_N6thrust23THRUST_200600_302600_NS17counting_iteratorIfNS8_11use_defaultESA_SA_EEPlZNS1_13binary_searchIS3_S5_PfSB_SC_NS1_21upper_bound_search_opENS8_6detail16wrapped_functionINS0_4lessIvEEbEEEE10hipError_tPvRmT1_T2_T3_mmT4_T5_P12ihipStream_tbEUlRKfE_EESL_SP_SQ_mSR_SU_bEUlT_E_NS1_11comp_targetILNS1_3genE10ELNS1_11target_archE1201ELNS1_3gpuE5ELNS1_3repE0EEENS1_30default_config_static_selectorELNS0_4arch9wavefront6targetE0EEEvSO_,comdat
.Lfunc_end104:
	.size	_ZN7rocprim17ROCPRIM_400000_NS6detail17trampoline_kernelINS0_14default_configENS1_27upper_bound_config_selectorIflEEZNS1_14transform_implILb0ES3_S5_N6thrust23THRUST_200600_302600_NS17counting_iteratorIfNS8_11use_defaultESA_SA_EEPlZNS1_13binary_searchIS3_S5_PfSB_SC_NS1_21upper_bound_search_opENS8_6detail16wrapped_functionINS0_4lessIvEEbEEEE10hipError_tPvRmT1_T2_T3_mmT4_T5_P12ihipStream_tbEUlRKfE_EESL_SP_SQ_mSR_SU_bEUlT_E_NS1_11comp_targetILNS1_3genE10ELNS1_11target_archE1201ELNS1_3gpuE5ELNS1_3repE0EEENS1_30default_config_static_selectorELNS0_4arch9wavefront6targetE0EEEvSO_, .Lfunc_end104-_ZN7rocprim17ROCPRIM_400000_NS6detail17trampoline_kernelINS0_14default_configENS1_27upper_bound_config_selectorIflEEZNS1_14transform_implILb0ES3_S5_N6thrust23THRUST_200600_302600_NS17counting_iteratorIfNS8_11use_defaultESA_SA_EEPlZNS1_13binary_searchIS3_S5_PfSB_SC_NS1_21upper_bound_search_opENS8_6detail16wrapped_functionINS0_4lessIvEEbEEEE10hipError_tPvRmT1_T2_T3_mmT4_T5_P12ihipStream_tbEUlRKfE_EESL_SP_SQ_mSR_SU_bEUlT_E_NS1_11comp_targetILNS1_3genE10ELNS1_11target_archE1201ELNS1_3gpuE5ELNS1_3repE0EEENS1_30default_config_static_selectorELNS0_4arch9wavefront6targetE0EEEvSO_
                                        ; -- End function
	.section	.AMDGPU.csdata,"",@progbits
; Kernel info:
; codeLenInByte = 0
; NumSgprs: 0
; NumVgprs: 0
; ScratchSize: 0
; MemoryBound: 0
; FloatMode: 240
; IeeeMode: 1
; LDSByteSize: 0 bytes/workgroup (compile time only)
; SGPRBlocks: 0
; VGPRBlocks: 0
; NumSGPRsForWavesPerEU: 1
; NumVGPRsForWavesPerEU: 1
; Occupancy: 16
; WaveLimiterHint : 0
; COMPUTE_PGM_RSRC2:SCRATCH_EN: 0
; COMPUTE_PGM_RSRC2:USER_SGPR: 15
; COMPUTE_PGM_RSRC2:TRAP_HANDLER: 0
; COMPUTE_PGM_RSRC2:TGID_X_EN: 1
; COMPUTE_PGM_RSRC2:TGID_Y_EN: 0
; COMPUTE_PGM_RSRC2:TGID_Z_EN: 0
; COMPUTE_PGM_RSRC2:TIDIG_COMP_CNT: 0
	.section	.text._ZN7rocprim17ROCPRIM_400000_NS6detail17trampoline_kernelINS0_14default_configENS1_27upper_bound_config_selectorIflEEZNS1_14transform_implILb0ES3_S5_N6thrust23THRUST_200600_302600_NS17counting_iteratorIfNS8_11use_defaultESA_SA_EEPlZNS1_13binary_searchIS3_S5_PfSB_SC_NS1_21upper_bound_search_opENS8_6detail16wrapped_functionINS0_4lessIvEEbEEEE10hipError_tPvRmT1_T2_T3_mmT4_T5_P12ihipStream_tbEUlRKfE_EESL_SP_SQ_mSR_SU_bEUlT_E_NS1_11comp_targetILNS1_3genE10ELNS1_11target_archE1200ELNS1_3gpuE4ELNS1_3repE0EEENS1_30default_config_static_selectorELNS0_4arch9wavefront6targetE0EEEvSO_,"axG",@progbits,_ZN7rocprim17ROCPRIM_400000_NS6detail17trampoline_kernelINS0_14default_configENS1_27upper_bound_config_selectorIflEEZNS1_14transform_implILb0ES3_S5_N6thrust23THRUST_200600_302600_NS17counting_iteratorIfNS8_11use_defaultESA_SA_EEPlZNS1_13binary_searchIS3_S5_PfSB_SC_NS1_21upper_bound_search_opENS8_6detail16wrapped_functionINS0_4lessIvEEbEEEE10hipError_tPvRmT1_T2_T3_mmT4_T5_P12ihipStream_tbEUlRKfE_EESL_SP_SQ_mSR_SU_bEUlT_E_NS1_11comp_targetILNS1_3genE10ELNS1_11target_archE1200ELNS1_3gpuE4ELNS1_3repE0EEENS1_30default_config_static_selectorELNS0_4arch9wavefront6targetE0EEEvSO_,comdat
	.protected	_ZN7rocprim17ROCPRIM_400000_NS6detail17trampoline_kernelINS0_14default_configENS1_27upper_bound_config_selectorIflEEZNS1_14transform_implILb0ES3_S5_N6thrust23THRUST_200600_302600_NS17counting_iteratorIfNS8_11use_defaultESA_SA_EEPlZNS1_13binary_searchIS3_S5_PfSB_SC_NS1_21upper_bound_search_opENS8_6detail16wrapped_functionINS0_4lessIvEEbEEEE10hipError_tPvRmT1_T2_T3_mmT4_T5_P12ihipStream_tbEUlRKfE_EESL_SP_SQ_mSR_SU_bEUlT_E_NS1_11comp_targetILNS1_3genE10ELNS1_11target_archE1200ELNS1_3gpuE4ELNS1_3repE0EEENS1_30default_config_static_selectorELNS0_4arch9wavefront6targetE0EEEvSO_ ; -- Begin function _ZN7rocprim17ROCPRIM_400000_NS6detail17trampoline_kernelINS0_14default_configENS1_27upper_bound_config_selectorIflEEZNS1_14transform_implILb0ES3_S5_N6thrust23THRUST_200600_302600_NS17counting_iteratorIfNS8_11use_defaultESA_SA_EEPlZNS1_13binary_searchIS3_S5_PfSB_SC_NS1_21upper_bound_search_opENS8_6detail16wrapped_functionINS0_4lessIvEEbEEEE10hipError_tPvRmT1_T2_T3_mmT4_T5_P12ihipStream_tbEUlRKfE_EESL_SP_SQ_mSR_SU_bEUlT_E_NS1_11comp_targetILNS1_3genE10ELNS1_11target_archE1200ELNS1_3gpuE4ELNS1_3repE0EEENS1_30default_config_static_selectorELNS0_4arch9wavefront6targetE0EEEvSO_
	.globl	_ZN7rocprim17ROCPRIM_400000_NS6detail17trampoline_kernelINS0_14default_configENS1_27upper_bound_config_selectorIflEEZNS1_14transform_implILb0ES3_S5_N6thrust23THRUST_200600_302600_NS17counting_iteratorIfNS8_11use_defaultESA_SA_EEPlZNS1_13binary_searchIS3_S5_PfSB_SC_NS1_21upper_bound_search_opENS8_6detail16wrapped_functionINS0_4lessIvEEbEEEE10hipError_tPvRmT1_T2_T3_mmT4_T5_P12ihipStream_tbEUlRKfE_EESL_SP_SQ_mSR_SU_bEUlT_E_NS1_11comp_targetILNS1_3genE10ELNS1_11target_archE1200ELNS1_3gpuE4ELNS1_3repE0EEENS1_30default_config_static_selectorELNS0_4arch9wavefront6targetE0EEEvSO_
	.p2align	8
	.type	_ZN7rocprim17ROCPRIM_400000_NS6detail17trampoline_kernelINS0_14default_configENS1_27upper_bound_config_selectorIflEEZNS1_14transform_implILb0ES3_S5_N6thrust23THRUST_200600_302600_NS17counting_iteratorIfNS8_11use_defaultESA_SA_EEPlZNS1_13binary_searchIS3_S5_PfSB_SC_NS1_21upper_bound_search_opENS8_6detail16wrapped_functionINS0_4lessIvEEbEEEE10hipError_tPvRmT1_T2_T3_mmT4_T5_P12ihipStream_tbEUlRKfE_EESL_SP_SQ_mSR_SU_bEUlT_E_NS1_11comp_targetILNS1_3genE10ELNS1_11target_archE1200ELNS1_3gpuE4ELNS1_3repE0EEENS1_30default_config_static_selectorELNS0_4arch9wavefront6targetE0EEEvSO_,@function
_ZN7rocprim17ROCPRIM_400000_NS6detail17trampoline_kernelINS0_14default_configENS1_27upper_bound_config_selectorIflEEZNS1_14transform_implILb0ES3_S5_N6thrust23THRUST_200600_302600_NS17counting_iteratorIfNS8_11use_defaultESA_SA_EEPlZNS1_13binary_searchIS3_S5_PfSB_SC_NS1_21upper_bound_search_opENS8_6detail16wrapped_functionINS0_4lessIvEEbEEEE10hipError_tPvRmT1_T2_T3_mmT4_T5_P12ihipStream_tbEUlRKfE_EESL_SP_SQ_mSR_SU_bEUlT_E_NS1_11comp_targetILNS1_3genE10ELNS1_11target_archE1200ELNS1_3gpuE4ELNS1_3repE0EEENS1_30default_config_static_selectorELNS0_4arch9wavefront6targetE0EEEvSO_: ; @_ZN7rocprim17ROCPRIM_400000_NS6detail17trampoline_kernelINS0_14default_configENS1_27upper_bound_config_selectorIflEEZNS1_14transform_implILb0ES3_S5_N6thrust23THRUST_200600_302600_NS17counting_iteratorIfNS8_11use_defaultESA_SA_EEPlZNS1_13binary_searchIS3_S5_PfSB_SC_NS1_21upper_bound_search_opENS8_6detail16wrapped_functionINS0_4lessIvEEbEEEE10hipError_tPvRmT1_T2_T3_mmT4_T5_P12ihipStream_tbEUlRKfE_EESL_SP_SQ_mSR_SU_bEUlT_E_NS1_11comp_targetILNS1_3genE10ELNS1_11target_archE1200ELNS1_3gpuE4ELNS1_3repE0EEENS1_30default_config_static_selectorELNS0_4arch9wavefront6targetE0EEEvSO_
; %bb.0:
	.section	.rodata,"a",@progbits
	.p2align	6, 0x0
	.amdhsa_kernel _ZN7rocprim17ROCPRIM_400000_NS6detail17trampoline_kernelINS0_14default_configENS1_27upper_bound_config_selectorIflEEZNS1_14transform_implILb0ES3_S5_N6thrust23THRUST_200600_302600_NS17counting_iteratorIfNS8_11use_defaultESA_SA_EEPlZNS1_13binary_searchIS3_S5_PfSB_SC_NS1_21upper_bound_search_opENS8_6detail16wrapped_functionINS0_4lessIvEEbEEEE10hipError_tPvRmT1_T2_T3_mmT4_T5_P12ihipStream_tbEUlRKfE_EESL_SP_SQ_mSR_SU_bEUlT_E_NS1_11comp_targetILNS1_3genE10ELNS1_11target_archE1200ELNS1_3gpuE4ELNS1_3repE0EEENS1_30default_config_static_selectorELNS0_4arch9wavefront6targetE0EEEvSO_
		.amdhsa_group_segment_fixed_size 0
		.amdhsa_private_segment_fixed_size 0
		.amdhsa_kernarg_size 56
		.amdhsa_user_sgpr_count 15
		.amdhsa_user_sgpr_dispatch_ptr 0
		.amdhsa_user_sgpr_queue_ptr 0
		.amdhsa_user_sgpr_kernarg_segment_ptr 1
		.amdhsa_user_sgpr_dispatch_id 0
		.amdhsa_user_sgpr_private_segment_size 0
		.amdhsa_wavefront_size32 1
		.amdhsa_uses_dynamic_stack 0
		.amdhsa_enable_private_segment 0
		.amdhsa_system_sgpr_workgroup_id_x 1
		.amdhsa_system_sgpr_workgroup_id_y 0
		.amdhsa_system_sgpr_workgroup_id_z 0
		.amdhsa_system_sgpr_workgroup_info 0
		.amdhsa_system_vgpr_workitem_id 0
		.amdhsa_next_free_vgpr 1
		.amdhsa_next_free_sgpr 1
		.amdhsa_reserve_vcc 0
		.amdhsa_float_round_mode_32 0
		.amdhsa_float_round_mode_16_64 0
		.amdhsa_float_denorm_mode_32 3
		.amdhsa_float_denorm_mode_16_64 3
		.amdhsa_dx10_clamp 1
		.amdhsa_ieee_mode 1
		.amdhsa_fp16_overflow 0
		.amdhsa_workgroup_processor_mode 1
		.amdhsa_memory_ordered 1
		.amdhsa_forward_progress 0
		.amdhsa_shared_vgpr_count 0
		.amdhsa_exception_fp_ieee_invalid_op 0
		.amdhsa_exception_fp_denorm_src 0
		.amdhsa_exception_fp_ieee_div_zero 0
		.amdhsa_exception_fp_ieee_overflow 0
		.amdhsa_exception_fp_ieee_underflow 0
		.amdhsa_exception_fp_ieee_inexact 0
		.amdhsa_exception_int_div_zero 0
	.end_amdhsa_kernel
	.section	.text._ZN7rocprim17ROCPRIM_400000_NS6detail17trampoline_kernelINS0_14default_configENS1_27upper_bound_config_selectorIflEEZNS1_14transform_implILb0ES3_S5_N6thrust23THRUST_200600_302600_NS17counting_iteratorIfNS8_11use_defaultESA_SA_EEPlZNS1_13binary_searchIS3_S5_PfSB_SC_NS1_21upper_bound_search_opENS8_6detail16wrapped_functionINS0_4lessIvEEbEEEE10hipError_tPvRmT1_T2_T3_mmT4_T5_P12ihipStream_tbEUlRKfE_EESL_SP_SQ_mSR_SU_bEUlT_E_NS1_11comp_targetILNS1_3genE10ELNS1_11target_archE1200ELNS1_3gpuE4ELNS1_3repE0EEENS1_30default_config_static_selectorELNS0_4arch9wavefront6targetE0EEEvSO_,"axG",@progbits,_ZN7rocprim17ROCPRIM_400000_NS6detail17trampoline_kernelINS0_14default_configENS1_27upper_bound_config_selectorIflEEZNS1_14transform_implILb0ES3_S5_N6thrust23THRUST_200600_302600_NS17counting_iteratorIfNS8_11use_defaultESA_SA_EEPlZNS1_13binary_searchIS3_S5_PfSB_SC_NS1_21upper_bound_search_opENS8_6detail16wrapped_functionINS0_4lessIvEEbEEEE10hipError_tPvRmT1_T2_T3_mmT4_T5_P12ihipStream_tbEUlRKfE_EESL_SP_SQ_mSR_SU_bEUlT_E_NS1_11comp_targetILNS1_3genE10ELNS1_11target_archE1200ELNS1_3gpuE4ELNS1_3repE0EEENS1_30default_config_static_selectorELNS0_4arch9wavefront6targetE0EEEvSO_,comdat
.Lfunc_end105:
	.size	_ZN7rocprim17ROCPRIM_400000_NS6detail17trampoline_kernelINS0_14default_configENS1_27upper_bound_config_selectorIflEEZNS1_14transform_implILb0ES3_S5_N6thrust23THRUST_200600_302600_NS17counting_iteratorIfNS8_11use_defaultESA_SA_EEPlZNS1_13binary_searchIS3_S5_PfSB_SC_NS1_21upper_bound_search_opENS8_6detail16wrapped_functionINS0_4lessIvEEbEEEE10hipError_tPvRmT1_T2_T3_mmT4_T5_P12ihipStream_tbEUlRKfE_EESL_SP_SQ_mSR_SU_bEUlT_E_NS1_11comp_targetILNS1_3genE10ELNS1_11target_archE1200ELNS1_3gpuE4ELNS1_3repE0EEENS1_30default_config_static_selectorELNS0_4arch9wavefront6targetE0EEEvSO_, .Lfunc_end105-_ZN7rocprim17ROCPRIM_400000_NS6detail17trampoline_kernelINS0_14default_configENS1_27upper_bound_config_selectorIflEEZNS1_14transform_implILb0ES3_S5_N6thrust23THRUST_200600_302600_NS17counting_iteratorIfNS8_11use_defaultESA_SA_EEPlZNS1_13binary_searchIS3_S5_PfSB_SC_NS1_21upper_bound_search_opENS8_6detail16wrapped_functionINS0_4lessIvEEbEEEE10hipError_tPvRmT1_T2_T3_mmT4_T5_P12ihipStream_tbEUlRKfE_EESL_SP_SQ_mSR_SU_bEUlT_E_NS1_11comp_targetILNS1_3genE10ELNS1_11target_archE1200ELNS1_3gpuE4ELNS1_3repE0EEENS1_30default_config_static_selectorELNS0_4arch9wavefront6targetE0EEEvSO_
                                        ; -- End function
	.section	.AMDGPU.csdata,"",@progbits
; Kernel info:
; codeLenInByte = 0
; NumSgprs: 0
; NumVgprs: 0
; ScratchSize: 0
; MemoryBound: 0
; FloatMode: 240
; IeeeMode: 1
; LDSByteSize: 0 bytes/workgroup (compile time only)
; SGPRBlocks: 0
; VGPRBlocks: 0
; NumSGPRsForWavesPerEU: 1
; NumVGPRsForWavesPerEU: 1
; Occupancy: 16
; WaveLimiterHint : 0
; COMPUTE_PGM_RSRC2:SCRATCH_EN: 0
; COMPUTE_PGM_RSRC2:USER_SGPR: 15
; COMPUTE_PGM_RSRC2:TRAP_HANDLER: 0
; COMPUTE_PGM_RSRC2:TGID_X_EN: 1
; COMPUTE_PGM_RSRC2:TGID_Y_EN: 0
; COMPUTE_PGM_RSRC2:TGID_Z_EN: 0
; COMPUTE_PGM_RSRC2:TIDIG_COMP_CNT: 0
	.section	.text._ZN7rocprim17ROCPRIM_400000_NS6detail17trampoline_kernelINS0_14default_configENS1_27upper_bound_config_selectorIflEEZNS1_14transform_implILb0ES3_S5_N6thrust23THRUST_200600_302600_NS17counting_iteratorIfNS8_11use_defaultESA_SA_EEPlZNS1_13binary_searchIS3_S5_PfSB_SC_NS1_21upper_bound_search_opENS8_6detail16wrapped_functionINS0_4lessIvEEbEEEE10hipError_tPvRmT1_T2_T3_mmT4_T5_P12ihipStream_tbEUlRKfE_EESL_SP_SQ_mSR_SU_bEUlT_E_NS1_11comp_targetILNS1_3genE9ELNS1_11target_archE1100ELNS1_3gpuE3ELNS1_3repE0EEENS1_30default_config_static_selectorELNS0_4arch9wavefront6targetE0EEEvSO_,"axG",@progbits,_ZN7rocprim17ROCPRIM_400000_NS6detail17trampoline_kernelINS0_14default_configENS1_27upper_bound_config_selectorIflEEZNS1_14transform_implILb0ES3_S5_N6thrust23THRUST_200600_302600_NS17counting_iteratorIfNS8_11use_defaultESA_SA_EEPlZNS1_13binary_searchIS3_S5_PfSB_SC_NS1_21upper_bound_search_opENS8_6detail16wrapped_functionINS0_4lessIvEEbEEEE10hipError_tPvRmT1_T2_T3_mmT4_T5_P12ihipStream_tbEUlRKfE_EESL_SP_SQ_mSR_SU_bEUlT_E_NS1_11comp_targetILNS1_3genE9ELNS1_11target_archE1100ELNS1_3gpuE3ELNS1_3repE0EEENS1_30default_config_static_selectorELNS0_4arch9wavefront6targetE0EEEvSO_,comdat
	.protected	_ZN7rocprim17ROCPRIM_400000_NS6detail17trampoline_kernelINS0_14default_configENS1_27upper_bound_config_selectorIflEEZNS1_14transform_implILb0ES3_S5_N6thrust23THRUST_200600_302600_NS17counting_iteratorIfNS8_11use_defaultESA_SA_EEPlZNS1_13binary_searchIS3_S5_PfSB_SC_NS1_21upper_bound_search_opENS8_6detail16wrapped_functionINS0_4lessIvEEbEEEE10hipError_tPvRmT1_T2_T3_mmT4_T5_P12ihipStream_tbEUlRKfE_EESL_SP_SQ_mSR_SU_bEUlT_E_NS1_11comp_targetILNS1_3genE9ELNS1_11target_archE1100ELNS1_3gpuE3ELNS1_3repE0EEENS1_30default_config_static_selectorELNS0_4arch9wavefront6targetE0EEEvSO_ ; -- Begin function _ZN7rocprim17ROCPRIM_400000_NS6detail17trampoline_kernelINS0_14default_configENS1_27upper_bound_config_selectorIflEEZNS1_14transform_implILb0ES3_S5_N6thrust23THRUST_200600_302600_NS17counting_iteratorIfNS8_11use_defaultESA_SA_EEPlZNS1_13binary_searchIS3_S5_PfSB_SC_NS1_21upper_bound_search_opENS8_6detail16wrapped_functionINS0_4lessIvEEbEEEE10hipError_tPvRmT1_T2_T3_mmT4_T5_P12ihipStream_tbEUlRKfE_EESL_SP_SQ_mSR_SU_bEUlT_E_NS1_11comp_targetILNS1_3genE9ELNS1_11target_archE1100ELNS1_3gpuE3ELNS1_3repE0EEENS1_30default_config_static_selectorELNS0_4arch9wavefront6targetE0EEEvSO_
	.globl	_ZN7rocprim17ROCPRIM_400000_NS6detail17trampoline_kernelINS0_14default_configENS1_27upper_bound_config_selectorIflEEZNS1_14transform_implILb0ES3_S5_N6thrust23THRUST_200600_302600_NS17counting_iteratorIfNS8_11use_defaultESA_SA_EEPlZNS1_13binary_searchIS3_S5_PfSB_SC_NS1_21upper_bound_search_opENS8_6detail16wrapped_functionINS0_4lessIvEEbEEEE10hipError_tPvRmT1_T2_T3_mmT4_T5_P12ihipStream_tbEUlRKfE_EESL_SP_SQ_mSR_SU_bEUlT_E_NS1_11comp_targetILNS1_3genE9ELNS1_11target_archE1100ELNS1_3gpuE3ELNS1_3repE0EEENS1_30default_config_static_selectorELNS0_4arch9wavefront6targetE0EEEvSO_
	.p2align	8
	.type	_ZN7rocprim17ROCPRIM_400000_NS6detail17trampoline_kernelINS0_14default_configENS1_27upper_bound_config_selectorIflEEZNS1_14transform_implILb0ES3_S5_N6thrust23THRUST_200600_302600_NS17counting_iteratorIfNS8_11use_defaultESA_SA_EEPlZNS1_13binary_searchIS3_S5_PfSB_SC_NS1_21upper_bound_search_opENS8_6detail16wrapped_functionINS0_4lessIvEEbEEEE10hipError_tPvRmT1_T2_T3_mmT4_T5_P12ihipStream_tbEUlRKfE_EESL_SP_SQ_mSR_SU_bEUlT_E_NS1_11comp_targetILNS1_3genE9ELNS1_11target_archE1100ELNS1_3gpuE3ELNS1_3repE0EEENS1_30default_config_static_selectorELNS0_4arch9wavefront6targetE0EEEvSO_,@function
_ZN7rocprim17ROCPRIM_400000_NS6detail17trampoline_kernelINS0_14default_configENS1_27upper_bound_config_selectorIflEEZNS1_14transform_implILb0ES3_S5_N6thrust23THRUST_200600_302600_NS17counting_iteratorIfNS8_11use_defaultESA_SA_EEPlZNS1_13binary_searchIS3_S5_PfSB_SC_NS1_21upper_bound_search_opENS8_6detail16wrapped_functionINS0_4lessIvEEbEEEE10hipError_tPvRmT1_T2_T3_mmT4_T5_P12ihipStream_tbEUlRKfE_EESL_SP_SQ_mSR_SU_bEUlT_E_NS1_11comp_targetILNS1_3genE9ELNS1_11target_archE1100ELNS1_3gpuE3ELNS1_3repE0EEENS1_30default_config_static_selectorELNS0_4arch9wavefront6targetE0EEEvSO_: ; @_ZN7rocprim17ROCPRIM_400000_NS6detail17trampoline_kernelINS0_14default_configENS1_27upper_bound_config_selectorIflEEZNS1_14transform_implILb0ES3_S5_N6thrust23THRUST_200600_302600_NS17counting_iteratorIfNS8_11use_defaultESA_SA_EEPlZNS1_13binary_searchIS3_S5_PfSB_SC_NS1_21upper_bound_search_opENS8_6detail16wrapped_functionINS0_4lessIvEEbEEEE10hipError_tPvRmT1_T2_T3_mmT4_T5_P12ihipStream_tbEUlRKfE_EESL_SP_SQ_mSR_SU_bEUlT_E_NS1_11comp_targetILNS1_3genE9ELNS1_11target_archE1100ELNS1_3gpuE3ELNS1_3repE0EEENS1_30default_config_static_selectorELNS0_4arch9wavefront6targetE0EEEvSO_
; %bb.0:
	s_clause 0x2
	s_load_b64 s[2:3], s[0:1], 0x8
	s_load_b32 s12, s[0:1], 0x0
	s_load_b32 s14, s[0:1], 0x38
	s_waitcnt lgkmcnt(0)
	s_xor_b32 s4, s2, s3
	s_cls_i32 s5, s3
	s_ashr_i32 s4, s4, 31
	s_add_i32 s5, s5, -1
	s_add_i32 s4, s4, 32
	s_add_i32 s14, s14, -1
	s_min_u32 s13, s5, s4
	s_clause 0x1
	s_load_b128 s[4:7], s[0:1], 0x18
	s_load_b64 s[10:11], s[0:1], 0x28
	s_lshl_b64 s[8:9], s[2:3], s13
	s_delay_alu instid0(SALU_CYCLE_1) | instskip(NEXT) | instid1(SALU_CYCLE_1)
	s_min_u32 s8, s8, 1
	s_or_b32 s8, s9, s8
	s_mov_b32 s9, 0
	v_cvt_f32_i32_e32 v1, s8
	s_sub_i32 s8, 32, s13
	s_mov_b32 s13, -1
	s_delay_alu instid0(VALU_DEP_1) | instskip(SKIP_2) | instid1(VALU_DEP_1)
	v_ldexp_f32 v1, v1, s8
	s_lshl_b32 s8, s15, 8
	s_cmp_lg_u32 s15, s14
	v_add_f32_e32 v5, s12, v1
	s_cbranch_scc0 .LBB106_6
; %bb.1:
	v_mov_b32_e32 v1, 0
	v_mov_b32_e32 v2, 0
	s_waitcnt lgkmcnt(0)
	s_cmp_eq_u64 s[10:11], 0
	s_cbranch_scc1 .LBB106_5
; %bb.2:
	v_cvt_f32_u32_e32 v1, s8
	v_cvt_f32_ubyte0_e32 v3, v0
	s_mov_b32 s12, 0
	s_delay_alu instid0(VALU_DEP_2) | instskip(SKIP_1) | instid1(VALU_DEP_2)
	v_dual_add_f32 v4, v5, v1 :: v_dual_mov_b32 v1, 0
	v_mov_b32_e32 v2, 0
	v_dual_add_f32 v6, v4, v3 :: v_dual_mov_b32 v3, s10
	v_mov_b32_e32 v4, s11
	.p2align	6
.LBB106_3:                              ; =>This Inner Loop Header: Depth=1
	s_delay_alu instid0(VALU_DEP_2) | instskip(NEXT) | instid1(VALU_DEP_2)
	v_sub_co_u32 v7, vcc_lo, v3, v1
	v_sub_co_ci_u32_e32 v8, vcc_lo, v4, v2, vcc_lo
	s_delay_alu instid0(VALU_DEP_1) | instskip(SKIP_1) | instid1(VALU_DEP_2)
	v_lshrrev_b64 v[9:10], 1, v[7:8]
	v_lshrrev_b64 v[7:8], 6, v[7:8]
	v_add_co_u32 v9, vcc_lo, v9, v1
	s_delay_alu instid0(VALU_DEP_3) | instskip(NEXT) | instid1(VALU_DEP_2)
	v_add_co_ci_u32_e32 v10, vcc_lo, v10, v2, vcc_lo
	v_add_co_u32 v7, vcc_lo, v9, v7
	s_delay_alu instid0(VALU_DEP_2) | instskip(NEXT) | instid1(VALU_DEP_1)
	v_add_co_ci_u32_e32 v8, vcc_lo, v10, v8, vcc_lo
	v_lshlrev_b64 v[9:10], 2, v[7:8]
	s_delay_alu instid0(VALU_DEP_1) | instskip(NEXT) | instid1(VALU_DEP_2)
	v_add_co_u32 v9, vcc_lo, s6, v9
	v_add_co_ci_u32_e32 v10, vcc_lo, s7, v10, vcc_lo
	global_load_b32 v9, v[9:10], off
	v_add_co_u32 v10, vcc_lo, v7, 1
	v_add_co_ci_u32_e32 v11, vcc_lo, 0, v8, vcc_lo
	s_waitcnt vmcnt(0)
	v_cmp_gt_f32_e32 vcc_lo, v9, v6
	v_dual_cndmask_b32 v4, v4, v8 :: v_dual_cndmask_b32 v3, v3, v7
	s_delay_alu instid0(VALU_DEP_3) | instskip(NEXT) | instid1(VALU_DEP_1)
	v_dual_cndmask_b32 v2, v11, v2 :: v_dual_cndmask_b32 v1, v10, v1
	v_cmp_ge_u64_e32 vcc_lo, v[1:2], v[3:4]
	s_or_b32 s12, vcc_lo, s12
	s_delay_alu instid0(SALU_CYCLE_1)
	s_and_not1_b32 exec_lo, exec_lo, s12
	s_cbranch_execnz .LBB106_3
; %bb.4:
	s_or_b32 exec_lo, exec_lo, s12
.LBB106_5:
	s_mov_b32 s12, -1
	s_cbranch_execz .LBB106_7
	s_branch .LBB106_13
.LBB106_6:
	s_mov_b32 s12, s9
                                        ; implicit-def: $vgpr1_vgpr2
	s_and_not1_b32 vcc_lo, exec_lo, s13
	s_cbranch_vccnz .LBB106_13
.LBB106_7:
	s_load_b32 s0, s[0:1], 0x10
                                        ; implicit-def: $vgpr1_vgpr2
	s_waitcnt lgkmcnt(0)
	s_sub_i32 s0, s0, s8
	s_delay_alu instid0(SALU_CYCLE_1) | instskip(NEXT) | instid1(VALU_DEP_1)
	v_cmp_gt_u32_e64 s12, s0, v0
	s_and_saveexec_b32 s0, s12
	s_cbranch_execz .LBB106_12
; %bb.8:
	v_mov_b32_e32 v1, 0
	v_mov_b32_e32 v2, 0
	s_cmp_eq_u64 s[10:11], 0
	s_cbranch_scc1 .LBB106_12
; %bb.9:
	v_cvt_f32_u32_e32 v1, s8
	v_cvt_f32_ubyte0_e32 v3, v0
	s_mov_b32 s1, 0
	s_delay_alu instid0(VALU_DEP_2) | instskip(NEXT) | instid1(VALU_DEP_1)
	v_dual_add_f32 v4, v5, v1 :: v_dual_mov_b32 v1, 0
	v_dual_mov_b32 v2, 0 :: v_dual_add_f32 v5, v4, v3
	v_dual_mov_b32 v3, s10 :: v_dual_mov_b32 v4, s11
	.p2align	6
.LBB106_10:                             ; =>This Inner Loop Header: Depth=1
	s_delay_alu instid0(VALU_DEP_1) | instskip(NEXT) | instid1(VALU_DEP_2)
	v_sub_co_u32 v6, vcc_lo, v3, v1
	v_sub_co_ci_u32_e32 v7, vcc_lo, v4, v2, vcc_lo
	s_delay_alu instid0(VALU_DEP_1) | instskip(SKIP_1) | instid1(VALU_DEP_2)
	v_lshrrev_b64 v[8:9], 1, v[6:7]
	v_lshrrev_b64 v[6:7], 6, v[6:7]
	v_add_co_u32 v8, vcc_lo, v8, v1
	s_delay_alu instid0(VALU_DEP_3) | instskip(NEXT) | instid1(VALU_DEP_2)
	v_add_co_ci_u32_e32 v9, vcc_lo, v9, v2, vcc_lo
	v_add_co_u32 v6, vcc_lo, v8, v6
	s_delay_alu instid0(VALU_DEP_2) | instskip(NEXT) | instid1(VALU_DEP_1)
	v_add_co_ci_u32_e32 v7, vcc_lo, v9, v7, vcc_lo
	v_lshlrev_b64 v[8:9], 2, v[6:7]
	s_delay_alu instid0(VALU_DEP_1) | instskip(NEXT) | instid1(VALU_DEP_2)
	v_add_co_u32 v8, vcc_lo, s6, v8
	v_add_co_ci_u32_e32 v9, vcc_lo, s7, v9, vcc_lo
	global_load_b32 v8, v[8:9], off
	v_add_co_u32 v9, vcc_lo, v6, 1
	v_add_co_ci_u32_e32 v10, vcc_lo, 0, v7, vcc_lo
	s_waitcnt vmcnt(0)
	v_cmp_gt_f32_e32 vcc_lo, v8, v5
	v_dual_cndmask_b32 v4, v4, v7 :: v_dual_cndmask_b32 v3, v3, v6
	s_delay_alu instid0(VALU_DEP_3) | instskip(NEXT) | instid1(VALU_DEP_1)
	v_dual_cndmask_b32 v2, v10, v2 :: v_dual_cndmask_b32 v1, v9, v1
	v_cmp_ge_u64_e32 vcc_lo, v[1:2], v[3:4]
	s_or_b32 s1, vcc_lo, s1
	s_delay_alu instid0(SALU_CYCLE_1)
	s_and_not1_b32 exec_lo, exec_lo, s1
	s_cbranch_execnz .LBB106_10
; %bb.11:
	s_or_b32 exec_lo, exec_lo, s1
.LBB106_12:
	s_delay_alu instid0(SALU_CYCLE_1)
	s_or_b32 exec_lo, exec_lo, s0
.LBB106_13:
	s_and_saveexec_b32 s0, s12
	s_cbranch_execnz .LBB106_15
; %bb.14:
	s_endpgm
.LBB106_15:
	s_lshl_b64 s[0:1], s[2:3], 3
	v_lshlrev_b32_e32 v0, 3, v0
	s_waitcnt lgkmcnt(0)
	s_add_u32 s2, s4, s0
	s_addc_u32 s3, s5, s1
	s_lshl_b64 s[0:1], s[8:9], 3
	s_delay_alu instid0(SALU_CYCLE_1)
	s_add_u32 s0, s2, s0
	s_addc_u32 s1, s3, s1
	global_store_b64 v0, v[1:2], s[0:1]
	s_nop 0
	s_sendmsg sendmsg(MSG_DEALLOC_VGPRS)
	s_endpgm
	.section	.rodata,"a",@progbits
	.p2align	6, 0x0
	.amdhsa_kernel _ZN7rocprim17ROCPRIM_400000_NS6detail17trampoline_kernelINS0_14default_configENS1_27upper_bound_config_selectorIflEEZNS1_14transform_implILb0ES3_S5_N6thrust23THRUST_200600_302600_NS17counting_iteratorIfNS8_11use_defaultESA_SA_EEPlZNS1_13binary_searchIS3_S5_PfSB_SC_NS1_21upper_bound_search_opENS8_6detail16wrapped_functionINS0_4lessIvEEbEEEE10hipError_tPvRmT1_T2_T3_mmT4_T5_P12ihipStream_tbEUlRKfE_EESL_SP_SQ_mSR_SU_bEUlT_E_NS1_11comp_targetILNS1_3genE9ELNS1_11target_archE1100ELNS1_3gpuE3ELNS1_3repE0EEENS1_30default_config_static_selectorELNS0_4arch9wavefront6targetE0EEEvSO_
		.amdhsa_group_segment_fixed_size 0
		.amdhsa_private_segment_fixed_size 0
		.amdhsa_kernarg_size 312
		.amdhsa_user_sgpr_count 15
		.amdhsa_user_sgpr_dispatch_ptr 0
		.amdhsa_user_sgpr_queue_ptr 0
		.amdhsa_user_sgpr_kernarg_segment_ptr 1
		.amdhsa_user_sgpr_dispatch_id 0
		.amdhsa_user_sgpr_private_segment_size 0
		.amdhsa_wavefront_size32 1
		.amdhsa_uses_dynamic_stack 0
		.amdhsa_enable_private_segment 0
		.amdhsa_system_sgpr_workgroup_id_x 1
		.amdhsa_system_sgpr_workgroup_id_y 0
		.amdhsa_system_sgpr_workgroup_id_z 0
		.amdhsa_system_sgpr_workgroup_info 0
		.amdhsa_system_vgpr_workitem_id 0
		.amdhsa_next_free_vgpr 12
		.amdhsa_next_free_sgpr 16
		.amdhsa_reserve_vcc 1
		.amdhsa_float_round_mode_32 0
		.amdhsa_float_round_mode_16_64 0
		.amdhsa_float_denorm_mode_32 3
		.amdhsa_float_denorm_mode_16_64 3
		.amdhsa_dx10_clamp 1
		.amdhsa_ieee_mode 1
		.amdhsa_fp16_overflow 0
		.amdhsa_workgroup_processor_mode 1
		.amdhsa_memory_ordered 1
		.amdhsa_forward_progress 0
		.amdhsa_shared_vgpr_count 0
		.amdhsa_exception_fp_ieee_invalid_op 0
		.amdhsa_exception_fp_denorm_src 0
		.amdhsa_exception_fp_ieee_div_zero 0
		.amdhsa_exception_fp_ieee_overflow 0
		.amdhsa_exception_fp_ieee_underflow 0
		.amdhsa_exception_fp_ieee_inexact 0
		.amdhsa_exception_int_div_zero 0
	.end_amdhsa_kernel
	.section	.text._ZN7rocprim17ROCPRIM_400000_NS6detail17trampoline_kernelINS0_14default_configENS1_27upper_bound_config_selectorIflEEZNS1_14transform_implILb0ES3_S5_N6thrust23THRUST_200600_302600_NS17counting_iteratorIfNS8_11use_defaultESA_SA_EEPlZNS1_13binary_searchIS3_S5_PfSB_SC_NS1_21upper_bound_search_opENS8_6detail16wrapped_functionINS0_4lessIvEEbEEEE10hipError_tPvRmT1_T2_T3_mmT4_T5_P12ihipStream_tbEUlRKfE_EESL_SP_SQ_mSR_SU_bEUlT_E_NS1_11comp_targetILNS1_3genE9ELNS1_11target_archE1100ELNS1_3gpuE3ELNS1_3repE0EEENS1_30default_config_static_selectorELNS0_4arch9wavefront6targetE0EEEvSO_,"axG",@progbits,_ZN7rocprim17ROCPRIM_400000_NS6detail17trampoline_kernelINS0_14default_configENS1_27upper_bound_config_selectorIflEEZNS1_14transform_implILb0ES3_S5_N6thrust23THRUST_200600_302600_NS17counting_iteratorIfNS8_11use_defaultESA_SA_EEPlZNS1_13binary_searchIS3_S5_PfSB_SC_NS1_21upper_bound_search_opENS8_6detail16wrapped_functionINS0_4lessIvEEbEEEE10hipError_tPvRmT1_T2_T3_mmT4_T5_P12ihipStream_tbEUlRKfE_EESL_SP_SQ_mSR_SU_bEUlT_E_NS1_11comp_targetILNS1_3genE9ELNS1_11target_archE1100ELNS1_3gpuE3ELNS1_3repE0EEENS1_30default_config_static_selectorELNS0_4arch9wavefront6targetE0EEEvSO_,comdat
.Lfunc_end106:
	.size	_ZN7rocprim17ROCPRIM_400000_NS6detail17trampoline_kernelINS0_14default_configENS1_27upper_bound_config_selectorIflEEZNS1_14transform_implILb0ES3_S5_N6thrust23THRUST_200600_302600_NS17counting_iteratorIfNS8_11use_defaultESA_SA_EEPlZNS1_13binary_searchIS3_S5_PfSB_SC_NS1_21upper_bound_search_opENS8_6detail16wrapped_functionINS0_4lessIvEEbEEEE10hipError_tPvRmT1_T2_T3_mmT4_T5_P12ihipStream_tbEUlRKfE_EESL_SP_SQ_mSR_SU_bEUlT_E_NS1_11comp_targetILNS1_3genE9ELNS1_11target_archE1100ELNS1_3gpuE3ELNS1_3repE0EEENS1_30default_config_static_selectorELNS0_4arch9wavefront6targetE0EEEvSO_, .Lfunc_end106-_ZN7rocprim17ROCPRIM_400000_NS6detail17trampoline_kernelINS0_14default_configENS1_27upper_bound_config_selectorIflEEZNS1_14transform_implILb0ES3_S5_N6thrust23THRUST_200600_302600_NS17counting_iteratorIfNS8_11use_defaultESA_SA_EEPlZNS1_13binary_searchIS3_S5_PfSB_SC_NS1_21upper_bound_search_opENS8_6detail16wrapped_functionINS0_4lessIvEEbEEEE10hipError_tPvRmT1_T2_T3_mmT4_T5_P12ihipStream_tbEUlRKfE_EESL_SP_SQ_mSR_SU_bEUlT_E_NS1_11comp_targetILNS1_3genE9ELNS1_11target_archE1100ELNS1_3gpuE3ELNS1_3repE0EEENS1_30default_config_static_selectorELNS0_4arch9wavefront6targetE0EEEvSO_
                                        ; -- End function
	.section	.AMDGPU.csdata,"",@progbits
; Kernel info:
; codeLenInByte = 720
; NumSgprs: 18
; NumVgprs: 12
; ScratchSize: 0
; MemoryBound: 0
; FloatMode: 240
; IeeeMode: 1
; LDSByteSize: 0 bytes/workgroup (compile time only)
; SGPRBlocks: 2
; VGPRBlocks: 1
; NumSGPRsForWavesPerEU: 18
; NumVGPRsForWavesPerEU: 12
; Occupancy: 16
; WaveLimiterHint : 0
; COMPUTE_PGM_RSRC2:SCRATCH_EN: 0
; COMPUTE_PGM_RSRC2:USER_SGPR: 15
; COMPUTE_PGM_RSRC2:TRAP_HANDLER: 0
; COMPUTE_PGM_RSRC2:TGID_X_EN: 1
; COMPUTE_PGM_RSRC2:TGID_Y_EN: 0
; COMPUTE_PGM_RSRC2:TGID_Z_EN: 0
; COMPUTE_PGM_RSRC2:TIDIG_COMP_CNT: 0
	.section	.text._ZN7rocprim17ROCPRIM_400000_NS6detail17trampoline_kernelINS0_14default_configENS1_27upper_bound_config_selectorIflEEZNS1_14transform_implILb0ES3_S5_N6thrust23THRUST_200600_302600_NS17counting_iteratorIfNS8_11use_defaultESA_SA_EEPlZNS1_13binary_searchIS3_S5_PfSB_SC_NS1_21upper_bound_search_opENS8_6detail16wrapped_functionINS0_4lessIvEEbEEEE10hipError_tPvRmT1_T2_T3_mmT4_T5_P12ihipStream_tbEUlRKfE_EESL_SP_SQ_mSR_SU_bEUlT_E_NS1_11comp_targetILNS1_3genE8ELNS1_11target_archE1030ELNS1_3gpuE2ELNS1_3repE0EEENS1_30default_config_static_selectorELNS0_4arch9wavefront6targetE0EEEvSO_,"axG",@progbits,_ZN7rocprim17ROCPRIM_400000_NS6detail17trampoline_kernelINS0_14default_configENS1_27upper_bound_config_selectorIflEEZNS1_14transform_implILb0ES3_S5_N6thrust23THRUST_200600_302600_NS17counting_iteratorIfNS8_11use_defaultESA_SA_EEPlZNS1_13binary_searchIS3_S5_PfSB_SC_NS1_21upper_bound_search_opENS8_6detail16wrapped_functionINS0_4lessIvEEbEEEE10hipError_tPvRmT1_T2_T3_mmT4_T5_P12ihipStream_tbEUlRKfE_EESL_SP_SQ_mSR_SU_bEUlT_E_NS1_11comp_targetILNS1_3genE8ELNS1_11target_archE1030ELNS1_3gpuE2ELNS1_3repE0EEENS1_30default_config_static_selectorELNS0_4arch9wavefront6targetE0EEEvSO_,comdat
	.protected	_ZN7rocprim17ROCPRIM_400000_NS6detail17trampoline_kernelINS0_14default_configENS1_27upper_bound_config_selectorIflEEZNS1_14transform_implILb0ES3_S5_N6thrust23THRUST_200600_302600_NS17counting_iteratorIfNS8_11use_defaultESA_SA_EEPlZNS1_13binary_searchIS3_S5_PfSB_SC_NS1_21upper_bound_search_opENS8_6detail16wrapped_functionINS0_4lessIvEEbEEEE10hipError_tPvRmT1_T2_T3_mmT4_T5_P12ihipStream_tbEUlRKfE_EESL_SP_SQ_mSR_SU_bEUlT_E_NS1_11comp_targetILNS1_3genE8ELNS1_11target_archE1030ELNS1_3gpuE2ELNS1_3repE0EEENS1_30default_config_static_selectorELNS0_4arch9wavefront6targetE0EEEvSO_ ; -- Begin function _ZN7rocprim17ROCPRIM_400000_NS6detail17trampoline_kernelINS0_14default_configENS1_27upper_bound_config_selectorIflEEZNS1_14transform_implILb0ES3_S5_N6thrust23THRUST_200600_302600_NS17counting_iteratorIfNS8_11use_defaultESA_SA_EEPlZNS1_13binary_searchIS3_S5_PfSB_SC_NS1_21upper_bound_search_opENS8_6detail16wrapped_functionINS0_4lessIvEEbEEEE10hipError_tPvRmT1_T2_T3_mmT4_T5_P12ihipStream_tbEUlRKfE_EESL_SP_SQ_mSR_SU_bEUlT_E_NS1_11comp_targetILNS1_3genE8ELNS1_11target_archE1030ELNS1_3gpuE2ELNS1_3repE0EEENS1_30default_config_static_selectorELNS0_4arch9wavefront6targetE0EEEvSO_
	.globl	_ZN7rocprim17ROCPRIM_400000_NS6detail17trampoline_kernelINS0_14default_configENS1_27upper_bound_config_selectorIflEEZNS1_14transform_implILb0ES3_S5_N6thrust23THRUST_200600_302600_NS17counting_iteratorIfNS8_11use_defaultESA_SA_EEPlZNS1_13binary_searchIS3_S5_PfSB_SC_NS1_21upper_bound_search_opENS8_6detail16wrapped_functionINS0_4lessIvEEbEEEE10hipError_tPvRmT1_T2_T3_mmT4_T5_P12ihipStream_tbEUlRKfE_EESL_SP_SQ_mSR_SU_bEUlT_E_NS1_11comp_targetILNS1_3genE8ELNS1_11target_archE1030ELNS1_3gpuE2ELNS1_3repE0EEENS1_30default_config_static_selectorELNS0_4arch9wavefront6targetE0EEEvSO_
	.p2align	8
	.type	_ZN7rocprim17ROCPRIM_400000_NS6detail17trampoline_kernelINS0_14default_configENS1_27upper_bound_config_selectorIflEEZNS1_14transform_implILb0ES3_S5_N6thrust23THRUST_200600_302600_NS17counting_iteratorIfNS8_11use_defaultESA_SA_EEPlZNS1_13binary_searchIS3_S5_PfSB_SC_NS1_21upper_bound_search_opENS8_6detail16wrapped_functionINS0_4lessIvEEbEEEE10hipError_tPvRmT1_T2_T3_mmT4_T5_P12ihipStream_tbEUlRKfE_EESL_SP_SQ_mSR_SU_bEUlT_E_NS1_11comp_targetILNS1_3genE8ELNS1_11target_archE1030ELNS1_3gpuE2ELNS1_3repE0EEENS1_30default_config_static_selectorELNS0_4arch9wavefront6targetE0EEEvSO_,@function
_ZN7rocprim17ROCPRIM_400000_NS6detail17trampoline_kernelINS0_14default_configENS1_27upper_bound_config_selectorIflEEZNS1_14transform_implILb0ES3_S5_N6thrust23THRUST_200600_302600_NS17counting_iteratorIfNS8_11use_defaultESA_SA_EEPlZNS1_13binary_searchIS3_S5_PfSB_SC_NS1_21upper_bound_search_opENS8_6detail16wrapped_functionINS0_4lessIvEEbEEEE10hipError_tPvRmT1_T2_T3_mmT4_T5_P12ihipStream_tbEUlRKfE_EESL_SP_SQ_mSR_SU_bEUlT_E_NS1_11comp_targetILNS1_3genE8ELNS1_11target_archE1030ELNS1_3gpuE2ELNS1_3repE0EEENS1_30default_config_static_selectorELNS0_4arch9wavefront6targetE0EEEvSO_: ; @_ZN7rocprim17ROCPRIM_400000_NS6detail17trampoline_kernelINS0_14default_configENS1_27upper_bound_config_selectorIflEEZNS1_14transform_implILb0ES3_S5_N6thrust23THRUST_200600_302600_NS17counting_iteratorIfNS8_11use_defaultESA_SA_EEPlZNS1_13binary_searchIS3_S5_PfSB_SC_NS1_21upper_bound_search_opENS8_6detail16wrapped_functionINS0_4lessIvEEbEEEE10hipError_tPvRmT1_T2_T3_mmT4_T5_P12ihipStream_tbEUlRKfE_EESL_SP_SQ_mSR_SU_bEUlT_E_NS1_11comp_targetILNS1_3genE8ELNS1_11target_archE1030ELNS1_3gpuE2ELNS1_3repE0EEENS1_30default_config_static_selectorELNS0_4arch9wavefront6targetE0EEEvSO_
; %bb.0:
	.section	.rodata,"a",@progbits
	.p2align	6, 0x0
	.amdhsa_kernel _ZN7rocprim17ROCPRIM_400000_NS6detail17trampoline_kernelINS0_14default_configENS1_27upper_bound_config_selectorIflEEZNS1_14transform_implILb0ES3_S5_N6thrust23THRUST_200600_302600_NS17counting_iteratorIfNS8_11use_defaultESA_SA_EEPlZNS1_13binary_searchIS3_S5_PfSB_SC_NS1_21upper_bound_search_opENS8_6detail16wrapped_functionINS0_4lessIvEEbEEEE10hipError_tPvRmT1_T2_T3_mmT4_T5_P12ihipStream_tbEUlRKfE_EESL_SP_SQ_mSR_SU_bEUlT_E_NS1_11comp_targetILNS1_3genE8ELNS1_11target_archE1030ELNS1_3gpuE2ELNS1_3repE0EEENS1_30default_config_static_selectorELNS0_4arch9wavefront6targetE0EEEvSO_
		.amdhsa_group_segment_fixed_size 0
		.amdhsa_private_segment_fixed_size 0
		.amdhsa_kernarg_size 56
		.amdhsa_user_sgpr_count 15
		.amdhsa_user_sgpr_dispatch_ptr 0
		.amdhsa_user_sgpr_queue_ptr 0
		.amdhsa_user_sgpr_kernarg_segment_ptr 1
		.amdhsa_user_sgpr_dispatch_id 0
		.amdhsa_user_sgpr_private_segment_size 0
		.amdhsa_wavefront_size32 1
		.amdhsa_uses_dynamic_stack 0
		.amdhsa_enable_private_segment 0
		.amdhsa_system_sgpr_workgroup_id_x 1
		.amdhsa_system_sgpr_workgroup_id_y 0
		.amdhsa_system_sgpr_workgroup_id_z 0
		.amdhsa_system_sgpr_workgroup_info 0
		.amdhsa_system_vgpr_workitem_id 0
		.amdhsa_next_free_vgpr 1
		.amdhsa_next_free_sgpr 1
		.amdhsa_reserve_vcc 0
		.amdhsa_float_round_mode_32 0
		.amdhsa_float_round_mode_16_64 0
		.amdhsa_float_denorm_mode_32 3
		.amdhsa_float_denorm_mode_16_64 3
		.amdhsa_dx10_clamp 1
		.amdhsa_ieee_mode 1
		.amdhsa_fp16_overflow 0
		.amdhsa_workgroup_processor_mode 1
		.amdhsa_memory_ordered 1
		.amdhsa_forward_progress 0
		.amdhsa_shared_vgpr_count 0
		.amdhsa_exception_fp_ieee_invalid_op 0
		.amdhsa_exception_fp_denorm_src 0
		.amdhsa_exception_fp_ieee_div_zero 0
		.amdhsa_exception_fp_ieee_overflow 0
		.amdhsa_exception_fp_ieee_underflow 0
		.amdhsa_exception_fp_ieee_inexact 0
		.amdhsa_exception_int_div_zero 0
	.end_amdhsa_kernel
	.section	.text._ZN7rocprim17ROCPRIM_400000_NS6detail17trampoline_kernelINS0_14default_configENS1_27upper_bound_config_selectorIflEEZNS1_14transform_implILb0ES3_S5_N6thrust23THRUST_200600_302600_NS17counting_iteratorIfNS8_11use_defaultESA_SA_EEPlZNS1_13binary_searchIS3_S5_PfSB_SC_NS1_21upper_bound_search_opENS8_6detail16wrapped_functionINS0_4lessIvEEbEEEE10hipError_tPvRmT1_T2_T3_mmT4_T5_P12ihipStream_tbEUlRKfE_EESL_SP_SQ_mSR_SU_bEUlT_E_NS1_11comp_targetILNS1_3genE8ELNS1_11target_archE1030ELNS1_3gpuE2ELNS1_3repE0EEENS1_30default_config_static_selectorELNS0_4arch9wavefront6targetE0EEEvSO_,"axG",@progbits,_ZN7rocprim17ROCPRIM_400000_NS6detail17trampoline_kernelINS0_14default_configENS1_27upper_bound_config_selectorIflEEZNS1_14transform_implILb0ES3_S5_N6thrust23THRUST_200600_302600_NS17counting_iteratorIfNS8_11use_defaultESA_SA_EEPlZNS1_13binary_searchIS3_S5_PfSB_SC_NS1_21upper_bound_search_opENS8_6detail16wrapped_functionINS0_4lessIvEEbEEEE10hipError_tPvRmT1_T2_T3_mmT4_T5_P12ihipStream_tbEUlRKfE_EESL_SP_SQ_mSR_SU_bEUlT_E_NS1_11comp_targetILNS1_3genE8ELNS1_11target_archE1030ELNS1_3gpuE2ELNS1_3repE0EEENS1_30default_config_static_selectorELNS0_4arch9wavefront6targetE0EEEvSO_,comdat
.Lfunc_end107:
	.size	_ZN7rocprim17ROCPRIM_400000_NS6detail17trampoline_kernelINS0_14default_configENS1_27upper_bound_config_selectorIflEEZNS1_14transform_implILb0ES3_S5_N6thrust23THRUST_200600_302600_NS17counting_iteratorIfNS8_11use_defaultESA_SA_EEPlZNS1_13binary_searchIS3_S5_PfSB_SC_NS1_21upper_bound_search_opENS8_6detail16wrapped_functionINS0_4lessIvEEbEEEE10hipError_tPvRmT1_T2_T3_mmT4_T5_P12ihipStream_tbEUlRKfE_EESL_SP_SQ_mSR_SU_bEUlT_E_NS1_11comp_targetILNS1_3genE8ELNS1_11target_archE1030ELNS1_3gpuE2ELNS1_3repE0EEENS1_30default_config_static_selectorELNS0_4arch9wavefront6targetE0EEEvSO_, .Lfunc_end107-_ZN7rocprim17ROCPRIM_400000_NS6detail17trampoline_kernelINS0_14default_configENS1_27upper_bound_config_selectorIflEEZNS1_14transform_implILb0ES3_S5_N6thrust23THRUST_200600_302600_NS17counting_iteratorIfNS8_11use_defaultESA_SA_EEPlZNS1_13binary_searchIS3_S5_PfSB_SC_NS1_21upper_bound_search_opENS8_6detail16wrapped_functionINS0_4lessIvEEbEEEE10hipError_tPvRmT1_T2_T3_mmT4_T5_P12ihipStream_tbEUlRKfE_EESL_SP_SQ_mSR_SU_bEUlT_E_NS1_11comp_targetILNS1_3genE8ELNS1_11target_archE1030ELNS1_3gpuE2ELNS1_3repE0EEENS1_30default_config_static_selectorELNS0_4arch9wavefront6targetE0EEEvSO_
                                        ; -- End function
	.section	.AMDGPU.csdata,"",@progbits
; Kernel info:
; codeLenInByte = 0
; NumSgprs: 0
; NumVgprs: 0
; ScratchSize: 0
; MemoryBound: 0
; FloatMode: 240
; IeeeMode: 1
; LDSByteSize: 0 bytes/workgroup (compile time only)
; SGPRBlocks: 0
; VGPRBlocks: 0
; NumSGPRsForWavesPerEU: 1
; NumVGPRsForWavesPerEU: 1
; Occupancy: 16
; WaveLimiterHint : 0
; COMPUTE_PGM_RSRC2:SCRATCH_EN: 0
; COMPUTE_PGM_RSRC2:USER_SGPR: 15
; COMPUTE_PGM_RSRC2:TRAP_HANDLER: 0
; COMPUTE_PGM_RSRC2:TGID_X_EN: 1
; COMPUTE_PGM_RSRC2:TGID_Y_EN: 0
; COMPUTE_PGM_RSRC2:TGID_Z_EN: 0
; COMPUTE_PGM_RSRC2:TIDIG_COMP_CNT: 0
	.section	.text._Z18upper_bound_kernelIyEvmPT_Pl,"axG",@progbits,_Z18upper_bound_kernelIyEvmPT_Pl,comdat
	.protected	_Z18upper_bound_kernelIyEvmPT_Pl ; -- Begin function _Z18upper_bound_kernelIyEvmPT_Pl
	.globl	_Z18upper_bound_kernelIyEvmPT_Pl
	.p2align	8
	.type	_Z18upper_bound_kernelIyEvmPT_Pl,@function
_Z18upper_bound_kernelIyEvmPT_Pl:       ; @_Z18upper_bound_kernelIyEvmPT_Pl
; %bb.0:
	s_clause 0x1
	s_load_b128 s[4:7], s[0:1], 0x0
	s_load_b64 s[2:3], s[0:1], 0x10
	s_mov_b64 s[8:9], 0
	s_waitcnt lgkmcnt(0)
	v_cmp_lt_i64_e64 s0, s[4:5], 1
	s_delay_alu instid0(VALU_DEP_1) | instskip(NEXT) | instid1(SALU_CYCLE_1)
	s_and_b32 s0, exec_lo, s0
	s_mov_b32 vcc_lo, s0
	s_cbranch_vccnz .LBB108_3
; %bb.1:
	s_mov_b64 s[10:11], s[4:5]
	.p2align	6
.LBB108_2:                              ; =>This Inner Loop Header: Depth=1
	s_delay_alu instid0(SALU_CYCLE_1) | instskip(SKIP_1) | instid1(SALU_CYCLE_1)
	s_sub_u32 s1, s10, s8
	s_subb_u32 s13, s11, s9
	s_lshr_b32 s12, s13, 31
	s_delay_alu instid0(SALU_CYCLE_1) | instskip(SKIP_1) | instid1(SALU_CYCLE_1)
	s_add_u32 s12, s1, s12
	s_addc_u32 s13, s13, 0
	s_ashr_i64 s[12:13], s[12:13], 1
	s_delay_alu instid0(SALU_CYCLE_1) | instskip(SKIP_1) | instid1(SALU_CYCLE_1)
	s_add_u32 s12, s12, s8
	s_addc_u32 s13, s13, s9
	s_lshl_b64 s[14:15], s[12:13], 3
	s_delay_alu instid0(SALU_CYCLE_1)
	s_add_u32 s14, s6, s14
	s_addc_u32 s15, s7, s15
	s_add_u32 s1, s12, 1
	s_load_b64 s[14:15], s[14:15], 0x0
	s_addc_u32 s16, s13, 0
	s_waitcnt lgkmcnt(0)
	s_cmp_eq_u64 s[14:15], 0
	s_cselect_b32 s9, s16, s9
	s_cselect_b32 s8, s1, s8
	;; [unrolled: 1-line block ×4, first 2 shown]
	s_delay_alu instid0(SALU_CYCLE_1) | instskip(NEXT) | instid1(VALU_DEP_1)
	v_cmp_lt_i64_e64 s1, s[8:9], s[10:11]
	s_and_b32 vcc_lo, exec_lo, s1
	s_cbranch_vccnz .LBB108_2
.LBB108_3:
	v_cmp_gt_i64_e64 s10, s[4:5], 0
	v_mov_b32_e32 v2, 0
	s_delay_alu instid0(VALU_DEP_2) | instskip(SKIP_1) | instid1(VALU_DEP_1)
	v_cndmask_b32_e64 v0, 0, 1, s10
	s_and_not1_b32 vcc_lo, exec_lo, s10
	v_cmp_ne_u32_e64 s1, 1, v0
	v_dual_mov_b32 v0, s8 :: v_dual_mov_b32 v1, s9
	s_mov_b64 s[8:9], 0
	global_store_b64 v2, v[0:1], s[2:3]
	s_cbranch_vccnz .LBB108_6
; %bb.4:
	s_mov_b64 s[10:11], s[4:5]
	.p2align	6
.LBB108_5:                              ; =>This Inner Loop Header: Depth=1
	s_delay_alu instid0(SALU_CYCLE_1) | instskip(SKIP_1) | instid1(SALU_CYCLE_1)
	s_sub_u32 s12, s10, s8
	s_subb_u32 s13, s11, s9
	s_lshr_b32 s14, s13, 31
	s_delay_alu instid0(SALU_CYCLE_1) | instskip(SKIP_1) | instid1(SALU_CYCLE_1)
	s_add_u32 s12, s12, s14
	s_addc_u32 s13, s13, 0
	s_ashr_i64 s[12:13], s[12:13], 1
	s_delay_alu instid0(SALU_CYCLE_1) | instskip(SKIP_1) | instid1(SALU_CYCLE_1)
	s_add_u32 s12, s12, s8
	s_addc_u32 s13, s13, s9
	s_lshl_b64 s[14:15], s[12:13], 3
	s_delay_alu instid0(SALU_CYCLE_1)
	s_add_u32 s14, s6, s14
	s_addc_u32 s15, s7, s15
	s_load_b64 s[14:15], s[14:15], 0x0
	s_waitcnt lgkmcnt(0)
	v_cmp_gt_u64_e64 s14, s[14:15], 1
	s_add_u32 s15, s12, 1
	s_addc_u32 s16, s13, 0
	s_delay_alu instid0(VALU_DEP_1) | instskip(SKIP_4) | instid1(SALU_CYCLE_1)
	s_and_b32 s14, s14, exec_lo
	s_cselect_b32 s9, s9, s16
	s_cselect_b32 s8, s8, s15
	;; [unrolled: 1-line block ×4, first 2 shown]
	v_cmp_lt_i64_e64 s12, s[8:9], s[10:11]
	s_delay_alu instid0(VALU_DEP_1)
	s_and_b32 vcc_lo, exec_lo, s12
	s_cbranch_vccnz .LBB108_5
.LBB108_6:
	v_mov_b32_e32 v0, s8
	v_dual_mov_b32 v2, 0 :: v_dual_mov_b32 v1, s9
	s_and_b32 vcc_lo, exec_lo, s1
	s_mov_b64 s[8:9], 0
	global_store_b64 v2, v[0:1], s[2:3] offset:8
	s_cbranch_vccnz .LBB108_9
; %bb.7:
	s_mov_b64 s[10:11], s[4:5]
	.p2align	6
.LBB108_8:                              ; =>This Inner Loop Header: Depth=1
	s_delay_alu instid0(SALU_CYCLE_1) | instskip(SKIP_1) | instid1(SALU_CYCLE_1)
	s_sub_u32 s12, s10, s8
	s_subb_u32 s13, s11, s9
	s_lshr_b32 s14, s13, 31
	s_delay_alu instid0(SALU_CYCLE_1) | instskip(SKIP_1) | instid1(SALU_CYCLE_1)
	s_add_u32 s12, s12, s14
	s_addc_u32 s13, s13, 0
	s_ashr_i64 s[12:13], s[12:13], 1
	s_delay_alu instid0(SALU_CYCLE_1) | instskip(SKIP_1) | instid1(SALU_CYCLE_1)
	s_add_u32 s12, s12, s8
	s_addc_u32 s13, s13, s9
	s_lshl_b64 s[14:15], s[12:13], 3
	s_delay_alu instid0(SALU_CYCLE_1)
	s_add_u32 s14, s6, s14
	s_addc_u32 s15, s7, s15
	s_load_b64 s[14:15], s[14:15], 0x0
	s_waitcnt lgkmcnt(0)
	v_cmp_gt_u64_e64 s14, s[14:15], 2
	s_add_u32 s15, s12, 1
	s_addc_u32 s16, s13, 0
	s_delay_alu instid0(VALU_DEP_1) | instskip(SKIP_4) | instid1(SALU_CYCLE_1)
	s_and_b32 s14, s14, exec_lo
	s_cselect_b32 s9, s9, s16
	s_cselect_b32 s8, s8, s15
	;; [unrolled: 1-line block ×4, first 2 shown]
	v_cmp_lt_i64_e64 s12, s[8:9], s[10:11]
	s_delay_alu instid0(VALU_DEP_1)
	s_and_b32 vcc_lo, exec_lo, s12
	s_cbranch_vccnz .LBB108_8
.LBB108_9:
	v_mov_b32_e32 v0, s8
	v_dual_mov_b32 v2, 0 :: v_dual_mov_b32 v1, s9
	s_and_b32 vcc_lo, exec_lo, s1
	s_mov_b64 s[8:9], 0
	global_store_b64 v2, v[0:1], s[2:3] offset:16
	s_cbranch_vccnz .LBB108_12
; %bb.10:
	s_mov_b64 s[10:11], s[4:5]
	.p2align	6
.LBB108_11:                             ; =>This Inner Loop Header: Depth=1
	s_delay_alu instid0(SALU_CYCLE_1) | instskip(SKIP_1) | instid1(SALU_CYCLE_1)
	s_sub_u32 s12, s10, s8
	s_subb_u32 s13, s11, s9
	s_lshr_b32 s14, s13, 31
	s_delay_alu instid0(SALU_CYCLE_1) | instskip(SKIP_1) | instid1(SALU_CYCLE_1)
	s_add_u32 s12, s12, s14
	s_addc_u32 s13, s13, 0
	s_ashr_i64 s[12:13], s[12:13], 1
	s_delay_alu instid0(SALU_CYCLE_1) | instskip(SKIP_1) | instid1(SALU_CYCLE_1)
	s_add_u32 s12, s12, s8
	s_addc_u32 s13, s13, s9
	s_lshl_b64 s[14:15], s[12:13], 3
	s_delay_alu instid0(SALU_CYCLE_1)
	s_add_u32 s14, s6, s14
	s_addc_u32 s15, s7, s15
	s_load_b64 s[14:15], s[14:15], 0x0
	s_waitcnt lgkmcnt(0)
	v_cmp_gt_u64_e64 s14, s[14:15], 3
	s_add_u32 s15, s12, 1
	s_addc_u32 s16, s13, 0
	s_delay_alu instid0(VALU_DEP_1) | instskip(SKIP_4) | instid1(SALU_CYCLE_1)
	s_and_b32 s14, s14, exec_lo
	s_cselect_b32 s9, s9, s16
	s_cselect_b32 s8, s8, s15
	;; [unrolled: 1-line block ×4, first 2 shown]
	v_cmp_lt_i64_e64 s12, s[8:9], s[10:11]
	s_delay_alu instid0(VALU_DEP_1)
	s_and_b32 vcc_lo, exec_lo, s12
	s_cbranch_vccnz .LBB108_11
.LBB108_12:
	v_mov_b32_e32 v0, s8
	v_dual_mov_b32 v2, 0 :: v_dual_mov_b32 v1, s9
	s_and_b32 vcc_lo, exec_lo, s1
	s_mov_b64 s[8:9], 0
	global_store_b64 v2, v[0:1], s[2:3] offset:24
	s_cbranch_vccnz .LBB108_15
; %bb.13:
	s_mov_b64 s[10:11], s[4:5]
	.p2align	6
.LBB108_14:                             ; =>This Inner Loop Header: Depth=1
	s_delay_alu instid0(SALU_CYCLE_1) | instskip(SKIP_1) | instid1(SALU_CYCLE_1)
	s_sub_u32 s12, s10, s8
	s_subb_u32 s13, s11, s9
	s_lshr_b32 s14, s13, 31
	s_delay_alu instid0(SALU_CYCLE_1) | instskip(SKIP_1) | instid1(SALU_CYCLE_1)
	s_add_u32 s12, s12, s14
	s_addc_u32 s13, s13, 0
	s_ashr_i64 s[12:13], s[12:13], 1
	s_delay_alu instid0(SALU_CYCLE_1) | instskip(SKIP_1) | instid1(SALU_CYCLE_1)
	s_add_u32 s12, s12, s8
	s_addc_u32 s13, s13, s9
	s_lshl_b64 s[14:15], s[12:13], 3
	s_delay_alu instid0(SALU_CYCLE_1)
	s_add_u32 s14, s6, s14
	s_addc_u32 s15, s7, s15
	s_load_b64 s[14:15], s[14:15], 0x0
	s_waitcnt lgkmcnt(0)
	v_cmp_gt_u64_e64 s14, s[14:15], 4
	s_add_u32 s15, s12, 1
	s_addc_u32 s16, s13, 0
	s_delay_alu instid0(VALU_DEP_1) | instskip(SKIP_4) | instid1(SALU_CYCLE_1)
	s_and_b32 s14, s14, exec_lo
	s_cselect_b32 s9, s9, s16
	s_cselect_b32 s8, s8, s15
	;; [unrolled: 1-line block ×4, first 2 shown]
	v_cmp_lt_i64_e64 s12, s[8:9], s[10:11]
	s_delay_alu instid0(VALU_DEP_1)
	s_and_b32 vcc_lo, exec_lo, s12
	s_cbranch_vccnz .LBB108_14
.LBB108_15:
	v_mov_b32_e32 v0, s8
	v_dual_mov_b32 v2, 0 :: v_dual_mov_b32 v1, s9
	s_and_b32 vcc_lo, exec_lo, s1
	s_mov_b64 s[8:9], 0
	global_store_b64 v2, v[0:1], s[2:3] offset:32
	s_cbranch_vccnz .LBB108_18
; %bb.16:
	s_mov_b64 s[10:11], s[4:5]
	.p2align	6
.LBB108_17:                             ; =>This Inner Loop Header: Depth=1
	s_delay_alu instid0(SALU_CYCLE_1) | instskip(SKIP_1) | instid1(SALU_CYCLE_1)
	s_sub_u32 s12, s10, s8
	s_subb_u32 s13, s11, s9
	s_lshr_b32 s14, s13, 31
	s_delay_alu instid0(SALU_CYCLE_1) | instskip(SKIP_1) | instid1(SALU_CYCLE_1)
	s_add_u32 s12, s12, s14
	s_addc_u32 s13, s13, 0
	s_ashr_i64 s[12:13], s[12:13], 1
	s_delay_alu instid0(SALU_CYCLE_1) | instskip(SKIP_1) | instid1(SALU_CYCLE_1)
	s_add_u32 s12, s12, s8
	s_addc_u32 s13, s13, s9
	s_lshl_b64 s[14:15], s[12:13], 3
	s_delay_alu instid0(SALU_CYCLE_1)
	s_add_u32 s14, s6, s14
	s_addc_u32 s15, s7, s15
	s_load_b64 s[14:15], s[14:15], 0x0
	s_waitcnt lgkmcnt(0)
	v_cmp_gt_u64_e64 s14, s[14:15], 5
	s_add_u32 s15, s12, 1
	s_addc_u32 s16, s13, 0
	s_delay_alu instid0(VALU_DEP_1) | instskip(SKIP_4) | instid1(SALU_CYCLE_1)
	s_and_b32 s14, s14, exec_lo
	s_cselect_b32 s9, s9, s16
	s_cselect_b32 s8, s8, s15
	;; [unrolled: 1-line block ×4, first 2 shown]
	v_cmp_lt_i64_e64 s12, s[8:9], s[10:11]
	s_delay_alu instid0(VALU_DEP_1)
	s_and_b32 vcc_lo, exec_lo, s12
	s_cbranch_vccnz .LBB108_17
.LBB108_18:
	v_mov_b32_e32 v0, s8
	v_dual_mov_b32 v2, 0 :: v_dual_mov_b32 v1, s9
	s_and_b32 vcc_lo, exec_lo, s1
	s_mov_b64 s[8:9], 0
	global_store_b64 v2, v[0:1], s[2:3] offset:40
	s_cbranch_vccnz .LBB108_21
; %bb.19:
	s_mov_b64 s[10:11], s[4:5]
	.p2align	6
.LBB108_20:                             ; =>This Inner Loop Header: Depth=1
	s_delay_alu instid0(SALU_CYCLE_1) | instskip(SKIP_1) | instid1(SALU_CYCLE_1)
	s_sub_u32 s12, s10, s8
	s_subb_u32 s13, s11, s9
	s_lshr_b32 s14, s13, 31
	s_delay_alu instid0(SALU_CYCLE_1) | instskip(SKIP_1) | instid1(SALU_CYCLE_1)
	s_add_u32 s12, s12, s14
	s_addc_u32 s13, s13, 0
	s_ashr_i64 s[12:13], s[12:13], 1
	s_delay_alu instid0(SALU_CYCLE_1) | instskip(SKIP_1) | instid1(SALU_CYCLE_1)
	s_add_u32 s12, s12, s8
	s_addc_u32 s13, s13, s9
	s_lshl_b64 s[14:15], s[12:13], 3
	s_delay_alu instid0(SALU_CYCLE_1)
	s_add_u32 s14, s6, s14
	s_addc_u32 s15, s7, s15
	s_load_b64 s[14:15], s[14:15], 0x0
	s_waitcnt lgkmcnt(0)
	v_cmp_gt_u64_e64 s14, s[14:15], 6
	s_add_u32 s15, s12, 1
	s_addc_u32 s16, s13, 0
	s_delay_alu instid0(VALU_DEP_1) | instskip(SKIP_4) | instid1(SALU_CYCLE_1)
	s_and_b32 s14, s14, exec_lo
	s_cselect_b32 s9, s9, s16
	s_cselect_b32 s8, s8, s15
	;; [unrolled: 1-line block ×4, first 2 shown]
	v_cmp_lt_i64_e64 s12, s[8:9], s[10:11]
	s_delay_alu instid0(VALU_DEP_1)
	s_and_b32 vcc_lo, exec_lo, s12
	s_cbranch_vccnz .LBB108_20
.LBB108_21:
	v_mov_b32_e32 v0, s8
	v_dual_mov_b32 v2, 0 :: v_dual_mov_b32 v1, s9
	s_and_b32 vcc_lo, exec_lo, s1
	s_mov_b64 s[8:9], 0
	global_store_b64 v2, v[0:1], s[2:3] offset:48
	s_cbranch_vccnz .LBB108_24
; %bb.22:
	s_mov_b64 s[10:11], s[4:5]
	.p2align	6
.LBB108_23:                             ; =>This Inner Loop Header: Depth=1
	s_delay_alu instid0(SALU_CYCLE_1) | instskip(SKIP_1) | instid1(SALU_CYCLE_1)
	s_sub_u32 s1, s10, s8
	s_subb_u32 s13, s11, s9
	s_lshr_b32 s12, s13, 31
	s_delay_alu instid0(SALU_CYCLE_1) | instskip(SKIP_1) | instid1(SALU_CYCLE_1)
	s_add_u32 s12, s1, s12
	s_addc_u32 s13, s13, 0
	s_ashr_i64 s[12:13], s[12:13], 1
	s_delay_alu instid0(SALU_CYCLE_1) | instskip(SKIP_1) | instid1(SALU_CYCLE_1)
	s_add_u32 s12, s12, s8
	s_addc_u32 s13, s13, s9
	s_lshl_b64 s[14:15], s[12:13], 3
	s_delay_alu instid0(SALU_CYCLE_1)
	s_add_u32 s14, s6, s14
	s_addc_u32 s15, s7, s15
	s_load_b64 s[14:15], s[14:15], 0x0
	s_waitcnt lgkmcnt(0)
	v_cmp_gt_u64_e64 s1, s[14:15], 7
	s_add_u32 s14, s12, 1
	s_addc_u32 s15, s13, 0
	s_delay_alu instid0(VALU_DEP_1) | instskip(SKIP_4) | instid1(SALU_CYCLE_1)
	s_and_b32 s1, s1, exec_lo
	s_cselect_b32 s9, s9, s15
	s_cselect_b32 s8, s8, s14
	;; [unrolled: 1-line block ×4, first 2 shown]
	v_cmp_lt_i64_e64 s1, s[8:9], s[10:11]
	s_delay_alu instid0(VALU_DEP_1)
	s_and_b32 vcc_lo, exec_lo, s1
	s_cbranch_vccnz .LBB108_23
.LBB108_24:
	v_dual_mov_b32 v0, 0 :: v_dual_mov_b32 v1, s8
	v_mov_b32_e32 v2, s9
	s_mov_b32 vcc_lo, s0
	global_store_b64 v0, v[1:2], s[2:3] offset:56
	s_cbranch_vccz .LBB108_26
; %bb.25:
	v_mov_b32_e32 v1, v0
	s_mov_b64 s[0:1], 0
	global_store_b64 v0, v[0:1], s[2:3] offset:64
	s_cbranch_execz .LBB108_27
	s_branch .LBB108_31
.LBB108_26:
                                        ; implicit-def: $sgpr0_sgpr1
.LBB108_27:
	s_mov_b64 s[0:1], 0
	s_mov_b64 s[8:9], s[4:5]
	.p2align	6
.LBB108_28:                             ; =>This Inner Loop Header: Depth=1
	s_delay_alu instid0(SALU_CYCLE_1) | instskip(SKIP_1) | instid1(SALU_CYCLE_1)
	s_sub_u32 s10, s8, s0
	s_subb_u32 s11, s9, s1
	s_lshr_b32 s12, s11, 31
	s_delay_alu instid0(SALU_CYCLE_1) | instskip(SKIP_1) | instid1(SALU_CYCLE_1)
	s_add_u32 s10, s10, s12
	s_addc_u32 s11, s11, 0
	s_ashr_i64 s[10:11], s[10:11], 1
	s_delay_alu instid0(SALU_CYCLE_1) | instskip(SKIP_1) | instid1(SALU_CYCLE_1)
	s_add_u32 s10, s10, s0
	s_addc_u32 s11, s11, s1
	s_lshl_b64 s[12:13], s[10:11], 3
	s_delay_alu instid0(SALU_CYCLE_1)
	s_add_u32 s12, s6, s12
	s_addc_u32 s13, s7, s13
	s_load_b64 s[12:13], s[12:13], 0x0
	s_waitcnt lgkmcnt(0)
	v_cmp_gt_u64_e64 s12, s[12:13], 8
	s_add_u32 s13, s10, 1
	s_addc_u32 s14, s11, 0
	s_delay_alu instid0(VALU_DEP_1) | instskip(SKIP_4) | instid1(SALU_CYCLE_1)
	s_and_b32 s12, s12, exec_lo
	s_cselect_b32 s1, s1, s14
	s_cselect_b32 s0, s0, s13
	;; [unrolled: 1-line block ×4, first 2 shown]
	v_cmp_lt_i64_e64 s10, s[0:1], s[8:9]
	s_delay_alu instid0(VALU_DEP_1)
	s_and_b32 vcc_lo, exec_lo, s10
	s_cbranch_vccnz .LBB108_28
; %bb.29:
	v_mov_b32_e32 v0, s0
	v_dual_mov_b32 v2, 0 :: v_dual_mov_b32 v1, s1
	s_mov_b64 s[0:1], 0
	global_store_b64 v2, v[0:1], s[2:3] offset:64
	.p2align	6
.LBB108_30:                             ; =>This Inner Loop Header: Depth=1
	s_sub_u32 s8, s4, s0
	s_subb_u32 s9, s5, s1
	s_delay_alu instid0(SALU_CYCLE_1) | instskip(NEXT) | instid1(SALU_CYCLE_1)
	s_lshr_b32 s10, s9, 31
	s_add_u32 s8, s8, s10
	s_addc_u32 s9, s9, 0
	s_delay_alu instid0(SALU_CYCLE_1) | instskip(NEXT) | instid1(SALU_CYCLE_1)
	s_ashr_i64 s[8:9], s[8:9], 1
	s_add_u32 s8, s8, s0
	s_addc_u32 s9, s9, s1
	s_delay_alu instid0(SALU_CYCLE_1) | instskip(NEXT) | instid1(SALU_CYCLE_1)
	s_lshl_b64 s[10:11], s[8:9], 3
	s_add_u32 s10, s6, s10
	s_addc_u32 s11, s7, s11
	s_load_b64 s[10:11], s[10:11], 0x0
	s_waitcnt lgkmcnt(0)
	v_cmp_gt_u64_e64 s10, s[10:11], 9
	s_add_u32 s11, s8, 1
	s_addc_u32 s12, s9, 0
	s_delay_alu instid0(VALU_DEP_1) | instskip(SKIP_4) | instid1(SALU_CYCLE_1)
	s_and_b32 s10, s10, exec_lo
	s_cselect_b32 s1, s1, s12
	s_cselect_b32 s0, s0, s11
	;; [unrolled: 1-line block ×4, first 2 shown]
	v_cmp_ge_i64_e64 s8, s[0:1], s[4:5]
	s_delay_alu instid0(VALU_DEP_1)
	s_and_b32 vcc_lo, exec_lo, s8
	s_cbranch_vccz .LBB108_30
.LBB108_31:
	v_mov_b32_e32 v0, s0
	v_dual_mov_b32 v2, 0 :: v_dual_mov_b32 v1, s1
	global_store_b64 v2, v[0:1], s[2:3] offset:72
	s_nop 0
	s_sendmsg sendmsg(MSG_DEALLOC_VGPRS)
	s_endpgm
	.section	.rodata,"a",@progbits
	.p2align	6, 0x0
	.amdhsa_kernel _Z18upper_bound_kernelIyEvmPT_Pl
		.amdhsa_group_segment_fixed_size 0
		.amdhsa_private_segment_fixed_size 0
		.amdhsa_kernarg_size 24
		.amdhsa_user_sgpr_count 15
		.amdhsa_user_sgpr_dispatch_ptr 0
		.amdhsa_user_sgpr_queue_ptr 0
		.amdhsa_user_sgpr_kernarg_segment_ptr 1
		.amdhsa_user_sgpr_dispatch_id 0
		.amdhsa_user_sgpr_private_segment_size 0
		.amdhsa_wavefront_size32 1
		.amdhsa_uses_dynamic_stack 0
		.amdhsa_enable_private_segment 0
		.amdhsa_system_sgpr_workgroup_id_x 1
		.amdhsa_system_sgpr_workgroup_id_y 0
		.amdhsa_system_sgpr_workgroup_id_z 0
		.amdhsa_system_sgpr_workgroup_info 0
		.amdhsa_system_vgpr_workitem_id 0
		.amdhsa_next_free_vgpr 3
		.amdhsa_next_free_sgpr 17
		.amdhsa_reserve_vcc 1
		.amdhsa_float_round_mode_32 0
		.amdhsa_float_round_mode_16_64 0
		.amdhsa_float_denorm_mode_32 3
		.amdhsa_float_denorm_mode_16_64 3
		.amdhsa_dx10_clamp 1
		.amdhsa_ieee_mode 1
		.amdhsa_fp16_overflow 0
		.amdhsa_workgroup_processor_mode 1
		.amdhsa_memory_ordered 1
		.amdhsa_forward_progress 0
		.amdhsa_shared_vgpr_count 0
		.amdhsa_exception_fp_ieee_invalid_op 0
		.amdhsa_exception_fp_denorm_src 0
		.amdhsa_exception_fp_ieee_div_zero 0
		.amdhsa_exception_fp_ieee_overflow 0
		.amdhsa_exception_fp_ieee_underflow 0
		.amdhsa_exception_fp_ieee_inexact 0
		.amdhsa_exception_int_div_zero 0
	.end_amdhsa_kernel
	.section	.text._Z18upper_bound_kernelIyEvmPT_Pl,"axG",@progbits,_Z18upper_bound_kernelIyEvmPT_Pl,comdat
.Lfunc_end108:
	.size	_Z18upper_bound_kernelIyEvmPT_Pl, .Lfunc_end108-_Z18upper_bound_kernelIyEvmPT_Pl
                                        ; -- End function
	.section	.AMDGPU.csdata,"",@progbits
; Kernel info:
; codeLenInByte = 1756
; NumSgprs: 19
; NumVgprs: 3
; ScratchSize: 0
; MemoryBound: 0
; FloatMode: 240
; IeeeMode: 1
; LDSByteSize: 0 bytes/workgroup (compile time only)
; SGPRBlocks: 2
; VGPRBlocks: 0
; NumSGPRsForWavesPerEU: 19
; NumVGPRsForWavesPerEU: 3
; Occupancy: 16
; WaveLimiterHint : 0
; COMPUTE_PGM_RSRC2:SCRATCH_EN: 0
; COMPUTE_PGM_RSRC2:USER_SGPR: 15
; COMPUTE_PGM_RSRC2:TRAP_HANDLER: 0
; COMPUTE_PGM_RSRC2:TGID_X_EN: 1
; COMPUTE_PGM_RSRC2:TGID_Y_EN: 0
; COMPUTE_PGM_RSRC2:TGID_Z_EN: 0
; COMPUTE_PGM_RSRC2:TIDIG_COMP_CNT: 0
	.section	.text._ZN7rocprim17ROCPRIM_400000_NS6detail17trampoline_kernelINS0_14default_configENS1_27upper_bound_config_selectorIylEEZNS1_14transform_implILb0ES3_S5_N6thrust23THRUST_200600_302600_NS17counting_iteratorIyNS8_11use_defaultESA_SA_EEPlZNS1_13binary_searchIS3_S5_PySB_SC_NS1_21upper_bound_search_opENS8_6detail16wrapped_functionINS0_4lessIvEEbEEEE10hipError_tPvRmT1_T2_T3_mmT4_T5_P12ihipStream_tbEUlRKyE_EESL_SP_SQ_mSR_SU_bEUlT_E_NS1_11comp_targetILNS1_3genE0ELNS1_11target_archE4294967295ELNS1_3gpuE0ELNS1_3repE0EEENS1_30default_config_static_selectorELNS0_4arch9wavefront6targetE0EEEvSO_,"axG",@progbits,_ZN7rocprim17ROCPRIM_400000_NS6detail17trampoline_kernelINS0_14default_configENS1_27upper_bound_config_selectorIylEEZNS1_14transform_implILb0ES3_S5_N6thrust23THRUST_200600_302600_NS17counting_iteratorIyNS8_11use_defaultESA_SA_EEPlZNS1_13binary_searchIS3_S5_PySB_SC_NS1_21upper_bound_search_opENS8_6detail16wrapped_functionINS0_4lessIvEEbEEEE10hipError_tPvRmT1_T2_T3_mmT4_T5_P12ihipStream_tbEUlRKyE_EESL_SP_SQ_mSR_SU_bEUlT_E_NS1_11comp_targetILNS1_3genE0ELNS1_11target_archE4294967295ELNS1_3gpuE0ELNS1_3repE0EEENS1_30default_config_static_selectorELNS0_4arch9wavefront6targetE0EEEvSO_,comdat
	.protected	_ZN7rocprim17ROCPRIM_400000_NS6detail17trampoline_kernelINS0_14default_configENS1_27upper_bound_config_selectorIylEEZNS1_14transform_implILb0ES3_S5_N6thrust23THRUST_200600_302600_NS17counting_iteratorIyNS8_11use_defaultESA_SA_EEPlZNS1_13binary_searchIS3_S5_PySB_SC_NS1_21upper_bound_search_opENS8_6detail16wrapped_functionINS0_4lessIvEEbEEEE10hipError_tPvRmT1_T2_T3_mmT4_T5_P12ihipStream_tbEUlRKyE_EESL_SP_SQ_mSR_SU_bEUlT_E_NS1_11comp_targetILNS1_3genE0ELNS1_11target_archE4294967295ELNS1_3gpuE0ELNS1_3repE0EEENS1_30default_config_static_selectorELNS0_4arch9wavefront6targetE0EEEvSO_ ; -- Begin function _ZN7rocprim17ROCPRIM_400000_NS6detail17trampoline_kernelINS0_14default_configENS1_27upper_bound_config_selectorIylEEZNS1_14transform_implILb0ES3_S5_N6thrust23THRUST_200600_302600_NS17counting_iteratorIyNS8_11use_defaultESA_SA_EEPlZNS1_13binary_searchIS3_S5_PySB_SC_NS1_21upper_bound_search_opENS8_6detail16wrapped_functionINS0_4lessIvEEbEEEE10hipError_tPvRmT1_T2_T3_mmT4_T5_P12ihipStream_tbEUlRKyE_EESL_SP_SQ_mSR_SU_bEUlT_E_NS1_11comp_targetILNS1_3genE0ELNS1_11target_archE4294967295ELNS1_3gpuE0ELNS1_3repE0EEENS1_30default_config_static_selectorELNS0_4arch9wavefront6targetE0EEEvSO_
	.globl	_ZN7rocprim17ROCPRIM_400000_NS6detail17trampoline_kernelINS0_14default_configENS1_27upper_bound_config_selectorIylEEZNS1_14transform_implILb0ES3_S5_N6thrust23THRUST_200600_302600_NS17counting_iteratorIyNS8_11use_defaultESA_SA_EEPlZNS1_13binary_searchIS3_S5_PySB_SC_NS1_21upper_bound_search_opENS8_6detail16wrapped_functionINS0_4lessIvEEbEEEE10hipError_tPvRmT1_T2_T3_mmT4_T5_P12ihipStream_tbEUlRKyE_EESL_SP_SQ_mSR_SU_bEUlT_E_NS1_11comp_targetILNS1_3genE0ELNS1_11target_archE4294967295ELNS1_3gpuE0ELNS1_3repE0EEENS1_30default_config_static_selectorELNS0_4arch9wavefront6targetE0EEEvSO_
	.p2align	8
	.type	_ZN7rocprim17ROCPRIM_400000_NS6detail17trampoline_kernelINS0_14default_configENS1_27upper_bound_config_selectorIylEEZNS1_14transform_implILb0ES3_S5_N6thrust23THRUST_200600_302600_NS17counting_iteratorIyNS8_11use_defaultESA_SA_EEPlZNS1_13binary_searchIS3_S5_PySB_SC_NS1_21upper_bound_search_opENS8_6detail16wrapped_functionINS0_4lessIvEEbEEEE10hipError_tPvRmT1_T2_T3_mmT4_T5_P12ihipStream_tbEUlRKyE_EESL_SP_SQ_mSR_SU_bEUlT_E_NS1_11comp_targetILNS1_3genE0ELNS1_11target_archE4294967295ELNS1_3gpuE0ELNS1_3repE0EEENS1_30default_config_static_selectorELNS0_4arch9wavefront6targetE0EEEvSO_,@function
_ZN7rocprim17ROCPRIM_400000_NS6detail17trampoline_kernelINS0_14default_configENS1_27upper_bound_config_selectorIylEEZNS1_14transform_implILb0ES3_S5_N6thrust23THRUST_200600_302600_NS17counting_iteratorIyNS8_11use_defaultESA_SA_EEPlZNS1_13binary_searchIS3_S5_PySB_SC_NS1_21upper_bound_search_opENS8_6detail16wrapped_functionINS0_4lessIvEEbEEEE10hipError_tPvRmT1_T2_T3_mmT4_T5_P12ihipStream_tbEUlRKyE_EESL_SP_SQ_mSR_SU_bEUlT_E_NS1_11comp_targetILNS1_3genE0ELNS1_11target_archE4294967295ELNS1_3gpuE0ELNS1_3repE0EEENS1_30default_config_static_selectorELNS0_4arch9wavefront6targetE0EEEvSO_: ; @_ZN7rocprim17ROCPRIM_400000_NS6detail17trampoline_kernelINS0_14default_configENS1_27upper_bound_config_selectorIylEEZNS1_14transform_implILb0ES3_S5_N6thrust23THRUST_200600_302600_NS17counting_iteratorIyNS8_11use_defaultESA_SA_EEPlZNS1_13binary_searchIS3_S5_PySB_SC_NS1_21upper_bound_search_opENS8_6detail16wrapped_functionINS0_4lessIvEEbEEEE10hipError_tPvRmT1_T2_T3_mmT4_T5_P12ihipStream_tbEUlRKyE_EESL_SP_SQ_mSR_SU_bEUlT_E_NS1_11comp_targetILNS1_3genE0ELNS1_11target_archE4294967295ELNS1_3gpuE0ELNS1_3repE0EEENS1_30default_config_static_selectorELNS0_4arch9wavefront6targetE0EEEvSO_
; %bb.0:
	.section	.rodata,"a",@progbits
	.p2align	6, 0x0
	.amdhsa_kernel _ZN7rocprim17ROCPRIM_400000_NS6detail17trampoline_kernelINS0_14default_configENS1_27upper_bound_config_selectorIylEEZNS1_14transform_implILb0ES3_S5_N6thrust23THRUST_200600_302600_NS17counting_iteratorIyNS8_11use_defaultESA_SA_EEPlZNS1_13binary_searchIS3_S5_PySB_SC_NS1_21upper_bound_search_opENS8_6detail16wrapped_functionINS0_4lessIvEEbEEEE10hipError_tPvRmT1_T2_T3_mmT4_T5_P12ihipStream_tbEUlRKyE_EESL_SP_SQ_mSR_SU_bEUlT_E_NS1_11comp_targetILNS1_3genE0ELNS1_11target_archE4294967295ELNS1_3gpuE0ELNS1_3repE0EEENS1_30default_config_static_selectorELNS0_4arch9wavefront6targetE0EEEvSO_
		.amdhsa_group_segment_fixed_size 0
		.amdhsa_private_segment_fixed_size 0
		.amdhsa_kernarg_size 56
		.amdhsa_user_sgpr_count 15
		.amdhsa_user_sgpr_dispatch_ptr 0
		.amdhsa_user_sgpr_queue_ptr 0
		.amdhsa_user_sgpr_kernarg_segment_ptr 1
		.amdhsa_user_sgpr_dispatch_id 0
		.amdhsa_user_sgpr_private_segment_size 0
		.amdhsa_wavefront_size32 1
		.amdhsa_uses_dynamic_stack 0
		.amdhsa_enable_private_segment 0
		.amdhsa_system_sgpr_workgroup_id_x 1
		.amdhsa_system_sgpr_workgroup_id_y 0
		.amdhsa_system_sgpr_workgroup_id_z 0
		.amdhsa_system_sgpr_workgroup_info 0
		.amdhsa_system_vgpr_workitem_id 0
		.amdhsa_next_free_vgpr 1
		.amdhsa_next_free_sgpr 1
		.amdhsa_reserve_vcc 0
		.amdhsa_float_round_mode_32 0
		.amdhsa_float_round_mode_16_64 0
		.amdhsa_float_denorm_mode_32 3
		.amdhsa_float_denorm_mode_16_64 3
		.amdhsa_dx10_clamp 1
		.amdhsa_ieee_mode 1
		.amdhsa_fp16_overflow 0
		.amdhsa_workgroup_processor_mode 1
		.amdhsa_memory_ordered 1
		.amdhsa_forward_progress 0
		.amdhsa_shared_vgpr_count 0
		.amdhsa_exception_fp_ieee_invalid_op 0
		.amdhsa_exception_fp_denorm_src 0
		.amdhsa_exception_fp_ieee_div_zero 0
		.amdhsa_exception_fp_ieee_overflow 0
		.amdhsa_exception_fp_ieee_underflow 0
		.amdhsa_exception_fp_ieee_inexact 0
		.amdhsa_exception_int_div_zero 0
	.end_amdhsa_kernel
	.section	.text._ZN7rocprim17ROCPRIM_400000_NS6detail17trampoline_kernelINS0_14default_configENS1_27upper_bound_config_selectorIylEEZNS1_14transform_implILb0ES3_S5_N6thrust23THRUST_200600_302600_NS17counting_iteratorIyNS8_11use_defaultESA_SA_EEPlZNS1_13binary_searchIS3_S5_PySB_SC_NS1_21upper_bound_search_opENS8_6detail16wrapped_functionINS0_4lessIvEEbEEEE10hipError_tPvRmT1_T2_T3_mmT4_T5_P12ihipStream_tbEUlRKyE_EESL_SP_SQ_mSR_SU_bEUlT_E_NS1_11comp_targetILNS1_3genE0ELNS1_11target_archE4294967295ELNS1_3gpuE0ELNS1_3repE0EEENS1_30default_config_static_selectorELNS0_4arch9wavefront6targetE0EEEvSO_,"axG",@progbits,_ZN7rocprim17ROCPRIM_400000_NS6detail17trampoline_kernelINS0_14default_configENS1_27upper_bound_config_selectorIylEEZNS1_14transform_implILb0ES3_S5_N6thrust23THRUST_200600_302600_NS17counting_iteratorIyNS8_11use_defaultESA_SA_EEPlZNS1_13binary_searchIS3_S5_PySB_SC_NS1_21upper_bound_search_opENS8_6detail16wrapped_functionINS0_4lessIvEEbEEEE10hipError_tPvRmT1_T2_T3_mmT4_T5_P12ihipStream_tbEUlRKyE_EESL_SP_SQ_mSR_SU_bEUlT_E_NS1_11comp_targetILNS1_3genE0ELNS1_11target_archE4294967295ELNS1_3gpuE0ELNS1_3repE0EEENS1_30default_config_static_selectorELNS0_4arch9wavefront6targetE0EEEvSO_,comdat
.Lfunc_end109:
	.size	_ZN7rocprim17ROCPRIM_400000_NS6detail17trampoline_kernelINS0_14default_configENS1_27upper_bound_config_selectorIylEEZNS1_14transform_implILb0ES3_S5_N6thrust23THRUST_200600_302600_NS17counting_iteratorIyNS8_11use_defaultESA_SA_EEPlZNS1_13binary_searchIS3_S5_PySB_SC_NS1_21upper_bound_search_opENS8_6detail16wrapped_functionINS0_4lessIvEEbEEEE10hipError_tPvRmT1_T2_T3_mmT4_T5_P12ihipStream_tbEUlRKyE_EESL_SP_SQ_mSR_SU_bEUlT_E_NS1_11comp_targetILNS1_3genE0ELNS1_11target_archE4294967295ELNS1_3gpuE0ELNS1_3repE0EEENS1_30default_config_static_selectorELNS0_4arch9wavefront6targetE0EEEvSO_, .Lfunc_end109-_ZN7rocprim17ROCPRIM_400000_NS6detail17trampoline_kernelINS0_14default_configENS1_27upper_bound_config_selectorIylEEZNS1_14transform_implILb0ES3_S5_N6thrust23THRUST_200600_302600_NS17counting_iteratorIyNS8_11use_defaultESA_SA_EEPlZNS1_13binary_searchIS3_S5_PySB_SC_NS1_21upper_bound_search_opENS8_6detail16wrapped_functionINS0_4lessIvEEbEEEE10hipError_tPvRmT1_T2_T3_mmT4_T5_P12ihipStream_tbEUlRKyE_EESL_SP_SQ_mSR_SU_bEUlT_E_NS1_11comp_targetILNS1_3genE0ELNS1_11target_archE4294967295ELNS1_3gpuE0ELNS1_3repE0EEENS1_30default_config_static_selectorELNS0_4arch9wavefront6targetE0EEEvSO_
                                        ; -- End function
	.section	.AMDGPU.csdata,"",@progbits
; Kernel info:
; codeLenInByte = 0
; NumSgprs: 0
; NumVgprs: 0
; ScratchSize: 0
; MemoryBound: 0
; FloatMode: 240
; IeeeMode: 1
; LDSByteSize: 0 bytes/workgroup (compile time only)
; SGPRBlocks: 0
; VGPRBlocks: 0
; NumSGPRsForWavesPerEU: 1
; NumVGPRsForWavesPerEU: 1
; Occupancy: 16
; WaveLimiterHint : 0
; COMPUTE_PGM_RSRC2:SCRATCH_EN: 0
; COMPUTE_PGM_RSRC2:USER_SGPR: 15
; COMPUTE_PGM_RSRC2:TRAP_HANDLER: 0
; COMPUTE_PGM_RSRC2:TGID_X_EN: 1
; COMPUTE_PGM_RSRC2:TGID_Y_EN: 0
; COMPUTE_PGM_RSRC2:TGID_Z_EN: 0
; COMPUTE_PGM_RSRC2:TIDIG_COMP_CNT: 0
	.section	.text._ZN7rocprim17ROCPRIM_400000_NS6detail17trampoline_kernelINS0_14default_configENS1_27upper_bound_config_selectorIylEEZNS1_14transform_implILb0ES3_S5_N6thrust23THRUST_200600_302600_NS17counting_iteratorIyNS8_11use_defaultESA_SA_EEPlZNS1_13binary_searchIS3_S5_PySB_SC_NS1_21upper_bound_search_opENS8_6detail16wrapped_functionINS0_4lessIvEEbEEEE10hipError_tPvRmT1_T2_T3_mmT4_T5_P12ihipStream_tbEUlRKyE_EESL_SP_SQ_mSR_SU_bEUlT_E_NS1_11comp_targetILNS1_3genE5ELNS1_11target_archE942ELNS1_3gpuE9ELNS1_3repE0EEENS1_30default_config_static_selectorELNS0_4arch9wavefront6targetE0EEEvSO_,"axG",@progbits,_ZN7rocprim17ROCPRIM_400000_NS6detail17trampoline_kernelINS0_14default_configENS1_27upper_bound_config_selectorIylEEZNS1_14transform_implILb0ES3_S5_N6thrust23THRUST_200600_302600_NS17counting_iteratorIyNS8_11use_defaultESA_SA_EEPlZNS1_13binary_searchIS3_S5_PySB_SC_NS1_21upper_bound_search_opENS8_6detail16wrapped_functionINS0_4lessIvEEbEEEE10hipError_tPvRmT1_T2_T3_mmT4_T5_P12ihipStream_tbEUlRKyE_EESL_SP_SQ_mSR_SU_bEUlT_E_NS1_11comp_targetILNS1_3genE5ELNS1_11target_archE942ELNS1_3gpuE9ELNS1_3repE0EEENS1_30default_config_static_selectorELNS0_4arch9wavefront6targetE0EEEvSO_,comdat
	.protected	_ZN7rocprim17ROCPRIM_400000_NS6detail17trampoline_kernelINS0_14default_configENS1_27upper_bound_config_selectorIylEEZNS1_14transform_implILb0ES3_S5_N6thrust23THRUST_200600_302600_NS17counting_iteratorIyNS8_11use_defaultESA_SA_EEPlZNS1_13binary_searchIS3_S5_PySB_SC_NS1_21upper_bound_search_opENS8_6detail16wrapped_functionINS0_4lessIvEEbEEEE10hipError_tPvRmT1_T2_T3_mmT4_T5_P12ihipStream_tbEUlRKyE_EESL_SP_SQ_mSR_SU_bEUlT_E_NS1_11comp_targetILNS1_3genE5ELNS1_11target_archE942ELNS1_3gpuE9ELNS1_3repE0EEENS1_30default_config_static_selectorELNS0_4arch9wavefront6targetE0EEEvSO_ ; -- Begin function _ZN7rocprim17ROCPRIM_400000_NS6detail17trampoline_kernelINS0_14default_configENS1_27upper_bound_config_selectorIylEEZNS1_14transform_implILb0ES3_S5_N6thrust23THRUST_200600_302600_NS17counting_iteratorIyNS8_11use_defaultESA_SA_EEPlZNS1_13binary_searchIS3_S5_PySB_SC_NS1_21upper_bound_search_opENS8_6detail16wrapped_functionINS0_4lessIvEEbEEEE10hipError_tPvRmT1_T2_T3_mmT4_T5_P12ihipStream_tbEUlRKyE_EESL_SP_SQ_mSR_SU_bEUlT_E_NS1_11comp_targetILNS1_3genE5ELNS1_11target_archE942ELNS1_3gpuE9ELNS1_3repE0EEENS1_30default_config_static_selectorELNS0_4arch9wavefront6targetE0EEEvSO_
	.globl	_ZN7rocprim17ROCPRIM_400000_NS6detail17trampoline_kernelINS0_14default_configENS1_27upper_bound_config_selectorIylEEZNS1_14transform_implILb0ES3_S5_N6thrust23THRUST_200600_302600_NS17counting_iteratorIyNS8_11use_defaultESA_SA_EEPlZNS1_13binary_searchIS3_S5_PySB_SC_NS1_21upper_bound_search_opENS8_6detail16wrapped_functionINS0_4lessIvEEbEEEE10hipError_tPvRmT1_T2_T3_mmT4_T5_P12ihipStream_tbEUlRKyE_EESL_SP_SQ_mSR_SU_bEUlT_E_NS1_11comp_targetILNS1_3genE5ELNS1_11target_archE942ELNS1_3gpuE9ELNS1_3repE0EEENS1_30default_config_static_selectorELNS0_4arch9wavefront6targetE0EEEvSO_
	.p2align	8
	.type	_ZN7rocprim17ROCPRIM_400000_NS6detail17trampoline_kernelINS0_14default_configENS1_27upper_bound_config_selectorIylEEZNS1_14transform_implILb0ES3_S5_N6thrust23THRUST_200600_302600_NS17counting_iteratorIyNS8_11use_defaultESA_SA_EEPlZNS1_13binary_searchIS3_S5_PySB_SC_NS1_21upper_bound_search_opENS8_6detail16wrapped_functionINS0_4lessIvEEbEEEE10hipError_tPvRmT1_T2_T3_mmT4_T5_P12ihipStream_tbEUlRKyE_EESL_SP_SQ_mSR_SU_bEUlT_E_NS1_11comp_targetILNS1_3genE5ELNS1_11target_archE942ELNS1_3gpuE9ELNS1_3repE0EEENS1_30default_config_static_selectorELNS0_4arch9wavefront6targetE0EEEvSO_,@function
_ZN7rocprim17ROCPRIM_400000_NS6detail17trampoline_kernelINS0_14default_configENS1_27upper_bound_config_selectorIylEEZNS1_14transform_implILb0ES3_S5_N6thrust23THRUST_200600_302600_NS17counting_iteratorIyNS8_11use_defaultESA_SA_EEPlZNS1_13binary_searchIS3_S5_PySB_SC_NS1_21upper_bound_search_opENS8_6detail16wrapped_functionINS0_4lessIvEEbEEEE10hipError_tPvRmT1_T2_T3_mmT4_T5_P12ihipStream_tbEUlRKyE_EESL_SP_SQ_mSR_SU_bEUlT_E_NS1_11comp_targetILNS1_3genE5ELNS1_11target_archE942ELNS1_3gpuE9ELNS1_3repE0EEENS1_30default_config_static_selectorELNS0_4arch9wavefront6targetE0EEEvSO_: ; @_ZN7rocprim17ROCPRIM_400000_NS6detail17trampoline_kernelINS0_14default_configENS1_27upper_bound_config_selectorIylEEZNS1_14transform_implILb0ES3_S5_N6thrust23THRUST_200600_302600_NS17counting_iteratorIyNS8_11use_defaultESA_SA_EEPlZNS1_13binary_searchIS3_S5_PySB_SC_NS1_21upper_bound_search_opENS8_6detail16wrapped_functionINS0_4lessIvEEbEEEE10hipError_tPvRmT1_T2_T3_mmT4_T5_P12ihipStream_tbEUlRKyE_EESL_SP_SQ_mSR_SU_bEUlT_E_NS1_11comp_targetILNS1_3genE5ELNS1_11target_archE942ELNS1_3gpuE9ELNS1_3repE0EEENS1_30default_config_static_selectorELNS0_4arch9wavefront6targetE0EEEvSO_
; %bb.0:
	.section	.rodata,"a",@progbits
	.p2align	6, 0x0
	.amdhsa_kernel _ZN7rocprim17ROCPRIM_400000_NS6detail17trampoline_kernelINS0_14default_configENS1_27upper_bound_config_selectorIylEEZNS1_14transform_implILb0ES3_S5_N6thrust23THRUST_200600_302600_NS17counting_iteratorIyNS8_11use_defaultESA_SA_EEPlZNS1_13binary_searchIS3_S5_PySB_SC_NS1_21upper_bound_search_opENS8_6detail16wrapped_functionINS0_4lessIvEEbEEEE10hipError_tPvRmT1_T2_T3_mmT4_T5_P12ihipStream_tbEUlRKyE_EESL_SP_SQ_mSR_SU_bEUlT_E_NS1_11comp_targetILNS1_3genE5ELNS1_11target_archE942ELNS1_3gpuE9ELNS1_3repE0EEENS1_30default_config_static_selectorELNS0_4arch9wavefront6targetE0EEEvSO_
		.amdhsa_group_segment_fixed_size 0
		.amdhsa_private_segment_fixed_size 0
		.amdhsa_kernarg_size 56
		.amdhsa_user_sgpr_count 15
		.amdhsa_user_sgpr_dispatch_ptr 0
		.amdhsa_user_sgpr_queue_ptr 0
		.amdhsa_user_sgpr_kernarg_segment_ptr 1
		.amdhsa_user_sgpr_dispatch_id 0
		.amdhsa_user_sgpr_private_segment_size 0
		.amdhsa_wavefront_size32 1
		.amdhsa_uses_dynamic_stack 0
		.amdhsa_enable_private_segment 0
		.amdhsa_system_sgpr_workgroup_id_x 1
		.amdhsa_system_sgpr_workgroup_id_y 0
		.amdhsa_system_sgpr_workgroup_id_z 0
		.amdhsa_system_sgpr_workgroup_info 0
		.amdhsa_system_vgpr_workitem_id 0
		.amdhsa_next_free_vgpr 1
		.amdhsa_next_free_sgpr 1
		.amdhsa_reserve_vcc 0
		.amdhsa_float_round_mode_32 0
		.amdhsa_float_round_mode_16_64 0
		.amdhsa_float_denorm_mode_32 3
		.amdhsa_float_denorm_mode_16_64 3
		.amdhsa_dx10_clamp 1
		.amdhsa_ieee_mode 1
		.amdhsa_fp16_overflow 0
		.amdhsa_workgroup_processor_mode 1
		.amdhsa_memory_ordered 1
		.amdhsa_forward_progress 0
		.amdhsa_shared_vgpr_count 0
		.amdhsa_exception_fp_ieee_invalid_op 0
		.amdhsa_exception_fp_denorm_src 0
		.amdhsa_exception_fp_ieee_div_zero 0
		.amdhsa_exception_fp_ieee_overflow 0
		.amdhsa_exception_fp_ieee_underflow 0
		.amdhsa_exception_fp_ieee_inexact 0
		.amdhsa_exception_int_div_zero 0
	.end_amdhsa_kernel
	.section	.text._ZN7rocprim17ROCPRIM_400000_NS6detail17trampoline_kernelINS0_14default_configENS1_27upper_bound_config_selectorIylEEZNS1_14transform_implILb0ES3_S5_N6thrust23THRUST_200600_302600_NS17counting_iteratorIyNS8_11use_defaultESA_SA_EEPlZNS1_13binary_searchIS3_S5_PySB_SC_NS1_21upper_bound_search_opENS8_6detail16wrapped_functionINS0_4lessIvEEbEEEE10hipError_tPvRmT1_T2_T3_mmT4_T5_P12ihipStream_tbEUlRKyE_EESL_SP_SQ_mSR_SU_bEUlT_E_NS1_11comp_targetILNS1_3genE5ELNS1_11target_archE942ELNS1_3gpuE9ELNS1_3repE0EEENS1_30default_config_static_selectorELNS0_4arch9wavefront6targetE0EEEvSO_,"axG",@progbits,_ZN7rocprim17ROCPRIM_400000_NS6detail17trampoline_kernelINS0_14default_configENS1_27upper_bound_config_selectorIylEEZNS1_14transform_implILb0ES3_S5_N6thrust23THRUST_200600_302600_NS17counting_iteratorIyNS8_11use_defaultESA_SA_EEPlZNS1_13binary_searchIS3_S5_PySB_SC_NS1_21upper_bound_search_opENS8_6detail16wrapped_functionINS0_4lessIvEEbEEEE10hipError_tPvRmT1_T2_T3_mmT4_T5_P12ihipStream_tbEUlRKyE_EESL_SP_SQ_mSR_SU_bEUlT_E_NS1_11comp_targetILNS1_3genE5ELNS1_11target_archE942ELNS1_3gpuE9ELNS1_3repE0EEENS1_30default_config_static_selectorELNS0_4arch9wavefront6targetE0EEEvSO_,comdat
.Lfunc_end110:
	.size	_ZN7rocprim17ROCPRIM_400000_NS6detail17trampoline_kernelINS0_14default_configENS1_27upper_bound_config_selectorIylEEZNS1_14transform_implILb0ES3_S5_N6thrust23THRUST_200600_302600_NS17counting_iteratorIyNS8_11use_defaultESA_SA_EEPlZNS1_13binary_searchIS3_S5_PySB_SC_NS1_21upper_bound_search_opENS8_6detail16wrapped_functionINS0_4lessIvEEbEEEE10hipError_tPvRmT1_T2_T3_mmT4_T5_P12ihipStream_tbEUlRKyE_EESL_SP_SQ_mSR_SU_bEUlT_E_NS1_11comp_targetILNS1_3genE5ELNS1_11target_archE942ELNS1_3gpuE9ELNS1_3repE0EEENS1_30default_config_static_selectorELNS0_4arch9wavefront6targetE0EEEvSO_, .Lfunc_end110-_ZN7rocprim17ROCPRIM_400000_NS6detail17trampoline_kernelINS0_14default_configENS1_27upper_bound_config_selectorIylEEZNS1_14transform_implILb0ES3_S5_N6thrust23THRUST_200600_302600_NS17counting_iteratorIyNS8_11use_defaultESA_SA_EEPlZNS1_13binary_searchIS3_S5_PySB_SC_NS1_21upper_bound_search_opENS8_6detail16wrapped_functionINS0_4lessIvEEbEEEE10hipError_tPvRmT1_T2_T3_mmT4_T5_P12ihipStream_tbEUlRKyE_EESL_SP_SQ_mSR_SU_bEUlT_E_NS1_11comp_targetILNS1_3genE5ELNS1_11target_archE942ELNS1_3gpuE9ELNS1_3repE0EEENS1_30default_config_static_selectorELNS0_4arch9wavefront6targetE0EEEvSO_
                                        ; -- End function
	.section	.AMDGPU.csdata,"",@progbits
; Kernel info:
; codeLenInByte = 0
; NumSgprs: 0
; NumVgprs: 0
; ScratchSize: 0
; MemoryBound: 0
; FloatMode: 240
; IeeeMode: 1
; LDSByteSize: 0 bytes/workgroup (compile time only)
; SGPRBlocks: 0
; VGPRBlocks: 0
; NumSGPRsForWavesPerEU: 1
; NumVGPRsForWavesPerEU: 1
; Occupancy: 16
; WaveLimiterHint : 0
; COMPUTE_PGM_RSRC2:SCRATCH_EN: 0
; COMPUTE_PGM_RSRC2:USER_SGPR: 15
; COMPUTE_PGM_RSRC2:TRAP_HANDLER: 0
; COMPUTE_PGM_RSRC2:TGID_X_EN: 1
; COMPUTE_PGM_RSRC2:TGID_Y_EN: 0
; COMPUTE_PGM_RSRC2:TGID_Z_EN: 0
; COMPUTE_PGM_RSRC2:TIDIG_COMP_CNT: 0
	.section	.text._ZN7rocprim17ROCPRIM_400000_NS6detail17trampoline_kernelINS0_14default_configENS1_27upper_bound_config_selectorIylEEZNS1_14transform_implILb0ES3_S5_N6thrust23THRUST_200600_302600_NS17counting_iteratorIyNS8_11use_defaultESA_SA_EEPlZNS1_13binary_searchIS3_S5_PySB_SC_NS1_21upper_bound_search_opENS8_6detail16wrapped_functionINS0_4lessIvEEbEEEE10hipError_tPvRmT1_T2_T3_mmT4_T5_P12ihipStream_tbEUlRKyE_EESL_SP_SQ_mSR_SU_bEUlT_E_NS1_11comp_targetILNS1_3genE4ELNS1_11target_archE910ELNS1_3gpuE8ELNS1_3repE0EEENS1_30default_config_static_selectorELNS0_4arch9wavefront6targetE0EEEvSO_,"axG",@progbits,_ZN7rocprim17ROCPRIM_400000_NS6detail17trampoline_kernelINS0_14default_configENS1_27upper_bound_config_selectorIylEEZNS1_14transform_implILb0ES3_S5_N6thrust23THRUST_200600_302600_NS17counting_iteratorIyNS8_11use_defaultESA_SA_EEPlZNS1_13binary_searchIS3_S5_PySB_SC_NS1_21upper_bound_search_opENS8_6detail16wrapped_functionINS0_4lessIvEEbEEEE10hipError_tPvRmT1_T2_T3_mmT4_T5_P12ihipStream_tbEUlRKyE_EESL_SP_SQ_mSR_SU_bEUlT_E_NS1_11comp_targetILNS1_3genE4ELNS1_11target_archE910ELNS1_3gpuE8ELNS1_3repE0EEENS1_30default_config_static_selectorELNS0_4arch9wavefront6targetE0EEEvSO_,comdat
	.protected	_ZN7rocprim17ROCPRIM_400000_NS6detail17trampoline_kernelINS0_14default_configENS1_27upper_bound_config_selectorIylEEZNS1_14transform_implILb0ES3_S5_N6thrust23THRUST_200600_302600_NS17counting_iteratorIyNS8_11use_defaultESA_SA_EEPlZNS1_13binary_searchIS3_S5_PySB_SC_NS1_21upper_bound_search_opENS8_6detail16wrapped_functionINS0_4lessIvEEbEEEE10hipError_tPvRmT1_T2_T3_mmT4_T5_P12ihipStream_tbEUlRKyE_EESL_SP_SQ_mSR_SU_bEUlT_E_NS1_11comp_targetILNS1_3genE4ELNS1_11target_archE910ELNS1_3gpuE8ELNS1_3repE0EEENS1_30default_config_static_selectorELNS0_4arch9wavefront6targetE0EEEvSO_ ; -- Begin function _ZN7rocprim17ROCPRIM_400000_NS6detail17trampoline_kernelINS0_14default_configENS1_27upper_bound_config_selectorIylEEZNS1_14transform_implILb0ES3_S5_N6thrust23THRUST_200600_302600_NS17counting_iteratorIyNS8_11use_defaultESA_SA_EEPlZNS1_13binary_searchIS3_S5_PySB_SC_NS1_21upper_bound_search_opENS8_6detail16wrapped_functionINS0_4lessIvEEbEEEE10hipError_tPvRmT1_T2_T3_mmT4_T5_P12ihipStream_tbEUlRKyE_EESL_SP_SQ_mSR_SU_bEUlT_E_NS1_11comp_targetILNS1_3genE4ELNS1_11target_archE910ELNS1_3gpuE8ELNS1_3repE0EEENS1_30default_config_static_selectorELNS0_4arch9wavefront6targetE0EEEvSO_
	.globl	_ZN7rocprim17ROCPRIM_400000_NS6detail17trampoline_kernelINS0_14default_configENS1_27upper_bound_config_selectorIylEEZNS1_14transform_implILb0ES3_S5_N6thrust23THRUST_200600_302600_NS17counting_iteratorIyNS8_11use_defaultESA_SA_EEPlZNS1_13binary_searchIS3_S5_PySB_SC_NS1_21upper_bound_search_opENS8_6detail16wrapped_functionINS0_4lessIvEEbEEEE10hipError_tPvRmT1_T2_T3_mmT4_T5_P12ihipStream_tbEUlRKyE_EESL_SP_SQ_mSR_SU_bEUlT_E_NS1_11comp_targetILNS1_3genE4ELNS1_11target_archE910ELNS1_3gpuE8ELNS1_3repE0EEENS1_30default_config_static_selectorELNS0_4arch9wavefront6targetE0EEEvSO_
	.p2align	8
	.type	_ZN7rocprim17ROCPRIM_400000_NS6detail17trampoline_kernelINS0_14default_configENS1_27upper_bound_config_selectorIylEEZNS1_14transform_implILb0ES3_S5_N6thrust23THRUST_200600_302600_NS17counting_iteratorIyNS8_11use_defaultESA_SA_EEPlZNS1_13binary_searchIS3_S5_PySB_SC_NS1_21upper_bound_search_opENS8_6detail16wrapped_functionINS0_4lessIvEEbEEEE10hipError_tPvRmT1_T2_T3_mmT4_T5_P12ihipStream_tbEUlRKyE_EESL_SP_SQ_mSR_SU_bEUlT_E_NS1_11comp_targetILNS1_3genE4ELNS1_11target_archE910ELNS1_3gpuE8ELNS1_3repE0EEENS1_30default_config_static_selectorELNS0_4arch9wavefront6targetE0EEEvSO_,@function
_ZN7rocprim17ROCPRIM_400000_NS6detail17trampoline_kernelINS0_14default_configENS1_27upper_bound_config_selectorIylEEZNS1_14transform_implILb0ES3_S5_N6thrust23THRUST_200600_302600_NS17counting_iteratorIyNS8_11use_defaultESA_SA_EEPlZNS1_13binary_searchIS3_S5_PySB_SC_NS1_21upper_bound_search_opENS8_6detail16wrapped_functionINS0_4lessIvEEbEEEE10hipError_tPvRmT1_T2_T3_mmT4_T5_P12ihipStream_tbEUlRKyE_EESL_SP_SQ_mSR_SU_bEUlT_E_NS1_11comp_targetILNS1_3genE4ELNS1_11target_archE910ELNS1_3gpuE8ELNS1_3repE0EEENS1_30default_config_static_selectorELNS0_4arch9wavefront6targetE0EEEvSO_: ; @_ZN7rocprim17ROCPRIM_400000_NS6detail17trampoline_kernelINS0_14default_configENS1_27upper_bound_config_selectorIylEEZNS1_14transform_implILb0ES3_S5_N6thrust23THRUST_200600_302600_NS17counting_iteratorIyNS8_11use_defaultESA_SA_EEPlZNS1_13binary_searchIS3_S5_PySB_SC_NS1_21upper_bound_search_opENS8_6detail16wrapped_functionINS0_4lessIvEEbEEEE10hipError_tPvRmT1_T2_T3_mmT4_T5_P12ihipStream_tbEUlRKyE_EESL_SP_SQ_mSR_SU_bEUlT_E_NS1_11comp_targetILNS1_3genE4ELNS1_11target_archE910ELNS1_3gpuE8ELNS1_3repE0EEENS1_30default_config_static_selectorELNS0_4arch9wavefront6targetE0EEEvSO_
; %bb.0:
	.section	.rodata,"a",@progbits
	.p2align	6, 0x0
	.amdhsa_kernel _ZN7rocprim17ROCPRIM_400000_NS6detail17trampoline_kernelINS0_14default_configENS1_27upper_bound_config_selectorIylEEZNS1_14transform_implILb0ES3_S5_N6thrust23THRUST_200600_302600_NS17counting_iteratorIyNS8_11use_defaultESA_SA_EEPlZNS1_13binary_searchIS3_S5_PySB_SC_NS1_21upper_bound_search_opENS8_6detail16wrapped_functionINS0_4lessIvEEbEEEE10hipError_tPvRmT1_T2_T3_mmT4_T5_P12ihipStream_tbEUlRKyE_EESL_SP_SQ_mSR_SU_bEUlT_E_NS1_11comp_targetILNS1_3genE4ELNS1_11target_archE910ELNS1_3gpuE8ELNS1_3repE0EEENS1_30default_config_static_selectorELNS0_4arch9wavefront6targetE0EEEvSO_
		.amdhsa_group_segment_fixed_size 0
		.amdhsa_private_segment_fixed_size 0
		.amdhsa_kernarg_size 56
		.amdhsa_user_sgpr_count 15
		.amdhsa_user_sgpr_dispatch_ptr 0
		.amdhsa_user_sgpr_queue_ptr 0
		.amdhsa_user_sgpr_kernarg_segment_ptr 1
		.amdhsa_user_sgpr_dispatch_id 0
		.amdhsa_user_sgpr_private_segment_size 0
		.amdhsa_wavefront_size32 1
		.amdhsa_uses_dynamic_stack 0
		.amdhsa_enable_private_segment 0
		.amdhsa_system_sgpr_workgroup_id_x 1
		.amdhsa_system_sgpr_workgroup_id_y 0
		.amdhsa_system_sgpr_workgroup_id_z 0
		.amdhsa_system_sgpr_workgroup_info 0
		.amdhsa_system_vgpr_workitem_id 0
		.amdhsa_next_free_vgpr 1
		.amdhsa_next_free_sgpr 1
		.amdhsa_reserve_vcc 0
		.amdhsa_float_round_mode_32 0
		.amdhsa_float_round_mode_16_64 0
		.amdhsa_float_denorm_mode_32 3
		.amdhsa_float_denorm_mode_16_64 3
		.amdhsa_dx10_clamp 1
		.amdhsa_ieee_mode 1
		.amdhsa_fp16_overflow 0
		.amdhsa_workgroup_processor_mode 1
		.amdhsa_memory_ordered 1
		.amdhsa_forward_progress 0
		.amdhsa_shared_vgpr_count 0
		.amdhsa_exception_fp_ieee_invalid_op 0
		.amdhsa_exception_fp_denorm_src 0
		.amdhsa_exception_fp_ieee_div_zero 0
		.amdhsa_exception_fp_ieee_overflow 0
		.amdhsa_exception_fp_ieee_underflow 0
		.amdhsa_exception_fp_ieee_inexact 0
		.amdhsa_exception_int_div_zero 0
	.end_amdhsa_kernel
	.section	.text._ZN7rocprim17ROCPRIM_400000_NS6detail17trampoline_kernelINS0_14default_configENS1_27upper_bound_config_selectorIylEEZNS1_14transform_implILb0ES3_S5_N6thrust23THRUST_200600_302600_NS17counting_iteratorIyNS8_11use_defaultESA_SA_EEPlZNS1_13binary_searchIS3_S5_PySB_SC_NS1_21upper_bound_search_opENS8_6detail16wrapped_functionINS0_4lessIvEEbEEEE10hipError_tPvRmT1_T2_T3_mmT4_T5_P12ihipStream_tbEUlRKyE_EESL_SP_SQ_mSR_SU_bEUlT_E_NS1_11comp_targetILNS1_3genE4ELNS1_11target_archE910ELNS1_3gpuE8ELNS1_3repE0EEENS1_30default_config_static_selectorELNS0_4arch9wavefront6targetE0EEEvSO_,"axG",@progbits,_ZN7rocprim17ROCPRIM_400000_NS6detail17trampoline_kernelINS0_14default_configENS1_27upper_bound_config_selectorIylEEZNS1_14transform_implILb0ES3_S5_N6thrust23THRUST_200600_302600_NS17counting_iteratorIyNS8_11use_defaultESA_SA_EEPlZNS1_13binary_searchIS3_S5_PySB_SC_NS1_21upper_bound_search_opENS8_6detail16wrapped_functionINS0_4lessIvEEbEEEE10hipError_tPvRmT1_T2_T3_mmT4_T5_P12ihipStream_tbEUlRKyE_EESL_SP_SQ_mSR_SU_bEUlT_E_NS1_11comp_targetILNS1_3genE4ELNS1_11target_archE910ELNS1_3gpuE8ELNS1_3repE0EEENS1_30default_config_static_selectorELNS0_4arch9wavefront6targetE0EEEvSO_,comdat
.Lfunc_end111:
	.size	_ZN7rocprim17ROCPRIM_400000_NS6detail17trampoline_kernelINS0_14default_configENS1_27upper_bound_config_selectorIylEEZNS1_14transform_implILb0ES3_S5_N6thrust23THRUST_200600_302600_NS17counting_iteratorIyNS8_11use_defaultESA_SA_EEPlZNS1_13binary_searchIS3_S5_PySB_SC_NS1_21upper_bound_search_opENS8_6detail16wrapped_functionINS0_4lessIvEEbEEEE10hipError_tPvRmT1_T2_T3_mmT4_T5_P12ihipStream_tbEUlRKyE_EESL_SP_SQ_mSR_SU_bEUlT_E_NS1_11comp_targetILNS1_3genE4ELNS1_11target_archE910ELNS1_3gpuE8ELNS1_3repE0EEENS1_30default_config_static_selectorELNS0_4arch9wavefront6targetE0EEEvSO_, .Lfunc_end111-_ZN7rocprim17ROCPRIM_400000_NS6detail17trampoline_kernelINS0_14default_configENS1_27upper_bound_config_selectorIylEEZNS1_14transform_implILb0ES3_S5_N6thrust23THRUST_200600_302600_NS17counting_iteratorIyNS8_11use_defaultESA_SA_EEPlZNS1_13binary_searchIS3_S5_PySB_SC_NS1_21upper_bound_search_opENS8_6detail16wrapped_functionINS0_4lessIvEEbEEEE10hipError_tPvRmT1_T2_T3_mmT4_T5_P12ihipStream_tbEUlRKyE_EESL_SP_SQ_mSR_SU_bEUlT_E_NS1_11comp_targetILNS1_3genE4ELNS1_11target_archE910ELNS1_3gpuE8ELNS1_3repE0EEENS1_30default_config_static_selectorELNS0_4arch9wavefront6targetE0EEEvSO_
                                        ; -- End function
	.section	.AMDGPU.csdata,"",@progbits
; Kernel info:
; codeLenInByte = 0
; NumSgprs: 0
; NumVgprs: 0
; ScratchSize: 0
; MemoryBound: 0
; FloatMode: 240
; IeeeMode: 1
; LDSByteSize: 0 bytes/workgroup (compile time only)
; SGPRBlocks: 0
; VGPRBlocks: 0
; NumSGPRsForWavesPerEU: 1
; NumVGPRsForWavesPerEU: 1
; Occupancy: 16
; WaveLimiterHint : 0
; COMPUTE_PGM_RSRC2:SCRATCH_EN: 0
; COMPUTE_PGM_RSRC2:USER_SGPR: 15
; COMPUTE_PGM_RSRC2:TRAP_HANDLER: 0
; COMPUTE_PGM_RSRC2:TGID_X_EN: 1
; COMPUTE_PGM_RSRC2:TGID_Y_EN: 0
; COMPUTE_PGM_RSRC2:TGID_Z_EN: 0
; COMPUTE_PGM_RSRC2:TIDIG_COMP_CNT: 0
	.section	.text._ZN7rocprim17ROCPRIM_400000_NS6detail17trampoline_kernelINS0_14default_configENS1_27upper_bound_config_selectorIylEEZNS1_14transform_implILb0ES3_S5_N6thrust23THRUST_200600_302600_NS17counting_iteratorIyNS8_11use_defaultESA_SA_EEPlZNS1_13binary_searchIS3_S5_PySB_SC_NS1_21upper_bound_search_opENS8_6detail16wrapped_functionINS0_4lessIvEEbEEEE10hipError_tPvRmT1_T2_T3_mmT4_T5_P12ihipStream_tbEUlRKyE_EESL_SP_SQ_mSR_SU_bEUlT_E_NS1_11comp_targetILNS1_3genE3ELNS1_11target_archE908ELNS1_3gpuE7ELNS1_3repE0EEENS1_30default_config_static_selectorELNS0_4arch9wavefront6targetE0EEEvSO_,"axG",@progbits,_ZN7rocprim17ROCPRIM_400000_NS6detail17trampoline_kernelINS0_14default_configENS1_27upper_bound_config_selectorIylEEZNS1_14transform_implILb0ES3_S5_N6thrust23THRUST_200600_302600_NS17counting_iteratorIyNS8_11use_defaultESA_SA_EEPlZNS1_13binary_searchIS3_S5_PySB_SC_NS1_21upper_bound_search_opENS8_6detail16wrapped_functionINS0_4lessIvEEbEEEE10hipError_tPvRmT1_T2_T3_mmT4_T5_P12ihipStream_tbEUlRKyE_EESL_SP_SQ_mSR_SU_bEUlT_E_NS1_11comp_targetILNS1_3genE3ELNS1_11target_archE908ELNS1_3gpuE7ELNS1_3repE0EEENS1_30default_config_static_selectorELNS0_4arch9wavefront6targetE0EEEvSO_,comdat
	.protected	_ZN7rocprim17ROCPRIM_400000_NS6detail17trampoline_kernelINS0_14default_configENS1_27upper_bound_config_selectorIylEEZNS1_14transform_implILb0ES3_S5_N6thrust23THRUST_200600_302600_NS17counting_iteratorIyNS8_11use_defaultESA_SA_EEPlZNS1_13binary_searchIS3_S5_PySB_SC_NS1_21upper_bound_search_opENS8_6detail16wrapped_functionINS0_4lessIvEEbEEEE10hipError_tPvRmT1_T2_T3_mmT4_T5_P12ihipStream_tbEUlRKyE_EESL_SP_SQ_mSR_SU_bEUlT_E_NS1_11comp_targetILNS1_3genE3ELNS1_11target_archE908ELNS1_3gpuE7ELNS1_3repE0EEENS1_30default_config_static_selectorELNS0_4arch9wavefront6targetE0EEEvSO_ ; -- Begin function _ZN7rocprim17ROCPRIM_400000_NS6detail17trampoline_kernelINS0_14default_configENS1_27upper_bound_config_selectorIylEEZNS1_14transform_implILb0ES3_S5_N6thrust23THRUST_200600_302600_NS17counting_iteratorIyNS8_11use_defaultESA_SA_EEPlZNS1_13binary_searchIS3_S5_PySB_SC_NS1_21upper_bound_search_opENS8_6detail16wrapped_functionINS0_4lessIvEEbEEEE10hipError_tPvRmT1_T2_T3_mmT4_T5_P12ihipStream_tbEUlRKyE_EESL_SP_SQ_mSR_SU_bEUlT_E_NS1_11comp_targetILNS1_3genE3ELNS1_11target_archE908ELNS1_3gpuE7ELNS1_3repE0EEENS1_30default_config_static_selectorELNS0_4arch9wavefront6targetE0EEEvSO_
	.globl	_ZN7rocprim17ROCPRIM_400000_NS6detail17trampoline_kernelINS0_14default_configENS1_27upper_bound_config_selectorIylEEZNS1_14transform_implILb0ES3_S5_N6thrust23THRUST_200600_302600_NS17counting_iteratorIyNS8_11use_defaultESA_SA_EEPlZNS1_13binary_searchIS3_S5_PySB_SC_NS1_21upper_bound_search_opENS8_6detail16wrapped_functionINS0_4lessIvEEbEEEE10hipError_tPvRmT1_T2_T3_mmT4_T5_P12ihipStream_tbEUlRKyE_EESL_SP_SQ_mSR_SU_bEUlT_E_NS1_11comp_targetILNS1_3genE3ELNS1_11target_archE908ELNS1_3gpuE7ELNS1_3repE0EEENS1_30default_config_static_selectorELNS0_4arch9wavefront6targetE0EEEvSO_
	.p2align	8
	.type	_ZN7rocprim17ROCPRIM_400000_NS6detail17trampoline_kernelINS0_14default_configENS1_27upper_bound_config_selectorIylEEZNS1_14transform_implILb0ES3_S5_N6thrust23THRUST_200600_302600_NS17counting_iteratorIyNS8_11use_defaultESA_SA_EEPlZNS1_13binary_searchIS3_S5_PySB_SC_NS1_21upper_bound_search_opENS8_6detail16wrapped_functionINS0_4lessIvEEbEEEE10hipError_tPvRmT1_T2_T3_mmT4_T5_P12ihipStream_tbEUlRKyE_EESL_SP_SQ_mSR_SU_bEUlT_E_NS1_11comp_targetILNS1_3genE3ELNS1_11target_archE908ELNS1_3gpuE7ELNS1_3repE0EEENS1_30default_config_static_selectorELNS0_4arch9wavefront6targetE0EEEvSO_,@function
_ZN7rocprim17ROCPRIM_400000_NS6detail17trampoline_kernelINS0_14default_configENS1_27upper_bound_config_selectorIylEEZNS1_14transform_implILb0ES3_S5_N6thrust23THRUST_200600_302600_NS17counting_iteratorIyNS8_11use_defaultESA_SA_EEPlZNS1_13binary_searchIS3_S5_PySB_SC_NS1_21upper_bound_search_opENS8_6detail16wrapped_functionINS0_4lessIvEEbEEEE10hipError_tPvRmT1_T2_T3_mmT4_T5_P12ihipStream_tbEUlRKyE_EESL_SP_SQ_mSR_SU_bEUlT_E_NS1_11comp_targetILNS1_3genE3ELNS1_11target_archE908ELNS1_3gpuE7ELNS1_3repE0EEENS1_30default_config_static_selectorELNS0_4arch9wavefront6targetE0EEEvSO_: ; @_ZN7rocprim17ROCPRIM_400000_NS6detail17trampoline_kernelINS0_14default_configENS1_27upper_bound_config_selectorIylEEZNS1_14transform_implILb0ES3_S5_N6thrust23THRUST_200600_302600_NS17counting_iteratorIyNS8_11use_defaultESA_SA_EEPlZNS1_13binary_searchIS3_S5_PySB_SC_NS1_21upper_bound_search_opENS8_6detail16wrapped_functionINS0_4lessIvEEbEEEE10hipError_tPvRmT1_T2_T3_mmT4_T5_P12ihipStream_tbEUlRKyE_EESL_SP_SQ_mSR_SU_bEUlT_E_NS1_11comp_targetILNS1_3genE3ELNS1_11target_archE908ELNS1_3gpuE7ELNS1_3repE0EEENS1_30default_config_static_selectorELNS0_4arch9wavefront6targetE0EEEvSO_
; %bb.0:
	.section	.rodata,"a",@progbits
	.p2align	6, 0x0
	.amdhsa_kernel _ZN7rocprim17ROCPRIM_400000_NS6detail17trampoline_kernelINS0_14default_configENS1_27upper_bound_config_selectorIylEEZNS1_14transform_implILb0ES3_S5_N6thrust23THRUST_200600_302600_NS17counting_iteratorIyNS8_11use_defaultESA_SA_EEPlZNS1_13binary_searchIS3_S5_PySB_SC_NS1_21upper_bound_search_opENS8_6detail16wrapped_functionINS0_4lessIvEEbEEEE10hipError_tPvRmT1_T2_T3_mmT4_T5_P12ihipStream_tbEUlRKyE_EESL_SP_SQ_mSR_SU_bEUlT_E_NS1_11comp_targetILNS1_3genE3ELNS1_11target_archE908ELNS1_3gpuE7ELNS1_3repE0EEENS1_30default_config_static_selectorELNS0_4arch9wavefront6targetE0EEEvSO_
		.amdhsa_group_segment_fixed_size 0
		.amdhsa_private_segment_fixed_size 0
		.amdhsa_kernarg_size 56
		.amdhsa_user_sgpr_count 15
		.amdhsa_user_sgpr_dispatch_ptr 0
		.amdhsa_user_sgpr_queue_ptr 0
		.amdhsa_user_sgpr_kernarg_segment_ptr 1
		.amdhsa_user_sgpr_dispatch_id 0
		.amdhsa_user_sgpr_private_segment_size 0
		.amdhsa_wavefront_size32 1
		.amdhsa_uses_dynamic_stack 0
		.amdhsa_enable_private_segment 0
		.amdhsa_system_sgpr_workgroup_id_x 1
		.amdhsa_system_sgpr_workgroup_id_y 0
		.amdhsa_system_sgpr_workgroup_id_z 0
		.amdhsa_system_sgpr_workgroup_info 0
		.amdhsa_system_vgpr_workitem_id 0
		.amdhsa_next_free_vgpr 1
		.amdhsa_next_free_sgpr 1
		.amdhsa_reserve_vcc 0
		.amdhsa_float_round_mode_32 0
		.amdhsa_float_round_mode_16_64 0
		.amdhsa_float_denorm_mode_32 3
		.amdhsa_float_denorm_mode_16_64 3
		.amdhsa_dx10_clamp 1
		.amdhsa_ieee_mode 1
		.amdhsa_fp16_overflow 0
		.amdhsa_workgroup_processor_mode 1
		.amdhsa_memory_ordered 1
		.amdhsa_forward_progress 0
		.amdhsa_shared_vgpr_count 0
		.amdhsa_exception_fp_ieee_invalid_op 0
		.amdhsa_exception_fp_denorm_src 0
		.amdhsa_exception_fp_ieee_div_zero 0
		.amdhsa_exception_fp_ieee_overflow 0
		.amdhsa_exception_fp_ieee_underflow 0
		.amdhsa_exception_fp_ieee_inexact 0
		.amdhsa_exception_int_div_zero 0
	.end_amdhsa_kernel
	.section	.text._ZN7rocprim17ROCPRIM_400000_NS6detail17trampoline_kernelINS0_14default_configENS1_27upper_bound_config_selectorIylEEZNS1_14transform_implILb0ES3_S5_N6thrust23THRUST_200600_302600_NS17counting_iteratorIyNS8_11use_defaultESA_SA_EEPlZNS1_13binary_searchIS3_S5_PySB_SC_NS1_21upper_bound_search_opENS8_6detail16wrapped_functionINS0_4lessIvEEbEEEE10hipError_tPvRmT1_T2_T3_mmT4_T5_P12ihipStream_tbEUlRKyE_EESL_SP_SQ_mSR_SU_bEUlT_E_NS1_11comp_targetILNS1_3genE3ELNS1_11target_archE908ELNS1_3gpuE7ELNS1_3repE0EEENS1_30default_config_static_selectorELNS0_4arch9wavefront6targetE0EEEvSO_,"axG",@progbits,_ZN7rocprim17ROCPRIM_400000_NS6detail17trampoline_kernelINS0_14default_configENS1_27upper_bound_config_selectorIylEEZNS1_14transform_implILb0ES3_S5_N6thrust23THRUST_200600_302600_NS17counting_iteratorIyNS8_11use_defaultESA_SA_EEPlZNS1_13binary_searchIS3_S5_PySB_SC_NS1_21upper_bound_search_opENS8_6detail16wrapped_functionINS0_4lessIvEEbEEEE10hipError_tPvRmT1_T2_T3_mmT4_T5_P12ihipStream_tbEUlRKyE_EESL_SP_SQ_mSR_SU_bEUlT_E_NS1_11comp_targetILNS1_3genE3ELNS1_11target_archE908ELNS1_3gpuE7ELNS1_3repE0EEENS1_30default_config_static_selectorELNS0_4arch9wavefront6targetE0EEEvSO_,comdat
.Lfunc_end112:
	.size	_ZN7rocprim17ROCPRIM_400000_NS6detail17trampoline_kernelINS0_14default_configENS1_27upper_bound_config_selectorIylEEZNS1_14transform_implILb0ES3_S5_N6thrust23THRUST_200600_302600_NS17counting_iteratorIyNS8_11use_defaultESA_SA_EEPlZNS1_13binary_searchIS3_S5_PySB_SC_NS1_21upper_bound_search_opENS8_6detail16wrapped_functionINS0_4lessIvEEbEEEE10hipError_tPvRmT1_T2_T3_mmT4_T5_P12ihipStream_tbEUlRKyE_EESL_SP_SQ_mSR_SU_bEUlT_E_NS1_11comp_targetILNS1_3genE3ELNS1_11target_archE908ELNS1_3gpuE7ELNS1_3repE0EEENS1_30default_config_static_selectorELNS0_4arch9wavefront6targetE0EEEvSO_, .Lfunc_end112-_ZN7rocprim17ROCPRIM_400000_NS6detail17trampoline_kernelINS0_14default_configENS1_27upper_bound_config_selectorIylEEZNS1_14transform_implILb0ES3_S5_N6thrust23THRUST_200600_302600_NS17counting_iteratorIyNS8_11use_defaultESA_SA_EEPlZNS1_13binary_searchIS3_S5_PySB_SC_NS1_21upper_bound_search_opENS8_6detail16wrapped_functionINS0_4lessIvEEbEEEE10hipError_tPvRmT1_T2_T3_mmT4_T5_P12ihipStream_tbEUlRKyE_EESL_SP_SQ_mSR_SU_bEUlT_E_NS1_11comp_targetILNS1_3genE3ELNS1_11target_archE908ELNS1_3gpuE7ELNS1_3repE0EEENS1_30default_config_static_selectorELNS0_4arch9wavefront6targetE0EEEvSO_
                                        ; -- End function
	.section	.AMDGPU.csdata,"",@progbits
; Kernel info:
; codeLenInByte = 0
; NumSgprs: 0
; NumVgprs: 0
; ScratchSize: 0
; MemoryBound: 0
; FloatMode: 240
; IeeeMode: 1
; LDSByteSize: 0 bytes/workgroup (compile time only)
; SGPRBlocks: 0
; VGPRBlocks: 0
; NumSGPRsForWavesPerEU: 1
; NumVGPRsForWavesPerEU: 1
; Occupancy: 16
; WaveLimiterHint : 0
; COMPUTE_PGM_RSRC2:SCRATCH_EN: 0
; COMPUTE_PGM_RSRC2:USER_SGPR: 15
; COMPUTE_PGM_RSRC2:TRAP_HANDLER: 0
; COMPUTE_PGM_RSRC2:TGID_X_EN: 1
; COMPUTE_PGM_RSRC2:TGID_Y_EN: 0
; COMPUTE_PGM_RSRC2:TGID_Z_EN: 0
; COMPUTE_PGM_RSRC2:TIDIG_COMP_CNT: 0
	.section	.text._ZN7rocprim17ROCPRIM_400000_NS6detail17trampoline_kernelINS0_14default_configENS1_27upper_bound_config_selectorIylEEZNS1_14transform_implILb0ES3_S5_N6thrust23THRUST_200600_302600_NS17counting_iteratorIyNS8_11use_defaultESA_SA_EEPlZNS1_13binary_searchIS3_S5_PySB_SC_NS1_21upper_bound_search_opENS8_6detail16wrapped_functionINS0_4lessIvEEbEEEE10hipError_tPvRmT1_T2_T3_mmT4_T5_P12ihipStream_tbEUlRKyE_EESL_SP_SQ_mSR_SU_bEUlT_E_NS1_11comp_targetILNS1_3genE2ELNS1_11target_archE906ELNS1_3gpuE6ELNS1_3repE0EEENS1_30default_config_static_selectorELNS0_4arch9wavefront6targetE0EEEvSO_,"axG",@progbits,_ZN7rocprim17ROCPRIM_400000_NS6detail17trampoline_kernelINS0_14default_configENS1_27upper_bound_config_selectorIylEEZNS1_14transform_implILb0ES3_S5_N6thrust23THRUST_200600_302600_NS17counting_iteratorIyNS8_11use_defaultESA_SA_EEPlZNS1_13binary_searchIS3_S5_PySB_SC_NS1_21upper_bound_search_opENS8_6detail16wrapped_functionINS0_4lessIvEEbEEEE10hipError_tPvRmT1_T2_T3_mmT4_T5_P12ihipStream_tbEUlRKyE_EESL_SP_SQ_mSR_SU_bEUlT_E_NS1_11comp_targetILNS1_3genE2ELNS1_11target_archE906ELNS1_3gpuE6ELNS1_3repE0EEENS1_30default_config_static_selectorELNS0_4arch9wavefront6targetE0EEEvSO_,comdat
	.protected	_ZN7rocprim17ROCPRIM_400000_NS6detail17trampoline_kernelINS0_14default_configENS1_27upper_bound_config_selectorIylEEZNS1_14transform_implILb0ES3_S5_N6thrust23THRUST_200600_302600_NS17counting_iteratorIyNS8_11use_defaultESA_SA_EEPlZNS1_13binary_searchIS3_S5_PySB_SC_NS1_21upper_bound_search_opENS8_6detail16wrapped_functionINS0_4lessIvEEbEEEE10hipError_tPvRmT1_T2_T3_mmT4_T5_P12ihipStream_tbEUlRKyE_EESL_SP_SQ_mSR_SU_bEUlT_E_NS1_11comp_targetILNS1_3genE2ELNS1_11target_archE906ELNS1_3gpuE6ELNS1_3repE0EEENS1_30default_config_static_selectorELNS0_4arch9wavefront6targetE0EEEvSO_ ; -- Begin function _ZN7rocprim17ROCPRIM_400000_NS6detail17trampoline_kernelINS0_14default_configENS1_27upper_bound_config_selectorIylEEZNS1_14transform_implILb0ES3_S5_N6thrust23THRUST_200600_302600_NS17counting_iteratorIyNS8_11use_defaultESA_SA_EEPlZNS1_13binary_searchIS3_S5_PySB_SC_NS1_21upper_bound_search_opENS8_6detail16wrapped_functionINS0_4lessIvEEbEEEE10hipError_tPvRmT1_T2_T3_mmT4_T5_P12ihipStream_tbEUlRKyE_EESL_SP_SQ_mSR_SU_bEUlT_E_NS1_11comp_targetILNS1_3genE2ELNS1_11target_archE906ELNS1_3gpuE6ELNS1_3repE0EEENS1_30default_config_static_selectorELNS0_4arch9wavefront6targetE0EEEvSO_
	.globl	_ZN7rocprim17ROCPRIM_400000_NS6detail17trampoline_kernelINS0_14default_configENS1_27upper_bound_config_selectorIylEEZNS1_14transform_implILb0ES3_S5_N6thrust23THRUST_200600_302600_NS17counting_iteratorIyNS8_11use_defaultESA_SA_EEPlZNS1_13binary_searchIS3_S5_PySB_SC_NS1_21upper_bound_search_opENS8_6detail16wrapped_functionINS0_4lessIvEEbEEEE10hipError_tPvRmT1_T2_T3_mmT4_T5_P12ihipStream_tbEUlRKyE_EESL_SP_SQ_mSR_SU_bEUlT_E_NS1_11comp_targetILNS1_3genE2ELNS1_11target_archE906ELNS1_3gpuE6ELNS1_3repE0EEENS1_30default_config_static_selectorELNS0_4arch9wavefront6targetE0EEEvSO_
	.p2align	8
	.type	_ZN7rocprim17ROCPRIM_400000_NS6detail17trampoline_kernelINS0_14default_configENS1_27upper_bound_config_selectorIylEEZNS1_14transform_implILb0ES3_S5_N6thrust23THRUST_200600_302600_NS17counting_iteratorIyNS8_11use_defaultESA_SA_EEPlZNS1_13binary_searchIS3_S5_PySB_SC_NS1_21upper_bound_search_opENS8_6detail16wrapped_functionINS0_4lessIvEEbEEEE10hipError_tPvRmT1_T2_T3_mmT4_T5_P12ihipStream_tbEUlRKyE_EESL_SP_SQ_mSR_SU_bEUlT_E_NS1_11comp_targetILNS1_3genE2ELNS1_11target_archE906ELNS1_3gpuE6ELNS1_3repE0EEENS1_30default_config_static_selectorELNS0_4arch9wavefront6targetE0EEEvSO_,@function
_ZN7rocprim17ROCPRIM_400000_NS6detail17trampoline_kernelINS0_14default_configENS1_27upper_bound_config_selectorIylEEZNS1_14transform_implILb0ES3_S5_N6thrust23THRUST_200600_302600_NS17counting_iteratorIyNS8_11use_defaultESA_SA_EEPlZNS1_13binary_searchIS3_S5_PySB_SC_NS1_21upper_bound_search_opENS8_6detail16wrapped_functionINS0_4lessIvEEbEEEE10hipError_tPvRmT1_T2_T3_mmT4_T5_P12ihipStream_tbEUlRKyE_EESL_SP_SQ_mSR_SU_bEUlT_E_NS1_11comp_targetILNS1_3genE2ELNS1_11target_archE906ELNS1_3gpuE6ELNS1_3repE0EEENS1_30default_config_static_selectorELNS0_4arch9wavefront6targetE0EEEvSO_: ; @_ZN7rocprim17ROCPRIM_400000_NS6detail17trampoline_kernelINS0_14default_configENS1_27upper_bound_config_selectorIylEEZNS1_14transform_implILb0ES3_S5_N6thrust23THRUST_200600_302600_NS17counting_iteratorIyNS8_11use_defaultESA_SA_EEPlZNS1_13binary_searchIS3_S5_PySB_SC_NS1_21upper_bound_search_opENS8_6detail16wrapped_functionINS0_4lessIvEEbEEEE10hipError_tPvRmT1_T2_T3_mmT4_T5_P12ihipStream_tbEUlRKyE_EESL_SP_SQ_mSR_SU_bEUlT_E_NS1_11comp_targetILNS1_3genE2ELNS1_11target_archE906ELNS1_3gpuE6ELNS1_3repE0EEENS1_30default_config_static_selectorELNS0_4arch9wavefront6targetE0EEEvSO_
; %bb.0:
	.section	.rodata,"a",@progbits
	.p2align	6, 0x0
	.amdhsa_kernel _ZN7rocprim17ROCPRIM_400000_NS6detail17trampoline_kernelINS0_14default_configENS1_27upper_bound_config_selectorIylEEZNS1_14transform_implILb0ES3_S5_N6thrust23THRUST_200600_302600_NS17counting_iteratorIyNS8_11use_defaultESA_SA_EEPlZNS1_13binary_searchIS3_S5_PySB_SC_NS1_21upper_bound_search_opENS8_6detail16wrapped_functionINS0_4lessIvEEbEEEE10hipError_tPvRmT1_T2_T3_mmT4_T5_P12ihipStream_tbEUlRKyE_EESL_SP_SQ_mSR_SU_bEUlT_E_NS1_11comp_targetILNS1_3genE2ELNS1_11target_archE906ELNS1_3gpuE6ELNS1_3repE0EEENS1_30default_config_static_selectorELNS0_4arch9wavefront6targetE0EEEvSO_
		.amdhsa_group_segment_fixed_size 0
		.amdhsa_private_segment_fixed_size 0
		.amdhsa_kernarg_size 56
		.amdhsa_user_sgpr_count 15
		.amdhsa_user_sgpr_dispatch_ptr 0
		.amdhsa_user_sgpr_queue_ptr 0
		.amdhsa_user_sgpr_kernarg_segment_ptr 1
		.amdhsa_user_sgpr_dispatch_id 0
		.amdhsa_user_sgpr_private_segment_size 0
		.amdhsa_wavefront_size32 1
		.amdhsa_uses_dynamic_stack 0
		.amdhsa_enable_private_segment 0
		.amdhsa_system_sgpr_workgroup_id_x 1
		.amdhsa_system_sgpr_workgroup_id_y 0
		.amdhsa_system_sgpr_workgroup_id_z 0
		.amdhsa_system_sgpr_workgroup_info 0
		.amdhsa_system_vgpr_workitem_id 0
		.amdhsa_next_free_vgpr 1
		.amdhsa_next_free_sgpr 1
		.amdhsa_reserve_vcc 0
		.amdhsa_float_round_mode_32 0
		.amdhsa_float_round_mode_16_64 0
		.amdhsa_float_denorm_mode_32 3
		.amdhsa_float_denorm_mode_16_64 3
		.amdhsa_dx10_clamp 1
		.amdhsa_ieee_mode 1
		.amdhsa_fp16_overflow 0
		.amdhsa_workgroup_processor_mode 1
		.amdhsa_memory_ordered 1
		.amdhsa_forward_progress 0
		.amdhsa_shared_vgpr_count 0
		.amdhsa_exception_fp_ieee_invalid_op 0
		.amdhsa_exception_fp_denorm_src 0
		.amdhsa_exception_fp_ieee_div_zero 0
		.amdhsa_exception_fp_ieee_overflow 0
		.amdhsa_exception_fp_ieee_underflow 0
		.amdhsa_exception_fp_ieee_inexact 0
		.amdhsa_exception_int_div_zero 0
	.end_amdhsa_kernel
	.section	.text._ZN7rocprim17ROCPRIM_400000_NS6detail17trampoline_kernelINS0_14default_configENS1_27upper_bound_config_selectorIylEEZNS1_14transform_implILb0ES3_S5_N6thrust23THRUST_200600_302600_NS17counting_iteratorIyNS8_11use_defaultESA_SA_EEPlZNS1_13binary_searchIS3_S5_PySB_SC_NS1_21upper_bound_search_opENS8_6detail16wrapped_functionINS0_4lessIvEEbEEEE10hipError_tPvRmT1_T2_T3_mmT4_T5_P12ihipStream_tbEUlRKyE_EESL_SP_SQ_mSR_SU_bEUlT_E_NS1_11comp_targetILNS1_3genE2ELNS1_11target_archE906ELNS1_3gpuE6ELNS1_3repE0EEENS1_30default_config_static_selectorELNS0_4arch9wavefront6targetE0EEEvSO_,"axG",@progbits,_ZN7rocprim17ROCPRIM_400000_NS6detail17trampoline_kernelINS0_14default_configENS1_27upper_bound_config_selectorIylEEZNS1_14transform_implILb0ES3_S5_N6thrust23THRUST_200600_302600_NS17counting_iteratorIyNS8_11use_defaultESA_SA_EEPlZNS1_13binary_searchIS3_S5_PySB_SC_NS1_21upper_bound_search_opENS8_6detail16wrapped_functionINS0_4lessIvEEbEEEE10hipError_tPvRmT1_T2_T3_mmT4_T5_P12ihipStream_tbEUlRKyE_EESL_SP_SQ_mSR_SU_bEUlT_E_NS1_11comp_targetILNS1_3genE2ELNS1_11target_archE906ELNS1_3gpuE6ELNS1_3repE0EEENS1_30default_config_static_selectorELNS0_4arch9wavefront6targetE0EEEvSO_,comdat
.Lfunc_end113:
	.size	_ZN7rocprim17ROCPRIM_400000_NS6detail17trampoline_kernelINS0_14default_configENS1_27upper_bound_config_selectorIylEEZNS1_14transform_implILb0ES3_S5_N6thrust23THRUST_200600_302600_NS17counting_iteratorIyNS8_11use_defaultESA_SA_EEPlZNS1_13binary_searchIS3_S5_PySB_SC_NS1_21upper_bound_search_opENS8_6detail16wrapped_functionINS0_4lessIvEEbEEEE10hipError_tPvRmT1_T2_T3_mmT4_T5_P12ihipStream_tbEUlRKyE_EESL_SP_SQ_mSR_SU_bEUlT_E_NS1_11comp_targetILNS1_3genE2ELNS1_11target_archE906ELNS1_3gpuE6ELNS1_3repE0EEENS1_30default_config_static_selectorELNS0_4arch9wavefront6targetE0EEEvSO_, .Lfunc_end113-_ZN7rocprim17ROCPRIM_400000_NS6detail17trampoline_kernelINS0_14default_configENS1_27upper_bound_config_selectorIylEEZNS1_14transform_implILb0ES3_S5_N6thrust23THRUST_200600_302600_NS17counting_iteratorIyNS8_11use_defaultESA_SA_EEPlZNS1_13binary_searchIS3_S5_PySB_SC_NS1_21upper_bound_search_opENS8_6detail16wrapped_functionINS0_4lessIvEEbEEEE10hipError_tPvRmT1_T2_T3_mmT4_T5_P12ihipStream_tbEUlRKyE_EESL_SP_SQ_mSR_SU_bEUlT_E_NS1_11comp_targetILNS1_3genE2ELNS1_11target_archE906ELNS1_3gpuE6ELNS1_3repE0EEENS1_30default_config_static_selectorELNS0_4arch9wavefront6targetE0EEEvSO_
                                        ; -- End function
	.section	.AMDGPU.csdata,"",@progbits
; Kernel info:
; codeLenInByte = 0
; NumSgprs: 0
; NumVgprs: 0
; ScratchSize: 0
; MemoryBound: 0
; FloatMode: 240
; IeeeMode: 1
; LDSByteSize: 0 bytes/workgroup (compile time only)
; SGPRBlocks: 0
; VGPRBlocks: 0
; NumSGPRsForWavesPerEU: 1
; NumVGPRsForWavesPerEU: 1
; Occupancy: 16
; WaveLimiterHint : 0
; COMPUTE_PGM_RSRC2:SCRATCH_EN: 0
; COMPUTE_PGM_RSRC2:USER_SGPR: 15
; COMPUTE_PGM_RSRC2:TRAP_HANDLER: 0
; COMPUTE_PGM_RSRC2:TGID_X_EN: 1
; COMPUTE_PGM_RSRC2:TGID_Y_EN: 0
; COMPUTE_PGM_RSRC2:TGID_Z_EN: 0
; COMPUTE_PGM_RSRC2:TIDIG_COMP_CNT: 0
	.section	.text._ZN7rocprim17ROCPRIM_400000_NS6detail17trampoline_kernelINS0_14default_configENS1_27upper_bound_config_selectorIylEEZNS1_14transform_implILb0ES3_S5_N6thrust23THRUST_200600_302600_NS17counting_iteratorIyNS8_11use_defaultESA_SA_EEPlZNS1_13binary_searchIS3_S5_PySB_SC_NS1_21upper_bound_search_opENS8_6detail16wrapped_functionINS0_4lessIvEEbEEEE10hipError_tPvRmT1_T2_T3_mmT4_T5_P12ihipStream_tbEUlRKyE_EESL_SP_SQ_mSR_SU_bEUlT_E_NS1_11comp_targetILNS1_3genE10ELNS1_11target_archE1201ELNS1_3gpuE5ELNS1_3repE0EEENS1_30default_config_static_selectorELNS0_4arch9wavefront6targetE0EEEvSO_,"axG",@progbits,_ZN7rocprim17ROCPRIM_400000_NS6detail17trampoline_kernelINS0_14default_configENS1_27upper_bound_config_selectorIylEEZNS1_14transform_implILb0ES3_S5_N6thrust23THRUST_200600_302600_NS17counting_iteratorIyNS8_11use_defaultESA_SA_EEPlZNS1_13binary_searchIS3_S5_PySB_SC_NS1_21upper_bound_search_opENS8_6detail16wrapped_functionINS0_4lessIvEEbEEEE10hipError_tPvRmT1_T2_T3_mmT4_T5_P12ihipStream_tbEUlRKyE_EESL_SP_SQ_mSR_SU_bEUlT_E_NS1_11comp_targetILNS1_3genE10ELNS1_11target_archE1201ELNS1_3gpuE5ELNS1_3repE0EEENS1_30default_config_static_selectorELNS0_4arch9wavefront6targetE0EEEvSO_,comdat
	.protected	_ZN7rocprim17ROCPRIM_400000_NS6detail17trampoline_kernelINS0_14default_configENS1_27upper_bound_config_selectorIylEEZNS1_14transform_implILb0ES3_S5_N6thrust23THRUST_200600_302600_NS17counting_iteratorIyNS8_11use_defaultESA_SA_EEPlZNS1_13binary_searchIS3_S5_PySB_SC_NS1_21upper_bound_search_opENS8_6detail16wrapped_functionINS0_4lessIvEEbEEEE10hipError_tPvRmT1_T2_T3_mmT4_T5_P12ihipStream_tbEUlRKyE_EESL_SP_SQ_mSR_SU_bEUlT_E_NS1_11comp_targetILNS1_3genE10ELNS1_11target_archE1201ELNS1_3gpuE5ELNS1_3repE0EEENS1_30default_config_static_selectorELNS0_4arch9wavefront6targetE0EEEvSO_ ; -- Begin function _ZN7rocprim17ROCPRIM_400000_NS6detail17trampoline_kernelINS0_14default_configENS1_27upper_bound_config_selectorIylEEZNS1_14transform_implILb0ES3_S5_N6thrust23THRUST_200600_302600_NS17counting_iteratorIyNS8_11use_defaultESA_SA_EEPlZNS1_13binary_searchIS3_S5_PySB_SC_NS1_21upper_bound_search_opENS8_6detail16wrapped_functionINS0_4lessIvEEbEEEE10hipError_tPvRmT1_T2_T3_mmT4_T5_P12ihipStream_tbEUlRKyE_EESL_SP_SQ_mSR_SU_bEUlT_E_NS1_11comp_targetILNS1_3genE10ELNS1_11target_archE1201ELNS1_3gpuE5ELNS1_3repE0EEENS1_30default_config_static_selectorELNS0_4arch9wavefront6targetE0EEEvSO_
	.globl	_ZN7rocprim17ROCPRIM_400000_NS6detail17trampoline_kernelINS0_14default_configENS1_27upper_bound_config_selectorIylEEZNS1_14transform_implILb0ES3_S5_N6thrust23THRUST_200600_302600_NS17counting_iteratorIyNS8_11use_defaultESA_SA_EEPlZNS1_13binary_searchIS3_S5_PySB_SC_NS1_21upper_bound_search_opENS8_6detail16wrapped_functionINS0_4lessIvEEbEEEE10hipError_tPvRmT1_T2_T3_mmT4_T5_P12ihipStream_tbEUlRKyE_EESL_SP_SQ_mSR_SU_bEUlT_E_NS1_11comp_targetILNS1_3genE10ELNS1_11target_archE1201ELNS1_3gpuE5ELNS1_3repE0EEENS1_30default_config_static_selectorELNS0_4arch9wavefront6targetE0EEEvSO_
	.p2align	8
	.type	_ZN7rocprim17ROCPRIM_400000_NS6detail17trampoline_kernelINS0_14default_configENS1_27upper_bound_config_selectorIylEEZNS1_14transform_implILb0ES3_S5_N6thrust23THRUST_200600_302600_NS17counting_iteratorIyNS8_11use_defaultESA_SA_EEPlZNS1_13binary_searchIS3_S5_PySB_SC_NS1_21upper_bound_search_opENS8_6detail16wrapped_functionINS0_4lessIvEEbEEEE10hipError_tPvRmT1_T2_T3_mmT4_T5_P12ihipStream_tbEUlRKyE_EESL_SP_SQ_mSR_SU_bEUlT_E_NS1_11comp_targetILNS1_3genE10ELNS1_11target_archE1201ELNS1_3gpuE5ELNS1_3repE0EEENS1_30default_config_static_selectorELNS0_4arch9wavefront6targetE0EEEvSO_,@function
_ZN7rocprim17ROCPRIM_400000_NS6detail17trampoline_kernelINS0_14default_configENS1_27upper_bound_config_selectorIylEEZNS1_14transform_implILb0ES3_S5_N6thrust23THRUST_200600_302600_NS17counting_iteratorIyNS8_11use_defaultESA_SA_EEPlZNS1_13binary_searchIS3_S5_PySB_SC_NS1_21upper_bound_search_opENS8_6detail16wrapped_functionINS0_4lessIvEEbEEEE10hipError_tPvRmT1_T2_T3_mmT4_T5_P12ihipStream_tbEUlRKyE_EESL_SP_SQ_mSR_SU_bEUlT_E_NS1_11comp_targetILNS1_3genE10ELNS1_11target_archE1201ELNS1_3gpuE5ELNS1_3repE0EEENS1_30default_config_static_selectorELNS0_4arch9wavefront6targetE0EEEvSO_: ; @_ZN7rocprim17ROCPRIM_400000_NS6detail17trampoline_kernelINS0_14default_configENS1_27upper_bound_config_selectorIylEEZNS1_14transform_implILb0ES3_S5_N6thrust23THRUST_200600_302600_NS17counting_iteratorIyNS8_11use_defaultESA_SA_EEPlZNS1_13binary_searchIS3_S5_PySB_SC_NS1_21upper_bound_search_opENS8_6detail16wrapped_functionINS0_4lessIvEEbEEEE10hipError_tPvRmT1_T2_T3_mmT4_T5_P12ihipStream_tbEUlRKyE_EESL_SP_SQ_mSR_SU_bEUlT_E_NS1_11comp_targetILNS1_3genE10ELNS1_11target_archE1201ELNS1_3gpuE5ELNS1_3repE0EEENS1_30default_config_static_selectorELNS0_4arch9wavefront6targetE0EEEvSO_
; %bb.0:
	.section	.rodata,"a",@progbits
	.p2align	6, 0x0
	.amdhsa_kernel _ZN7rocprim17ROCPRIM_400000_NS6detail17trampoline_kernelINS0_14default_configENS1_27upper_bound_config_selectorIylEEZNS1_14transform_implILb0ES3_S5_N6thrust23THRUST_200600_302600_NS17counting_iteratorIyNS8_11use_defaultESA_SA_EEPlZNS1_13binary_searchIS3_S5_PySB_SC_NS1_21upper_bound_search_opENS8_6detail16wrapped_functionINS0_4lessIvEEbEEEE10hipError_tPvRmT1_T2_T3_mmT4_T5_P12ihipStream_tbEUlRKyE_EESL_SP_SQ_mSR_SU_bEUlT_E_NS1_11comp_targetILNS1_3genE10ELNS1_11target_archE1201ELNS1_3gpuE5ELNS1_3repE0EEENS1_30default_config_static_selectorELNS0_4arch9wavefront6targetE0EEEvSO_
		.amdhsa_group_segment_fixed_size 0
		.amdhsa_private_segment_fixed_size 0
		.amdhsa_kernarg_size 56
		.amdhsa_user_sgpr_count 15
		.amdhsa_user_sgpr_dispatch_ptr 0
		.amdhsa_user_sgpr_queue_ptr 0
		.amdhsa_user_sgpr_kernarg_segment_ptr 1
		.amdhsa_user_sgpr_dispatch_id 0
		.amdhsa_user_sgpr_private_segment_size 0
		.amdhsa_wavefront_size32 1
		.amdhsa_uses_dynamic_stack 0
		.amdhsa_enable_private_segment 0
		.amdhsa_system_sgpr_workgroup_id_x 1
		.amdhsa_system_sgpr_workgroup_id_y 0
		.amdhsa_system_sgpr_workgroup_id_z 0
		.amdhsa_system_sgpr_workgroup_info 0
		.amdhsa_system_vgpr_workitem_id 0
		.amdhsa_next_free_vgpr 1
		.amdhsa_next_free_sgpr 1
		.amdhsa_reserve_vcc 0
		.amdhsa_float_round_mode_32 0
		.amdhsa_float_round_mode_16_64 0
		.amdhsa_float_denorm_mode_32 3
		.amdhsa_float_denorm_mode_16_64 3
		.amdhsa_dx10_clamp 1
		.amdhsa_ieee_mode 1
		.amdhsa_fp16_overflow 0
		.amdhsa_workgroup_processor_mode 1
		.amdhsa_memory_ordered 1
		.amdhsa_forward_progress 0
		.amdhsa_shared_vgpr_count 0
		.amdhsa_exception_fp_ieee_invalid_op 0
		.amdhsa_exception_fp_denorm_src 0
		.amdhsa_exception_fp_ieee_div_zero 0
		.amdhsa_exception_fp_ieee_overflow 0
		.amdhsa_exception_fp_ieee_underflow 0
		.amdhsa_exception_fp_ieee_inexact 0
		.amdhsa_exception_int_div_zero 0
	.end_amdhsa_kernel
	.section	.text._ZN7rocprim17ROCPRIM_400000_NS6detail17trampoline_kernelINS0_14default_configENS1_27upper_bound_config_selectorIylEEZNS1_14transform_implILb0ES3_S5_N6thrust23THRUST_200600_302600_NS17counting_iteratorIyNS8_11use_defaultESA_SA_EEPlZNS1_13binary_searchIS3_S5_PySB_SC_NS1_21upper_bound_search_opENS8_6detail16wrapped_functionINS0_4lessIvEEbEEEE10hipError_tPvRmT1_T2_T3_mmT4_T5_P12ihipStream_tbEUlRKyE_EESL_SP_SQ_mSR_SU_bEUlT_E_NS1_11comp_targetILNS1_3genE10ELNS1_11target_archE1201ELNS1_3gpuE5ELNS1_3repE0EEENS1_30default_config_static_selectorELNS0_4arch9wavefront6targetE0EEEvSO_,"axG",@progbits,_ZN7rocprim17ROCPRIM_400000_NS6detail17trampoline_kernelINS0_14default_configENS1_27upper_bound_config_selectorIylEEZNS1_14transform_implILb0ES3_S5_N6thrust23THRUST_200600_302600_NS17counting_iteratorIyNS8_11use_defaultESA_SA_EEPlZNS1_13binary_searchIS3_S5_PySB_SC_NS1_21upper_bound_search_opENS8_6detail16wrapped_functionINS0_4lessIvEEbEEEE10hipError_tPvRmT1_T2_T3_mmT4_T5_P12ihipStream_tbEUlRKyE_EESL_SP_SQ_mSR_SU_bEUlT_E_NS1_11comp_targetILNS1_3genE10ELNS1_11target_archE1201ELNS1_3gpuE5ELNS1_3repE0EEENS1_30default_config_static_selectorELNS0_4arch9wavefront6targetE0EEEvSO_,comdat
.Lfunc_end114:
	.size	_ZN7rocprim17ROCPRIM_400000_NS6detail17trampoline_kernelINS0_14default_configENS1_27upper_bound_config_selectorIylEEZNS1_14transform_implILb0ES3_S5_N6thrust23THRUST_200600_302600_NS17counting_iteratorIyNS8_11use_defaultESA_SA_EEPlZNS1_13binary_searchIS3_S5_PySB_SC_NS1_21upper_bound_search_opENS8_6detail16wrapped_functionINS0_4lessIvEEbEEEE10hipError_tPvRmT1_T2_T3_mmT4_T5_P12ihipStream_tbEUlRKyE_EESL_SP_SQ_mSR_SU_bEUlT_E_NS1_11comp_targetILNS1_3genE10ELNS1_11target_archE1201ELNS1_3gpuE5ELNS1_3repE0EEENS1_30default_config_static_selectorELNS0_4arch9wavefront6targetE0EEEvSO_, .Lfunc_end114-_ZN7rocprim17ROCPRIM_400000_NS6detail17trampoline_kernelINS0_14default_configENS1_27upper_bound_config_selectorIylEEZNS1_14transform_implILb0ES3_S5_N6thrust23THRUST_200600_302600_NS17counting_iteratorIyNS8_11use_defaultESA_SA_EEPlZNS1_13binary_searchIS3_S5_PySB_SC_NS1_21upper_bound_search_opENS8_6detail16wrapped_functionINS0_4lessIvEEbEEEE10hipError_tPvRmT1_T2_T3_mmT4_T5_P12ihipStream_tbEUlRKyE_EESL_SP_SQ_mSR_SU_bEUlT_E_NS1_11comp_targetILNS1_3genE10ELNS1_11target_archE1201ELNS1_3gpuE5ELNS1_3repE0EEENS1_30default_config_static_selectorELNS0_4arch9wavefront6targetE0EEEvSO_
                                        ; -- End function
	.section	.AMDGPU.csdata,"",@progbits
; Kernel info:
; codeLenInByte = 0
; NumSgprs: 0
; NumVgprs: 0
; ScratchSize: 0
; MemoryBound: 0
; FloatMode: 240
; IeeeMode: 1
; LDSByteSize: 0 bytes/workgroup (compile time only)
; SGPRBlocks: 0
; VGPRBlocks: 0
; NumSGPRsForWavesPerEU: 1
; NumVGPRsForWavesPerEU: 1
; Occupancy: 16
; WaveLimiterHint : 0
; COMPUTE_PGM_RSRC2:SCRATCH_EN: 0
; COMPUTE_PGM_RSRC2:USER_SGPR: 15
; COMPUTE_PGM_RSRC2:TRAP_HANDLER: 0
; COMPUTE_PGM_RSRC2:TGID_X_EN: 1
; COMPUTE_PGM_RSRC2:TGID_Y_EN: 0
; COMPUTE_PGM_RSRC2:TGID_Z_EN: 0
; COMPUTE_PGM_RSRC2:TIDIG_COMP_CNT: 0
	.section	.text._ZN7rocprim17ROCPRIM_400000_NS6detail17trampoline_kernelINS0_14default_configENS1_27upper_bound_config_selectorIylEEZNS1_14transform_implILb0ES3_S5_N6thrust23THRUST_200600_302600_NS17counting_iteratorIyNS8_11use_defaultESA_SA_EEPlZNS1_13binary_searchIS3_S5_PySB_SC_NS1_21upper_bound_search_opENS8_6detail16wrapped_functionINS0_4lessIvEEbEEEE10hipError_tPvRmT1_T2_T3_mmT4_T5_P12ihipStream_tbEUlRKyE_EESL_SP_SQ_mSR_SU_bEUlT_E_NS1_11comp_targetILNS1_3genE10ELNS1_11target_archE1200ELNS1_3gpuE4ELNS1_3repE0EEENS1_30default_config_static_selectorELNS0_4arch9wavefront6targetE0EEEvSO_,"axG",@progbits,_ZN7rocprim17ROCPRIM_400000_NS6detail17trampoline_kernelINS0_14default_configENS1_27upper_bound_config_selectorIylEEZNS1_14transform_implILb0ES3_S5_N6thrust23THRUST_200600_302600_NS17counting_iteratorIyNS8_11use_defaultESA_SA_EEPlZNS1_13binary_searchIS3_S5_PySB_SC_NS1_21upper_bound_search_opENS8_6detail16wrapped_functionINS0_4lessIvEEbEEEE10hipError_tPvRmT1_T2_T3_mmT4_T5_P12ihipStream_tbEUlRKyE_EESL_SP_SQ_mSR_SU_bEUlT_E_NS1_11comp_targetILNS1_3genE10ELNS1_11target_archE1200ELNS1_3gpuE4ELNS1_3repE0EEENS1_30default_config_static_selectorELNS0_4arch9wavefront6targetE0EEEvSO_,comdat
	.protected	_ZN7rocprim17ROCPRIM_400000_NS6detail17trampoline_kernelINS0_14default_configENS1_27upper_bound_config_selectorIylEEZNS1_14transform_implILb0ES3_S5_N6thrust23THRUST_200600_302600_NS17counting_iteratorIyNS8_11use_defaultESA_SA_EEPlZNS1_13binary_searchIS3_S5_PySB_SC_NS1_21upper_bound_search_opENS8_6detail16wrapped_functionINS0_4lessIvEEbEEEE10hipError_tPvRmT1_T2_T3_mmT4_T5_P12ihipStream_tbEUlRKyE_EESL_SP_SQ_mSR_SU_bEUlT_E_NS1_11comp_targetILNS1_3genE10ELNS1_11target_archE1200ELNS1_3gpuE4ELNS1_3repE0EEENS1_30default_config_static_selectorELNS0_4arch9wavefront6targetE0EEEvSO_ ; -- Begin function _ZN7rocprim17ROCPRIM_400000_NS6detail17trampoline_kernelINS0_14default_configENS1_27upper_bound_config_selectorIylEEZNS1_14transform_implILb0ES3_S5_N6thrust23THRUST_200600_302600_NS17counting_iteratorIyNS8_11use_defaultESA_SA_EEPlZNS1_13binary_searchIS3_S5_PySB_SC_NS1_21upper_bound_search_opENS8_6detail16wrapped_functionINS0_4lessIvEEbEEEE10hipError_tPvRmT1_T2_T3_mmT4_T5_P12ihipStream_tbEUlRKyE_EESL_SP_SQ_mSR_SU_bEUlT_E_NS1_11comp_targetILNS1_3genE10ELNS1_11target_archE1200ELNS1_3gpuE4ELNS1_3repE0EEENS1_30default_config_static_selectorELNS0_4arch9wavefront6targetE0EEEvSO_
	.globl	_ZN7rocprim17ROCPRIM_400000_NS6detail17trampoline_kernelINS0_14default_configENS1_27upper_bound_config_selectorIylEEZNS1_14transform_implILb0ES3_S5_N6thrust23THRUST_200600_302600_NS17counting_iteratorIyNS8_11use_defaultESA_SA_EEPlZNS1_13binary_searchIS3_S5_PySB_SC_NS1_21upper_bound_search_opENS8_6detail16wrapped_functionINS0_4lessIvEEbEEEE10hipError_tPvRmT1_T2_T3_mmT4_T5_P12ihipStream_tbEUlRKyE_EESL_SP_SQ_mSR_SU_bEUlT_E_NS1_11comp_targetILNS1_3genE10ELNS1_11target_archE1200ELNS1_3gpuE4ELNS1_3repE0EEENS1_30default_config_static_selectorELNS0_4arch9wavefront6targetE0EEEvSO_
	.p2align	8
	.type	_ZN7rocprim17ROCPRIM_400000_NS6detail17trampoline_kernelINS0_14default_configENS1_27upper_bound_config_selectorIylEEZNS1_14transform_implILb0ES3_S5_N6thrust23THRUST_200600_302600_NS17counting_iteratorIyNS8_11use_defaultESA_SA_EEPlZNS1_13binary_searchIS3_S5_PySB_SC_NS1_21upper_bound_search_opENS8_6detail16wrapped_functionINS0_4lessIvEEbEEEE10hipError_tPvRmT1_T2_T3_mmT4_T5_P12ihipStream_tbEUlRKyE_EESL_SP_SQ_mSR_SU_bEUlT_E_NS1_11comp_targetILNS1_3genE10ELNS1_11target_archE1200ELNS1_3gpuE4ELNS1_3repE0EEENS1_30default_config_static_selectorELNS0_4arch9wavefront6targetE0EEEvSO_,@function
_ZN7rocprim17ROCPRIM_400000_NS6detail17trampoline_kernelINS0_14default_configENS1_27upper_bound_config_selectorIylEEZNS1_14transform_implILb0ES3_S5_N6thrust23THRUST_200600_302600_NS17counting_iteratorIyNS8_11use_defaultESA_SA_EEPlZNS1_13binary_searchIS3_S5_PySB_SC_NS1_21upper_bound_search_opENS8_6detail16wrapped_functionINS0_4lessIvEEbEEEE10hipError_tPvRmT1_T2_T3_mmT4_T5_P12ihipStream_tbEUlRKyE_EESL_SP_SQ_mSR_SU_bEUlT_E_NS1_11comp_targetILNS1_3genE10ELNS1_11target_archE1200ELNS1_3gpuE4ELNS1_3repE0EEENS1_30default_config_static_selectorELNS0_4arch9wavefront6targetE0EEEvSO_: ; @_ZN7rocprim17ROCPRIM_400000_NS6detail17trampoline_kernelINS0_14default_configENS1_27upper_bound_config_selectorIylEEZNS1_14transform_implILb0ES3_S5_N6thrust23THRUST_200600_302600_NS17counting_iteratorIyNS8_11use_defaultESA_SA_EEPlZNS1_13binary_searchIS3_S5_PySB_SC_NS1_21upper_bound_search_opENS8_6detail16wrapped_functionINS0_4lessIvEEbEEEE10hipError_tPvRmT1_T2_T3_mmT4_T5_P12ihipStream_tbEUlRKyE_EESL_SP_SQ_mSR_SU_bEUlT_E_NS1_11comp_targetILNS1_3genE10ELNS1_11target_archE1200ELNS1_3gpuE4ELNS1_3repE0EEENS1_30default_config_static_selectorELNS0_4arch9wavefront6targetE0EEEvSO_
; %bb.0:
	.section	.rodata,"a",@progbits
	.p2align	6, 0x0
	.amdhsa_kernel _ZN7rocprim17ROCPRIM_400000_NS6detail17trampoline_kernelINS0_14default_configENS1_27upper_bound_config_selectorIylEEZNS1_14transform_implILb0ES3_S5_N6thrust23THRUST_200600_302600_NS17counting_iteratorIyNS8_11use_defaultESA_SA_EEPlZNS1_13binary_searchIS3_S5_PySB_SC_NS1_21upper_bound_search_opENS8_6detail16wrapped_functionINS0_4lessIvEEbEEEE10hipError_tPvRmT1_T2_T3_mmT4_T5_P12ihipStream_tbEUlRKyE_EESL_SP_SQ_mSR_SU_bEUlT_E_NS1_11comp_targetILNS1_3genE10ELNS1_11target_archE1200ELNS1_3gpuE4ELNS1_3repE0EEENS1_30default_config_static_selectorELNS0_4arch9wavefront6targetE0EEEvSO_
		.amdhsa_group_segment_fixed_size 0
		.amdhsa_private_segment_fixed_size 0
		.amdhsa_kernarg_size 56
		.amdhsa_user_sgpr_count 15
		.amdhsa_user_sgpr_dispatch_ptr 0
		.amdhsa_user_sgpr_queue_ptr 0
		.amdhsa_user_sgpr_kernarg_segment_ptr 1
		.amdhsa_user_sgpr_dispatch_id 0
		.amdhsa_user_sgpr_private_segment_size 0
		.amdhsa_wavefront_size32 1
		.amdhsa_uses_dynamic_stack 0
		.amdhsa_enable_private_segment 0
		.amdhsa_system_sgpr_workgroup_id_x 1
		.amdhsa_system_sgpr_workgroup_id_y 0
		.amdhsa_system_sgpr_workgroup_id_z 0
		.amdhsa_system_sgpr_workgroup_info 0
		.amdhsa_system_vgpr_workitem_id 0
		.amdhsa_next_free_vgpr 1
		.amdhsa_next_free_sgpr 1
		.amdhsa_reserve_vcc 0
		.amdhsa_float_round_mode_32 0
		.amdhsa_float_round_mode_16_64 0
		.amdhsa_float_denorm_mode_32 3
		.amdhsa_float_denorm_mode_16_64 3
		.amdhsa_dx10_clamp 1
		.amdhsa_ieee_mode 1
		.amdhsa_fp16_overflow 0
		.amdhsa_workgroup_processor_mode 1
		.amdhsa_memory_ordered 1
		.amdhsa_forward_progress 0
		.amdhsa_shared_vgpr_count 0
		.amdhsa_exception_fp_ieee_invalid_op 0
		.amdhsa_exception_fp_denorm_src 0
		.amdhsa_exception_fp_ieee_div_zero 0
		.amdhsa_exception_fp_ieee_overflow 0
		.amdhsa_exception_fp_ieee_underflow 0
		.amdhsa_exception_fp_ieee_inexact 0
		.amdhsa_exception_int_div_zero 0
	.end_amdhsa_kernel
	.section	.text._ZN7rocprim17ROCPRIM_400000_NS6detail17trampoline_kernelINS0_14default_configENS1_27upper_bound_config_selectorIylEEZNS1_14transform_implILb0ES3_S5_N6thrust23THRUST_200600_302600_NS17counting_iteratorIyNS8_11use_defaultESA_SA_EEPlZNS1_13binary_searchIS3_S5_PySB_SC_NS1_21upper_bound_search_opENS8_6detail16wrapped_functionINS0_4lessIvEEbEEEE10hipError_tPvRmT1_T2_T3_mmT4_T5_P12ihipStream_tbEUlRKyE_EESL_SP_SQ_mSR_SU_bEUlT_E_NS1_11comp_targetILNS1_3genE10ELNS1_11target_archE1200ELNS1_3gpuE4ELNS1_3repE0EEENS1_30default_config_static_selectorELNS0_4arch9wavefront6targetE0EEEvSO_,"axG",@progbits,_ZN7rocprim17ROCPRIM_400000_NS6detail17trampoline_kernelINS0_14default_configENS1_27upper_bound_config_selectorIylEEZNS1_14transform_implILb0ES3_S5_N6thrust23THRUST_200600_302600_NS17counting_iteratorIyNS8_11use_defaultESA_SA_EEPlZNS1_13binary_searchIS3_S5_PySB_SC_NS1_21upper_bound_search_opENS8_6detail16wrapped_functionINS0_4lessIvEEbEEEE10hipError_tPvRmT1_T2_T3_mmT4_T5_P12ihipStream_tbEUlRKyE_EESL_SP_SQ_mSR_SU_bEUlT_E_NS1_11comp_targetILNS1_3genE10ELNS1_11target_archE1200ELNS1_3gpuE4ELNS1_3repE0EEENS1_30default_config_static_selectorELNS0_4arch9wavefront6targetE0EEEvSO_,comdat
.Lfunc_end115:
	.size	_ZN7rocprim17ROCPRIM_400000_NS6detail17trampoline_kernelINS0_14default_configENS1_27upper_bound_config_selectorIylEEZNS1_14transform_implILb0ES3_S5_N6thrust23THRUST_200600_302600_NS17counting_iteratorIyNS8_11use_defaultESA_SA_EEPlZNS1_13binary_searchIS3_S5_PySB_SC_NS1_21upper_bound_search_opENS8_6detail16wrapped_functionINS0_4lessIvEEbEEEE10hipError_tPvRmT1_T2_T3_mmT4_T5_P12ihipStream_tbEUlRKyE_EESL_SP_SQ_mSR_SU_bEUlT_E_NS1_11comp_targetILNS1_3genE10ELNS1_11target_archE1200ELNS1_3gpuE4ELNS1_3repE0EEENS1_30default_config_static_selectorELNS0_4arch9wavefront6targetE0EEEvSO_, .Lfunc_end115-_ZN7rocprim17ROCPRIM_400000_NS6detail17trampoline_kernelINS0_14default_configENS1_27upper_bound_config_selectorIylEEZNS1_14transform_implILb0ES3_S5_N6thrust23THRUST_200600_302600_NS17counting_iteratorIyNS8_11use_defaultESA_SA_EEPlZNS1_13binary_searchIS3_S5_PySB_SC_NS1_21upper_bound_search_opENS8_6detail16wrapped_functionINS0_4lessIvEEbEEEE10hipError_tPvRmT1_T2_T3_mmT4_T5_P12ihipStream_tbEUlRKyE_EESL_SP_SQ_mSR_SU_bEUlT_E_NS1_11comp_targetILNS1_3genE10ELNS1_11target_archE1200ELNS1_3gpuE4ELNS1_3repE0EEENS1_30default_config_static_selectorELNS0_4arch9wavefront6targetE0EEEvSO_
                                        ; -- End function
	.section	.AMDGPU.csdata,"",@progbits
; Kernel info:
; codeLenInByte = 0
; NumSgprs: 0
; NumVgprs: 0
; ScratchSize: 0
; MemoryBound: 0
; FloatMode: 240
; IeeeMode: 1
; LDSByteSize: 0 bytes/workgroup (compile time only)
; SGPRBlocks: 0
; VGPRBlocks: 0
; NumSGPRsForWavesPerEU: 1
; NumVGPRsForWavesPerEU: 1
; Occupancy: 16
; WaveLimiterHint : 0
; COMPUTE_PGM_RSRC2:SCRATCH_EN: 0
; COMPUTE_PGM_RSRC2:USER_SGPR: 15
; COMPUTE_PGM_RSRC2:TRAP_HANDLER: 0
; COMPUTE_PGM_RSRC2:TGID_X_EN: 1
; COMPUTE_PGM_RSRC2:TGID_Y_EN: 0
; COMPUTE_PGM_RSRC2:TGID_Z_EN: 0
; COMPUTE_PGM_RSRC2:TIDIG_COMP_CNT: 0
	.section	.text._ZN7rocprim17ROCPRIM_400000_NS6detail17trampoline_kernelINS0_14default_configENS1_27upper_bound_config_selectorIylEEZNS1_14transform_implILb0ES3_S5_N6thrust23THRUST_200600_302600_NS17counting_iteratorIyNS8_11use_defaultESA_SA_EEPlZNS1_13binary_searchIS3_S5_PySB_SC_NS1_21upper_bound_search_opENS8_6detail16wrapped_functionINS0_4lessIvEEbEEEE10hipError_tPvRmT1_T2_T3_mmT4_T5_P12ihipStream_tbEUlRKyE_EESL_SP_SQ_mSR_SU_bEUlT_E_NS1_11comp_targetILNS1_3genE9ELNS1_11target_archE1100ELNS1_3gpuE3ELNS1_3repE0EEENS1_30default_config_static_selectorELNS0_4arch9wavefront6targetE0EEEvSO_,"axG",@progbits,_ZN7rocprim17ROCPRIM_400000_NS6detail17trampoline_kernelINS0_14default_configENS1_27upper_bound_config_selectorIylEEZNS1_14transform_implILb0ES3_S5_N6thrust23THRUST_200600_302600_NS17counting_iteratorIyNS8_11use_defaultESA_SA_EEPlZNS1_13binary_searchIS3_S5_PySB_SC_NS1_21upper_bound_search_opENS8_6detail16wrapped_functionINS0_4lessIvEEbEEEE10hipError_tPvRmT1_T2_T3_mmT4_T5_P12ihipStream_tbEUlRKyE_EESL_SP_SQ_mSR_SU_bEUlT_E_NS1_11comp_targetILNS1_3genE9ELNS1_11target_archE1100ELNS1_3gpuE3ELNS1_3repE0EEENS1_30default_config_static_selectorELNS0_4arch9wavefront6targetE0EEEvSO_,comdat
	.protected	_ZN7rocprim17ROCPRIM_400000_NS6detail17trampoline_kernelINS0_14default_configENS1_27upper_bound_config_selectorIylEEZNS1_14transform_implILb0ES3_S5_N6thrust23THRUST_200600_302600_NS17counting_iteratorIyNS8_11use_defaultESA_SA_EEPlZNS1_13binary_searchIS3_S5_PySB_SC_NS1_21upper_bound_search_opENS8_6detail16wrapped_functionINS0_4lessIvEEbEEEE10hipError_tPvRmT1_T2_T3_mmT4_T5_P12ihipStream_tbEUlRKyE_EESL_SP_SQ_mSR_SU_bEUlT_E_NS1_11comp_targetILNS1_3genE9ELNS1_11target_archE1100ELNS1_3gpuE3ELNS1_3repE0EEENS1_30default_config_static_selectorELNS0_4arch9wavefront6targetE0EEEvSO_ ; -- Begin function _ZN7rocprim17ROCPRIM_400000_NS6detail17trampoline_kernelINS0_14default_configENS1_27upper_bound_config_selectorIylEEZNS1_14transform_implILb0ES3_S5_N6thrust23THRUST_200600_302600_NS17counting_iteratorIyNS8_11use_defaultESA_SA_EEPlZNS1_13binary_searchIS3_S5_PySB_SC_NS1_21upper_bound_search_opENS8_6detail16wrapped_functionINS0_4lessIvEEbEEEE10hipError_tPvRmT1_T2_T3_mmT4_T5_P12ihipStream_tbEUlRKyE_EESL_SP_SQ_mSR_SU_bEUlT_E_NS1_11comp_targetILNS1_3genE9ELNS1_11target_archE1100ELNS1_3gpuE3ELNS1_3repE0EEENS1_30default_config_static_selectorELNS0_4arch9wavefront6targetE0EEEvSO_
	.globl	_ZN7rocprim17ROCPRIM_400000_NS6detail17trampoline_kernelINS0_14default_configENS1_27upper_bound_config_selectorIylEEZNS1_14transform_implILb0ES3_S5_N6thrust23THRUST_200600_302600_NS17counting_iteratorIyNS8_11use_defaultESA_SA_EEPlZNS1_13binary_searchIS3_S5_PySB_SC_NS1_21upper_bound_search_opENS8_6detail16wrapped_functionINS0_4lessIvEEbEEEE10hipError_tPvRmT1_T2_T3_mmT4_T5_P12ihipStream_tbEUlRKyE_EESL_SP_SQ_mSR_SU_bEUlT_E_NS1_11comp_targetILNS1_3genE9ELNS1_11target_archE1100ELNS1_3gpuE3ELNS1_3repE0EEENS1_30default_config_static_selectorELNS0_4arch9wavefront6targetE0EEEvSO_
	.p2align	8
	.type	_ZN7rocprim17ROCPRIM_400000_NS6detail17trampoline_kernelINS0_14default_configENS1_27upper_bound_config_selectorIylEEZNS1_14transform_implILb0ES3_S5_N6thrust23THRUST_200600_302600_NS17counting_iteratorIyNS8_11use_defaultESA_SA_EEPlZNS1_13binary_searchIS3_S5_PySB_SC_NS1_21upper_bound_search_opENS8_6detail16wrapped_functionINS0_4lessIvEEbEEEE10hipError_tPvRmT1_T2_T3_mmT4_T5_P12ihipStream_tbEUlRKyE_EESL_SP_SQ_mSR_SU_bEUlT_E_NS1_11comp_targetILNS1_3genE9ELNS1_11target_archE1100ELNS1_3gpuE3ELNS1_3repE0EEENS1_30default_config_static_selectorELNS0_4arch9wavefront6targetE0EEEvSO_,@function
_ZN7rocprim17ROCPRIM_400000_NS6detail17trampoline_kernelINS0_14default_configENS1_27upper_bound_config_selectorIylEEZNS1_14transform_implILb0ES3_S5_N6thrust23THRUST_200600_302600_NS17counting_iteratorIyNS8_11use_defaultESA_SA_EEPlZNS1_13binary_searchIS3_S5_PySB_SC_NS1_21upper_bound_search_opENS8_6detail16wrapped_functionINS0_4lessIvEEbEEEE10hipError_tPvRmT1_T2_T3_mmT4_T5_P12ihipStream_tbEUlRKyE_EESL_SP_SQ_mSR_SU_bEUlT_E_NS1_11comp_targetILNS1_3genE9ELNS1_11target_archE1100ELNS1_3gpuE3ELNS1_3repE0EEENS1_30default_config_static_selectorELNS0_4arch9wavefront6targetE0EEEvSO_: ; @_ZN7rocprim17ROCPRIM_400000_NS6detail17trampoline_kernelINS0_14default_configENS1_27upper_bound_config_selectorIylEEZNS1_14transform_implILb0ES3_S5_N6thrust23THRUST_200600_302600_NS17counting_iteratorIyNS8_11use_defaultESA_SA_EEPlZNS1_13binary_searchIS3_S5_PySB_SC_NS1_21upper_bound_search_opENS8_6detail16wrapped_functionINS0_4lessIvEEbEEEE10hipError_tPvRmT1_T2_T3_mmT4_T5_P12ihipStream_tbEUlRKyE_EESL_SP_SQ_mSR_SU_bEUlT_E_NS1_11comp_targetILNS1_3genE9ELNS1_11target_archE1100ELNS1_3gpuE3ELNS1_3repE0EEENS1_30default_config_static_selectorELNS0_4arch9wavefront6targetE0EEEvSO_
; %bb.0:
	s_clause 0x3
	s_load_b128 s[8:11], s[0:1], 0x0
	s_load_b32 s2, s[0:1], 0x38
	s_load_b64 s[12:13], s[0:1], 0x28
	s_load_b128 s[4:7], s[0:1], 0x18
	s_waitcnt lgkmcnt(0)
	s_add_u32 s3, s10, s8
	s_addc_u32 s14, s11, s9
	s_add_i32 s2, s2, -1
	s_lshl_b32 s8, s15, 8
	s_mov_b32 s9, 0
	s_cmp_lg_u32 s15, s2
	s_mov_b32 s15, -1
	s_cbranch_scc0 .LBB116_6
; %bb.1:
	v_dual_mov_b32 v2, 0 :: v_dual_mov_b32 v1, 0
	v_mov_b32_e32 v3, 0
	s_cmp_eq_u64 s[12:13], 0
	s_cbranch_scc1 .LBB116_5
; %bb.2:
	s_add_u32 s2, s3, s8
	s_addc_u32 s15, s14, 0
	v_add_co_u32 v4, s2, s2, v0
	v_mov_b32_e32 v2, 0
	v_dual_mov_b32 v3, 0 :: v_dual_mov_b32 v6, s12
	v_add_co_ci_u32_e64 v5, null, s15, 0, s2
	v_mov_b32_e32 v7, s13
	s_mov_b32 s15, 0
	s_set_inst_prefetch_distance 0x1
	.p2align	6
.LBB116_3:                              ; =>This Inner Loop Header: Depth=1
	v_sub_co_u32 v8, vcc_lo, v6, v2
	s_delay_alu instid0(VALU_DEP_2) | instskip(NEXT) | instid1(VALU_DEP_1)
	v_sub_co_ci_u32_e32 v9, vcc_lo, v7, v3, vcc_lo
	v_lshrrev_b64 v[10:11], 1, v[8:9]
	v_lshrrev_b64 v[8:9], 6, v[8:9]
	s_delay_alu instid0(VALU_DEP_2) | instskip(NEXT) | instid1(VALU_DEP_3)
	v_add_co_u32 v10, vcc_lo, v10, v2
	v_add_co_ci_u32_e32 v11, vcc_lo, v11, v3, vcc_lo
	s_delay_alu instid0(VALU_DEP_2) | instskip(NEXT) | instid1(VALU_DEP_2)
	v_add_co_u32 v8, vcc_lo, v10, v8
	v_add_co_ci_u32_e32 v9, vcc_lo, v11, v9, vcc_lo
	s_delay_alu instid0(VALU_DEP_1) | instskip(NEXT) | instid1(VALU_DEP_1)
	v_lshlrev_b64 v[10:11], 3, v[8:9]
	v_add_co_u32 v10, vcc_lo, s6, v10
	s_delay_alu instid0(VALU_DEP_2)
	v_add_co_ci_u32_e32 v11, vcc_lo, s7, v11, vcc_lo
	v_add_co_u32 v12, vcc_lo, v8, 1
	global_load_b64 v[10:11], v[10:11], off
	s_waitcnt vmcnt(0)
	v_cmp_gt_u64_e64 s2, v[10:11], v[4:5]
	v_add_co_ci_u32_e32 v10, vcc_lo, 0, v9, vcc_lo
	s_delay_alu instid0(VALU_DEP_2) | instskip(SKIP_1) | instid1(VALU_DEP_3)
	v_cndmask_b32_e64 v7, v7, v9, s2
	v_cndmask_b32_e64 v6, v6, v8, s2
	v_cndmask_b32_e64 v3, v10, v3, s2
	v_cndmask_b32_e64 v2, v12, v2, s2
	s_delay_alu instid0(VALU_DEP_1) | instskip(SKIP_1) | instid1(SALU_CYCLE_1)
	v_cmp_ge_u64_e32 vcc_lo, v[2:3], v[6:7]
	s_or_b32 s15, vcc_lo, s15
	s_and_not1_b32 exec_lo, exec_lo, s15
	s_cbranch_execnz .LBB116_3
; %bb.4:
	s_set_inst_prefetch_distance 0x2
	s_or_b32 exec_lo, exec_lo, s15
.LBB116_5:
	s_mov_b32 s2, -1
	s_cbranch_execz .LBB116_7
	s_branch .LBB116_13
.LBB116_6:
	s_mov_b32 s2, s9
                                        ; implicit-def: $vgpr2_vgpr3
	s_and_not1_b32 vcc_lo, exec_lo, s15
	s_cbranch_vccnz .LBB116_13
.LBB116_7:
	s_load_b32 s0, s[0:1], 0x10
	v_mov_b32_e32 v1, 0
                                        ; implicit-def: $vgpr2_vgpr3
	s_waitcnt lgkmcnt(0)
	s_sub_i32 s0, s0, s8
	s_delay_alu instid0(SALU_CYCLE_1) | instskip(NEXT) | instid1(VALU_DEP_1)
	v_cmp_gt_u32_e64 s2, s0, v0
	s_and_saveexec_b32 s1, s2
	s_cbranch_execz .LBB116_12
; %bb.8:
	v_mov_b32_e32 v2, 0
	v_mov_b32_e32 v3, 0
	s_cmp_eq_u64 s[12:13], 0
	s_cbranch_scc1 .LBB116_12
; %bb.9:
	s_add_u32 s0, s3, s8
	s_addc_u32 s3, s14, 0
	v_add_co_u32 v4, s0, s0, v0
	v_mov_b32_e32 v2, 0
	v_dual_mov_b32 v3, 0 :: v_dual_mov_b32 v6, s12
	v_add_co_ci_u32_e64 v5, null, s3, 0, s0
	v_mov_b32_e32 v7, s13
	s_mov_b32 s3, 0
	s_set_inst_prefetch_distance 0x1
	.p2align	6
.LBB116_10:                             ; =>This Inner Loop Header: Depth=1
	v_sub_co_u32 v8, vcc_lo, v6, v2
	s_delay_alu instid0(VALU_DEP_2) | instskip(NEXT) | instid1(VALU_DEP_1)
	v_sub_co_ci_u32_e32 v9, vcc_lo, v7, v3, vcc_lo
	v_lshrrev_b64 v[10:11], 1, v[8:9]
	v_lshrrev_b64 v[8:9], 6, v[8:9]
	s_delay_alu instid0(VALU_DEP_2) | instskip(NEXT) | instid1(VALU_DEP_3)
	v_add_co_u32 v10, vcc_lo, v10, v2
	v_add_co_ci_u32_e32 v11, vcc_lo, v11, v3, vcc_lo
	s_delay_alu instid0(VALU_DEP_2) | instskip(NEXT) | instid1(VALU_DEP_2)
	v_add_co_u32 v8, vcc_lo, v10, v8
	v_add_co_ci_u32_e32 v9, vcc_lo, v11, v9, vcc_lo
	s_delay_alu instid0(VALU_DEP_1) | instskip(NEXT) | instid1(VALU_DEP_1)
	v_lshlrev_b64 v[10:11], 3, v[8:9]
	v_add_co_u32 v10, vcc_lo, s6, v10
	s_delay_alu instid0(VALU_DEP_2)
	v_add_co_ci_u32_e32 v11, vcc_lo, s7, v11, vcc_lo
	v_add_co_u32 v12, vcc_lo, v8, 1
	global_load_b64 v[10:11], v[10:11], off
	s_waitcnt vmcnt(0)
	v_cmp_gt_u64_e64 s0, v[10:11], v[4:5]
	v_add_co_ci_u32_e32 v10, vcc_lo, 0, v9, vcc_lo
	s_delay_alu instid0(VALU_DEP_2) | instskip(SKIP_1) | instid1(VALU_DEP_3)
	v_cndmask_b32_e64 v7, v7, v9, s0
	v_cndmask_b32_e64 v6, v6, v8, s0
	;; [unrolled: 1-line block ×4, first 2 shown]
	s_delay_alu instid0(VALU_DEP_1) | instskip(SKIP_1) | instid1(SALU_CYCLE_1)
	v_cmp_ge_u64_e32 vcc_lo, v[2:3], v[6:7]
	s_or_b32 s3, vcc_lo, s3
	s_and_not1_b32 exec_lo, exec_lo, s3
	s_cbranch_execnz .LBB116_10
; %bb.11:
	s_set_inst_prefetch_distance 0x2
	s_or_b32 exec_lo, exec_lo, s3
.LBB116_12:
	s_delay_alu instid0(SALU_CYCLE_1)
	s_or_b32 exec_lo, exec_lo, s1
.LBB116_13:
	s_and_saveexec_b32 s0, s2
	s_cbranch_execnz .LBB116_15
; %bb.14:
	s_endpgm
.LBB116_15:
	s_lshl_b64 s[0:1], s[10:11], 3
	v_lshlrev_b64 v[0:1], 3, v[0:1]
	s_add_u32 s2, s4, s0
	s_addc_u32 s3, s5, s1
	s_lshl_b64 s[0:1], s[8:9], 3
	s_delay_alu instid0(SALU_CYCLE_1)
	s_add_u32 s0, s2, s0
	s_addc_u32 s1, s3, s1
	v_add_co_u32 v0, vcc_lo, s0, v0
	v_add_co_ci_u32_e32 v1, vcc_lo, s1, v1, vcc_lo
	global_store_b64 v[0:1], v[2:3], off
	s_nop 0
	s_sendmsg sendmsg(MSG_DEALLOC_VGPRS)
	s_endpgm
	.section	.rodata,"a",@progbits
	.p2align	6, 0x0
	.amdhsa_kernel _ZN7rocprim17ROCPRIM_400000_NS6detail17trampoline_kernelINS0_14default_configENS1_27upper_bound_config_selectorIylEEZNS1_14transform_implILb0ES3_S5_N6thrust23THRUST_200600_302600_NS17counting_iteratorIyNS8_11use_defaultESA_SA_EEPlZNS1_13binary_searchIS3_S5_PySB_SC_NS1_21upper_bound_search_opENS8_6detail16wrapped_functionINS0_4lessIvEEbEEEE10hipError_tPvRmT1_T2_T3_mmT4_T5_P12ihipStream_tbEUlRKyE_EESL_SP_SQ_mSR_SU_bEUlT_E_NS1_11comp_targetILNS1_3genE9ELNS1_11target_archE1100ELNS1_3gpuE3ELNS1_3repE0EEENS1_30default_config_static_selectorELNS0_4arch9wavefront6targetE0EEEvSO_
		.amdhsa_group_segment_fixed_size 0
		.amdhsa_private_segment_fixed_size 0
		.amdhsa_kernarg_size 312
		.amdhsa_user_sgpr_count 15
		.amdhsa_user_sgpr_dispatch_ptr 0
		.amdhsa_user_sgpr_queue_ptr 0
		.amdhsa_user_sgpr_kernarg_segment_ptr 1
		.amdhsa_user_sgpr_dispatch_id 0
		.amdhsa_user_sgpr_private_segment_size 0
		.amdhsa_wavefront_size32 1
		.amdhsa_uses_dynamic_stack 0
		.amdhsa_enable_private_segment 0
		.amdhsa_system_sgpr_workgroup_id_x 1
		.amdhsa_system_sgpr_workgroup_id_y 0
		.amdhsa_system_sgpr_workgroup_id_z 0
		.amdhsa_system_sgpr_workgroup_info 0
		.amdhsa_system_vgpr_workitem_id 0
		.amdhsa_next_free_vgpr 13
		.amdhsa_next_free_sgpr 16
		.amdhsa_reserve_vcc 1
		.amdhsa_float_round_mode_32 0
		.amdhsa_float_round_mode_16_64 0
		.amdhsa_float_denorm_mode_32 3
		.amdhsa_float_denorm_mode_16_64 3
		.amdhsa_dx10_clamp 1
		.amdhsa_ieee_mode 1
		.amdhsa_fp16_overflow 0
		.amdhsa_workgroup_processor_mode 1
		.amdhsa_memory_ordered 1
		.amdhsa_forward_progress 0
		.amdhsa_shared_vgpr_count 0
		.amdhsa_exception_fp_ieee_invalid_op 0
		.amdhsa_exception_fp_denorm_src 0
		.amdhsa_exception_fp_ieee_div_zero 0
		.amdhsa_exception_fp_ieee_overflow 0
		.amdhsa_exception_fp_ieee_underflow 0
		.amdhsa_exception_fp_ieee_inexact 0
		.amdhsa_exception_int_div_zero 0
	.end_amdhsa_kernel
	.section	.text._ZN7rocprim17ROCPRIM_400000_NS6detail17trampoline_kernelINS0_14default_configENS1_27upper_bound_config_selectorIylEEZNS1_14transform_implILb0ES3_S5_N6thrust23THRUST_200600_302600_NS17counting_iteratorIyNS8_11use_defaultESA_SA_EEPlZNS1_13binary_searchIS3_S5_PySB_SC_NS1_21upper_bound_search_opENS8_6detail16wrapped_functionINS0_4lessIvEEbEEEE10hipError_tPvRmT1_T2_T3_mmT4_T5_P12ihipStream_tbEUlRKyE_EESL_SP_SQ_mSR_SU_bEUlT_E_NS1_11comp_targetILNS1_3genE9ELNS1_11target_archE1100ELNS1_3gpuE3ELNS1_3repE0EEENS1_30default_config_static_selectorELNS0_4arch9wavefront6targetE0EEEvSO_,"axG",@progbits,_ZN7rocprim17ROCPRIM_400000_NS6detail17trampoline_kernelINS0_14default_configENS1_27upper_bound_config_selectorIylEEZNS1_14transform_implILb0ES3_S5_N6thrust23THRUST_200600_302600_NS17counting_iteratorIyNS8_11use_defaultESA_SA_EEPlZNS1_13binary_searchIS3_S5_PySB_SC_NS1_21upper_bound_search_opENS8_6detail16wrapped_functionINS0_4lessIvEEbEEEE10hipError_tPvRmT1_T2_T3_mmT4_T5_P12ihipStream_tbEUlRKyE_EESL_SP_SQ_mSR_SU_bEUlT_E_NS1_11comp_targetILNS1_3genE9ELNS1_11target_archE1100ELNS1_3gpuE3ELNS1_3repE0EEENS1_30default_config_static_selectorELNS0_4arch9wavefront6targetE0EEEvSO_,comdat
.Lfunc_end116:
	.size	_ZN7rocprim17ROCPRIM_400000_NS6detail17trampoline_kernelINS0_14default_configENS1_27upper_bound_config_selectorIylEEZNS1_14transform_implILb0ES3_S5_N6thrust23THRUST_200600_302600_NS17counting_iteratorIyNS8_11use_defaultESA_SA_EEPlZNS1_13binary_searchIS3_S5_PySB_SC_NS1_21upper_bound_search_opENS8_6detail16wrapped_functionINS0_4lessIvEEbEEEE10hipError_tPvRmT1_T2_T3_mmT4_T5_P12ihipStream_tbEUlRKyE_EESL_SP_SQ_mSR_SU_bEUlT_E_NS1_11comp_targetILNS1_3genE9ELNS1_11target_archE1100ELNS1_3gpuE3ELNS1_3repE0EEENS1_30default_config_static_selectorELNS0_4arch9wavefront6targetE0EEEvSO_, .Lfunc_end116-_ZN7rocprim17ROCPRIM_400000_NS6detail17trampoline_kernelINS0_14default_configENS1_27upper_bound_config_selectorIylEEZNS1_14transform_implILb0ES3_S5_N6thrust23THRUST_200600_302600_NS17counting_iteratorIyNS8_11use_defaultESA_SA_EEPlZNS1_13binary_searchIS3_S5_PySB_SC_NS1_21upper_bound_search_opENS8_6detail16wrapped_functionINS0_4lessIvEEbEEEE10hipError_tPvRmT1_T2_T3_mmT4_T5_P12ihipStream_tbEUlRKyE_EESL_SP_SQ_mSR_SU_bEUlT_E_NS1_11comp_targetILNS1_3genE9ELNS1_11target_archE1100ELNS1_3gpuE3ELNS1_3repE0EEENS1_30default_config_static_selectorELNS0_4arch9wavefront6targetE0EEEvSO_
                                        ; -- End function
	.section	.AMDGPU.csdata,"",@progbits
; Kernel info:
; codeLenInByte = 732
; NumSgprs: 18
; NumVgprs: 13
; ScratchSize: 0
; MemoryBound: 0
; FloatMode: 240
; IeeeMode: 1
; LDSByteSize: 0 bytes/workgroup (compile time only)
; SGPRBlocks: 2
; VGPRBlocks: 1
; NumSGPRsForWavesPerEU: 18
; NumVGPRsForWavesPerEU: 13
; Occupancy: 16
; WaveLimiterHint : 0
; COMPUTE_PGM_RSRC2:SCRATCH_EN: 0
; COMPUTE_PGM_RSRC2:USER_SGPR: 15
; COMPUTE_PGM_RSRC2:TRAP_HANDLER: 0
; COMPUTE_PGM_RSRC2:TGID_X_EN: 1
; COMPUTE_PGM_RSRC2:TGID_Y_EN: 0
; COMPUTE_PGM_RSRC2:TGID_Z_EN: 0
; COMPUTE_PGM_RSRC2:TIDIG_COMP_CNT: 0
	.section	.text._ZN7rocprim17ROCPRIM_400000_NS6detail17trampoline_kernelINS0_14default_configENS1_27upper_bound_config_selectorIylEEZNS1_14transform_implILb0ES3_S5_N6thrust23THRUST_200600_302600_NS17counting_iteratorIyNS8_11use_defaultESA_SA_EEPlZNS1_13binary_searchIS3_S5_PySB_SC_NS1_21upper_bound_search_opENS8_6detail16wrapped_functionINS0_4lessIvEEbEEEE10hipError_tPvRmT1_T2_T3_mmT4_T5_P12ihipStream_tbEUlRKyE_EESL_SP_SQ_mSR_SU_bEUlT_E_NS1_11comp_targetILNS1_3genE8ELNS1_11target_archE1030ELNS1_3gpuE2ELNS1_3repE0EEENS1_30default_config_static_selectorELNS0_4arch9wavefront6targetE0EEEvSO_,"axG",@progbits,_ZN7rocprim17ROCPRIM_400000_NS6detail17trampoline_kernelINS0_14default_configENS1_27upper_bound_config_selectorIylEEZNS1_14transform_implILb0ES3_S5_N6thrust23THRUST_200600_302600_NS17counting_iteratorIyNS8_11use_defaultESA_SA_EEPlZNS1_13binary_searchIS3_S5_PySB_SC_NS1_21upper_bound_search_opENS8_6detail16wrapped_functionINS0_4lessIvEEbEEEE10hipError_tPvRmT1_T2_T3_mmT4_T5_P12ihipStream_tbEUlRKyE_EESL_SP_SQ_mSR_SU_bEUlT_E_NS1_11comp_targetILNS1_3genE8ELNS1_11target_archE1030ELNS1_3gpuE2ELNS1_3repE0EEENS1_30default_config_static_selectorELNS0_4arch9wavefront6targetE0EEEvSO_,comdat
	.protected	_ZN7rocprim17ROCPRIM_400000_NS6detail17trampoline_kernelINS0_14default_configENS1_27upper_bound_config_selectorIylEEZNS1_14transform_implILb0ES3_S5_N6thrust23THRUST_200600_302600_NS17counting_iteratorIyNS8_11use_defaultESA_SA_EEPlZNS1_13binary_searchIS3_S5_PySB_SC_NS1_21upper_bound_search_opENS8_6detail16wrapped_functionINS0_4lessIvEEbEEEE10hipError_tPvRmT1_T2_T3_mmT4_T5_P12ihipStream_tbEUlRKyE_EESL_SP_SQ_mSR_SU_bEUlT_E_NS1_11comp_targetILNS1_3genE8ELNS1_11target_archE1030ELNS1_3gpuE2ELNS1_3repE0EEENS1_30default_config_static_selectorELNS0_4arch9wavefront6targetE0EEEvSO_ ; -- Begin function _ZN7rocprim17ROCPRIM_400000_NS6detail17trampoline_kernelINS0_14default_configENS1_27upper_bound_config_selectorIylEEZNS1_14transform_implILb0ES3_S5_N6thrust23THRUST_200600_302600_NS17counting_iteratorIyNS8_11use_defaultESA_SA_EEPlZNS1_13binary_searchIS3_S5_PySB_SC_NS1_21upper_bound_search_opENS8_6detail16wrapped_functionINS0_4lessIvEEbEEEE10hipError_tPvRmT1_T2_T3_mmT4_T5_P12ihipStream_tbEUlRKyE_EESL_SP_SQ_mSR_SU_bEUlT_E_NS1_11comp_targetILNS1_3genE8ELNS1_11target_archE1030ELNS1_3gpuE2ELNS1_3repE0EEENS1_30default_config_static_selectorELNS0_4arch9wavefront6targetE0EEEvSO_
	.globl	_ZN7rocprim17ROCPRIM_400000_NS6detail17trampoline_kernelINS0_14default_configENS1_27upper_bound_config_selectorIylEEZNS1_14transform_implILb0ES3_S5_N6thrust23THRUST_200600_302600_NS17counting_iteratorIyNS8_11use_defaultESA_SA_EEPlZNS1_13binary_searchIS3_S5_PySB_SC_NS1_21upper_bound_search_opENS8_6detail16wrapped_functionINS0_4lessIvEEbEEEE10hipError_tPvRmT1_T2_T3_mmT4_T5_P12ihipStream_tbEUlRKyE_EESL_SP_SQ_mSR_SU_bEUlT_E_NS1_11comp_targetILNS1_3genE8ELNS1_11target_archE1030ELNS1_3gpuE2ELNS1_3repE0EEENS1_30default_config_static_selectorELNS0_4arch9wavefront6targetE0EEEvSO_
	.p2align	8
	.type	_ZN7rocprim17ROCPRIM_400000_NS6detail17trampoline_kernelINS0_14default_configENS1_27upper_bound_config_selectorIylEEZNS1_14transform_implILb0ES3_S5_N6thrust23THRUST_200600_302600_NS17counting_iteratorIyNS8_11use_defaultESA_SA_EEPlZNS1_13binary_searchIS3_S5_PySB_SC_NS1_21upper_bound_search_opENS8_6detail16wrapped_functionINS0_4lessIvEEbEEEE10hipError_tPvRmT1_T2_T3_mmT4_T5_P12ihipStream_tbEUlRKyE_EESL_SP_SQ_mSR_SU_bEUlT_E_NS1_11comp_targetILNS1_3genE8ELNS1_11target_archE1030ELNS1_3gpuE2ELNS1_3repE0EEENS1_30default_config_static_selectorELNS0_4arch9wavefront6targetE0EEEvSO_,@function
_ZN7rocprim17ROCPRIM_400000_NS6detail17trampoline_kernelINS0_14default_configENS1_27upper_bound_config_selectorIylEEZNS1_14transform_implILb0ES3_S5_N6thrust23THRUST_200600_302600_NS17counting_iteratorIyNS8_11use_defaultESA_SA_EEPlZNS1_13binary_searchIS3_S5_PySB_SC_NS1_21upper_bound_search_opENS8_6detail16wrapped_functionINS0_4lessIvEEbEEEE10hipError_tPvRmT1_T2_T3_mmT4_T5_P12ihipStream_tbEUlRKyE_EESL_SP_SQ_mSR_SU_bEUlT_E_NS1_11comp_targetILNS1_3genE8ELNS1_11target_archE1030ELNS1_3gpuE2ELNS1_3repE0EEENS1_30default_config_static_selectorELNS0_4arch9wavefront6targetE0EEEvSO_: ; @_ZN7rocprim17ROCPRIM_400000_NS6detail17trampoline_kernelINS0_14default_configENS1_27upper_bound_config_selectorIylEEZNS1_14transform_implILb0ES3_S5_N6thrust23THRUST_200600_302600_NS17counting_iteratorIyNS8_11use_defaultESA_SA_EEPlZNS1_13binary_searchIS3_S5_PySB_SC_NS1_21upper_bound_search_opENS8_6detail16wrapped_functionINS0_4lessIvEEbEEEE10hipError_tPvRmT1_T2_T3_mmT4_T5_P12ihipStream_tbEUlRKyE_EESL_SP_SQ_mSR_SU_bEUlT_E_NS1_11comp_targetILNS1_3genE8ELNS1_11target_archE1030ELNS1_3gpuE2ELNS1_3repE0EEENS1_30default_config_static_selectorELNS0_4arch9wavefront6targetE0EEEvSO_
; %bb.0:
	.section	.rodata,"a",@progbits
	.p2align	6, 0x0
	.amdhsa_kernel _ZN7rocprim17ROCPRIM_400000_NS6detail17trampoline_kernelINS0_14default_configENS1_27upper_bound_config_selectorIylEEZNS1_14transform_implILb0ES3_S5_N6thrust23THRUST_200600_302600_NS17counting_iteratorIyNS8_11use_defaultESA_SA_EEPlZNS1_13binary_searchIS3_S5_PySB_SC_NS1_21upper_bound_search_opENS8_6detail16wrapped_functionINS0_4lessIvEEbEEEE10hipError_tPvRmT1_T2_T3_mmT4_T5_P12ihipStream_tbEUlRKyE_EESL_SP_SQ_mSR_SU_bEUlT_E_NS1_11comp_targetILNS1_3genE8ELNS1_11target_archE1030ELNS1_3gpuE2ELNS1_3repE0EEENS1_30default_config_static_selectorELNS0_4arch9wavefront6targetE0EEEvSO_
		.amdhsa_group_segment_fixed_size 0
		.amdhsa_private_segment_fixed_size 0
		.amdhsa_kernarg_size 56
		.amdhsa_user_sgpr_count 15
		.amdhsa_user_sgpr_dispatch_ptr 0
		.amdhsa_user_sgpr_queue_ptr 0
		.amdhsa_user_sgpr_kernarg_segment_ptr 1
		.amdhsa_user_sgpr_dispatch_id 0
		.amdhsa_user_sgpr_private_segment_size 0
		.amdhsa_wavefront_size32 1
		.amdhsa_uses_dynamic_stack 0
		.amdhsa_enable_private_segment 0
		.amdhsa_system_sgpr_workgroup_id_x 1
		.amdhsa_system_sgpr_workgroup_id_y 0
		.amdhsa_system_sgpr_workgroup_id_z 0
		.amdhsa_system_sgpr_workgroup_info 0
		.amdhsa_system_vgpr_workitem_id 0
		.amdhsa_next_free_vgpr 1
		.amdhsa_next_free_sgpr 1
		.amdhsa_reserve_vcc 0
		.amdhsa_float_round_mode_32 0
		.amdhsa_float_round_mode_16_64 0
		.amdhsa_float_denorm_mode_32 3
		.amdhsa_float_denorm_mode_16_64 3
		.amdhsa_dx10_clamp 1
		.amdhsa_ieee_mode 1
		.amdhsa_fp16_overflow 0
		.amdhsa_workgroup_processor_mode 1
		.amdhsa_memory_ordered 1
		.amdhsa_forward_progress 0
		.amdhsa_shared_vgpr_count 0
		.amdhsa_exception_fp_ieee_invalid_op 0
		.amdhsa_exception_fp_denorm_src 0
		.amdhsa_exception_fp_ieee_div_zero 0
		.amdhsa_exception_fp_ieee_overflow 0
		.amdhsa_exception_fp_ieee_underflow 0
		.amdhsa_exception_fp_ieee_inexact 0
		.amdhsa_exception_int_div_zero 0
	.end_amdhsa_kernel
	.section	.text._ZN7rocprim17ROCPRIM_400000_NS6detail17trampoline_kernelINS0_14default_configENS1_27upper_bound_config_selectorIylEEZNS1_14transform_implILb0ES3_S5_N6thrust23THRUST_200600_302600_NS17counting_iteratorIyNS8_11use_defaultESA_SA_EEPlZNS1_13binary_searchIS3_S5_PySB_SC_NS1_21upper_bound_search_opENS8_6detail16wrapped_functionINS0_4lessIvEEbEEEE10hipError_tPvRmT1_T2_T3_mmT4_T5_P12ihipStream_tbEUlRKyE_EESL_SP_SQ_mSR_SU_bEUlT_E_NS1_11comp_targetILNS1_3genE8ELNS1_11target_archE1030ELNS1_3gpuE2ELNS1_3repE0EEENS1_30default_config_static_selectorELNS0_4arch9wavefront6targetE0EEEvSO_,"axG",@progbits,_ZN7rocprim17ROCPRIM_400000_NS6detail17trampoline_kernelINS0_14default_configENS1_27upper_bound_config_selectorIylEEZNS1_14transform_implILb0ES3_S5_N6thrust23THRUST_200600_302600_NS17counting_iteratorIyNS8_11use_defaultESA_SA_EEPlZNS1_13binary_searchIS3_S5_PySB_SC_NS1_21upper_bound_search_opENS8_6detail16wrapped_functionINS0_4lessIvEEbEEEE10hipError_tPvRmT1_T2_T3_mmT4_T5_P12ihipStream_tbEUlRKyE_EESL_SP_SQ_mSR_SU_bEUlT_E_NS1_11comp_targetILNS1_3genE8ELNS1_11target_archE1030ELNS1_3gpuE2ELNS1_3repE0EEENS1_30default_config_static_selectorELNS0_4arch9wavefront6targetE0EEEvSO_,comdat
.Lfunc_end117:
	.size	_ZN7rocprim17ROCPRIM_400000_NS6detail17trampoline_kernelINS0_14default_configENS1_27upper_bound_config_selectorIylEEZNS1_14transform_implILb0ES3_S5_N6thrust23THRUST_200600_302600_NS17counting_iteratorIyNS8_11use_defaultESA_SA_EEPlZNS1_13binary_searchIS3_S5_PySB_SC_NS1_21upper_bound_search_opENS8_6detail16wrapped_functionINS0_4lessIvEEbEEEE10hipError_tPvRmT1_T2_T3_mmT4_T5_P12ihipStream_tbEUlRKyE_EESL_SP_SQ_mSR_SU_bEUlT_E_NS1_11comp_targetILNS1_3genE8ELNS1_11target_archE1030ELNS1_3gpuE2ELNS1_3repE0EEENS1_30default_config_static_selectorELNS0_4arch9wavefront6targetE0EEEvSO_, .Lfunc_end117-_ZN7rocprim17ROCPRIM_400000_NS6detail17trampoline_kernelINS0_14default_configENS1_27upper_bound_config_selectorIylEEZNS1_14transform_implILb0ES3_S5_N6thrust23THRUST_200600_302600_NS17counting_iteratorIyNS8_11use_defaultESA_SA_EEPlZNS1_13binary_searchIS3_S5_PySB_SC_NS1_21upper_bound_search_opENS8_6detail16wrapped_functionINS0_4lessIvEEbEEEE10hipError_tPvRmT1_T2_T3_mmT4_T5_P12ihipStream_tbEUlRKyE_EESL_SP_SQ_mSR_SU_bEUlT_E_NS1_11comp_targetILNS1_3genE8ELNS1_11target_archE1030ELNS1_3gpuE2ELNS1_3repE0EEENS1_30default_config_static_selectorELNS0_4arch9wavefront6targetE0EEEvSO_
                                        ; -- End function
	.section	.AMDGPU.csdata,"",@progbits
; Kernel info:
; codeLenInByte = 0
; NumSgprs: 0
; NumVgprs: 0
; ScratchSize: 0
; MemoryBound: 0
; FloatMode: 240
; IeeeMode: 1
; LDSByteSize: 0 bytes/workgroup (compile time only)
; SGPRBlocks: 0
; VGPRBlocks: 0
; NumSGPRsForWavesPerEU: 1
; NumVGPRsForWavesPerEU: 1
; Occupancy: 16
; WaveLimiterHint : 0
; COMPUTE_PGM_RSRC2:SCRATCH_EN: 0
; COMPUTE_PGM_RSRC2:USER_SGPR: 15
; COMPUTE_PGM_RSRC2:TRAP_HANDLER: 0
; COMPUTE_PGM_RSRC2:TGID_X_EN: 1
; COMPUTE_PGM_RSRC2:TGID_Y_EN: 0
; COMPUTE_PGM_RSRC2:TGID_Z_EN: 0
; COMPUTE_PGM_RSRC2:TIDIG_COMP_CNT: 0
	.section	.text._Z18upper_bound_kernelIjEvmPT_Pl,"axG",@progbits,_Z18upper_bound_kernelIjEvmPT_Pl,comdat
	.protected	_Z18upper_bound_kernelIjEvmPT_Pl ; -- Begin function _Z18upper_bound_kernelIjEvmPT_Pl
	.globl	_Z18upper_bound_kernelIjEvmPT_Pl
	.p2align	8
	.type	_Z18upper_bound_kernelIjEvmPT_Pl,@function
_Z18upper_bound_kernelIjEvmPT_Pl:       ; @_Z18upper_bound_kernelIjEvmPT_Pl
; %bb.0:
	s_clause 0x1
	s_load_b128 s[4:7], s[0:1], 0x0
	s_load_b64 s[2:3], s[0:1], 0x10
	s_mov_b64 s[8:9], 0
	s_waitcnt lgkmcnt(0)
	v_cmp_lt_i64_e64 s0, s[4:5], 1
	s_delay_alu instid0(VALU_DEP_1) | instskip(NEXT) | instid1(SALU_CYCLE_1)
	s_and_b32 s0, exec_lo, s0
	s_mov_b32 vcc_lo, s0
	s_cbranch_vccnz .LBB118_3
; %bb.1:
	s_mov_b64 s[10:11], s[4:5]
	.p2align	6
.LBB118_2:                              ; =>This Inner Loop Header: Depth=1
	s_delay_alu instid0(SALU_CYCLE_1) | instskip(SKIP_1) | instid1(SALU_CYCLE_1)
	s_sub_u32 s1, s10, s8
	s_subb_u32 s13, s11, s9
	s_lshr_b32 s12, s13, 31
	s_delay_alu instid0(SALU_CYCLE_1) | instskip(SKIP_1) | instid1(SALU_CYCLE_1)
	s_add_u32 s12, s1, s12
	s_addc_u32 s13, s13, 0
	s_ashr_i64 s[12:13], s[12:13], 1
	s_delay_alu instid0(SALU_CYCLE_1) | instskip(SKIP_1) | instid1(SALU_CYCLE_1)
	s_add_u32 s12, s12, s8
	s_addc_u32 s13, s13, s9
	s_lshl_b64 s[14:15], s[12:13], 2
	s_delay_alu instid0(SALU_CYCLE_1)
	s_add_u32 s14, s6, s14
	s_addc_u32 s15, s7, s15
	s_load_b32 s1, s[14:15], 0x0
	s_add_u32 s14, s12, 1
	s_addc_u32 s15, s13, 0
	s_waitcnt lgkmcnt(0)
	s_cmp_eq_u32 s1, 0
	s_cselect_b32 s9, s15, s9
	s_cselect_b32 s8, s14, s8
	;; [unrolled: 1-line block ×4, first 2 shown]
	s_delay_alu instid0(SALU_CYCLE_1) | instskip(NEXT) | instid1(VALU_DEP_1)
	v_cmp_lt_i64_e64 s1, s[8:9], s[10:11]
	s_and_b32 vcc_lo, exec_lo, s1
	s_cbranch_vccnz .LBB118_2
.LBB118_3:
	v_cmp_gt_i64_e64 s10, s[4:5], 0
	v_mov_b32_e32 v2, 0
	s_delay_alu instid0(VALU_DEP_2) | instskip(SKIP_1) | instid1(VALU_DEP_1)
	v_cndmask_b32_e64 v0, 0, 1, s10
	s_and_not1_b32 vcc_lo, exec_lo, s10
	v_cmp_ne_u32_e64 s1, 1, v0
	v_dual_mov_b32 v0, s8 :: v_dual_mov_b32 v1, s9
	s_mov_b64 s[8:9], 0
	global_store_b64 v2, v[0:1], s[2:3]
	s_cbranch_vccnz .LBB118_6
; %bb.4:
	s_mov_b64 s[10:11], s[4:5]
	.p2align	6
.LBB118_5:                              ; =>This Inner Loop Header: Depth=1
	s_delay_alu instid0(SALU_CYCLE_1) | instskip(SKIP_1) | instid1(SALU_CYCLE_1)
	s_sub_u32 s12, s10, s8
	s_subb_u32 s13, s11, s9
	s_lshr_b32 s14, s13, 31
	s_delay_alu instid0(SALU_CYCLE_1) | instskip(SKIP_1) | instid1(SALU_CYCLE_1)
	s_add_u32 s12, s12, s14
	s_addc_u32 s13, s13, 0
	s_ashr_i64 s[12:13], s[12:13], 1
	s_delay_alu instid0(SALU_CYCLE_1) | instskip(SKIP_1) | instid1(SALU_CYCLE_1)
	s_add_u32 s12, s12, s8
	s_addc_u32 s13, s13, s9
	s_lshl_b64 s[14:15], s[12:13], 2
	s_delay_alu instid0(SALU_CYCLE_1)
	s_add_u32 s14, s6, s14
	s_addc_u32 s15, s7, s15
	s_load_b32 s14, s[14:15], 0x0
	s_add_u32 s15, s12, 1
	s_addc_u32 s16, s13, 0
	s_waitcnt lgkmcnt(0)
	s_cmp_gt_u32 s14, 1
	s_cselect_b32 s9, s9, s16
	s_cselect_b32 s8, s8, s15
	;; [unrolled: 1-line block ×4, first 2 shown]
	s_delay_alu instid0(SALU_CYCLE_1) | instskip(NEXT) | instid1(VALU_DEP_1)
	v_cmp_lt_i64_e64 s12, s[8:9], s[10:11]
	s_and_b32 vcc_lo, exec_lo, s12
	s_cbranch_vccnz .LBB118_5
.LBB118_6:
	v_mov_b32_e32 v0, s8
	v_dual_mov_b32 v2, 0 :: v_dual_mov_b32 v1, s9
	s_and_b32 vcc_lo, exec_lo, s1
	s_mov_b64 s[8:9], 0
	global_store_b64 v2, v[0:1], s[2:3] offset:8
	s_cbranch_vccnz .LBB118_9
; %bb.7:
	s_mov_b64 s[10:11], s[4:5]
	.p2align	6
.LBB118_8:                              ; =>This Inner Loop Header: Depth=1
	s_delay_alu instid0(SALU_CYCLE_1) | instskip(SKIP_1) | instid1(SALU_CYCLE_1)
	s_sub_u32 s12, s10, s8
	s_subb_u32 s13, s11, s9
	s_lshr_b32 s14, s13, 31
	s_delay_alu instid0(SALU_CYCLE_1) | instskip(SKIP_1) | instid1(SALU_CYCLE_1)
	s_add_u32 s12, s12, s14
	s_addc_u32 s13, s13, 0
	s_ashr_i64 s[12:13], s[12:13], 1
	s_delay_alu instid0(SALU_CYCLE_1) | instskip(SKIP_1) | instid1(SALU_CYCLE_1)
	s_add_u32 s12, s12, s8
	s_addc_u32 s13, s13, s9
	s_lshl_b64 s[14:15], s[12:13], 2
	s_delay_alu instid0(SALU_CYCLE_1)
	s_add_u32 s14, s6, s14
	s_addc_u32 s15, s7, s15
	s_load_b32 s14, s[14:15], 0x0
	s_add_u32 s15, s12, 1
	s_addc_u32 s16, s13, 0
	s_waitcnt lgkmcnt(0)
	s_cmp_gt_u32 s14, 2
	s_cselect_b32 s9, s9, s16
	s_cselect_b32 s8, s8, s15
	;; [unrolled: 1-line block ×4, first 2 shown]
	s_delay_alu instid0(SALU_CYCLE_1) | instskip(NEXT) | instid1(VALU_DEP_1)
	v_cmp_lt_i64_e64 s12, s[8:9], s[10:11]
	s_and_b32 vcc_lo, exec_lo, s12
	s_cbranch_vccnz .LBB118_8
.LBB118_9:
	v_mov_b32_e32 v0, s8
	v_dual_mov_b32 v2, 0 :: v_dual_mov_b32 v1, s9
	s_and_b32 vcc_lo, exec_lo, s1
	s_mov_b64 s[8:9], 0
	global_store_b64 v2, v[0:1], s[2:3] offset:16
	s_cbranch_vccnz .LBB118_12
; %bb.10:
	s_mov_b64 s[10:11], s[4:5]
	.p2align	6
.LBB118_11:                             ; =>This Inner Loop Header: Depth=1
	s_delay_alu instid0(SALU_CYCLE_1) | instskip(SKIP_1) | instid1(SALU_CYCLE_1)
	s_sub_u32 s12, s10, s8
	s_subb_u32 s13, s11, s9
	s_lshr_b32 s14, s13, 31
	s_delay_alu instid0(SALU_CYCLE_1) | instskip(SKIP_1) | instid1(SALU_CYCLE_1)
	s_add_u32 s12, s12, s14
	s_addc_u32 s13, s13, 0
	s_ashr_i64 s[12:13], s[12:13], 1
	s_delay_alu instid0(SALU_CYCLE_1) | instskip(SKIP_1) | instid1(SALU_CYCLE_1)
	s_add_u32 s12, s12, s8
	s_addc_u32 s13, s13, s9
	s_lshl_b64 s[14:15], s[12:13], 2
	s_delay_alu instid0(SALU_CYCLE_1)
	s_add_u32 s14, s6, s14
	s_addc_u32 s15, s7, s15
	s_load_b32 s14, s[14:15], 0x0
	s_add_u32 s15, s12, 1
	s_addc_u32 s16, s13, 0
	s_waitcnt lgkmcnt(0)
	s_cmp_gt_u32 s14, 3
	s_cselect_b32 s9, s9, s16
	s_cselect_b32 s8, s8, s15
	;; [unrolled: 1-line block ×4, first 2 shown]
	s_delay_alu instid0(SALU_CYCLE_1) | instskip(NEXT) | instid1(VALU_DEP_1)
	v_cmp_lt_i64_e64 s12, s[8:9], s[10:11]
	s_and_b32 vcc_lo, exec_lo, s12
	s_cbranch_vccnz .LBB118_11
.LBB118_12:
	v_mov_b32_e32 v0, s8
	v_dual_mov_b32 v2, 0 :: v_dual_mov_b32 v1, s9
	s_and_b32 vcc_lo, exec_lo, s1
	s_mov_b64 s[8:9], 0
	global_store_b64 v2, v[0:1], s[2:3] offset:24
	s_cbranch_vccnz .LBB118_15
; %bb.13:
	s_mov_b64 s[10:11], s[4:5]
	.p2align	6
.LBB118_14:                             ; =>This Inner Loop Header: Depth=1
	s_delay_alu instid0(SALU_CYCLE_1) | instskip(SKIP_1) | instid1(SALU_CYCLE_1)
	s_sub_u32 s12, s10, s8
	s_subb_u32 s13, s11, s9
	s_lshr_b32 s14, s13, 31
	s_delay_alu instid0(SALU_CYCLE_1) | instskip(SKIP_1) | instid1(SALU_CYCLE_1)
	s_add_u32 s12, s12, s14
	s_addc_u32 s13, s13, 0
	s_ashr_i64 s[12:13], s[12:13], 1
	s_delay_alu instid0(SALU_CYCLE_1) | instskip(SKIP_1) | instid1(SALU_CYCLE_1)
	s_add_u32 s12, s12, s8
	s_addc_u32 s13, s13, s9
	s_lshl_b64 s[14:15], s[12:13], 2
	s_delay_alu instid0(SALU_CYCLE_1)
	s_add_u32 s14, s6, s14
	s_addc_u32 s15, s7, s15
	s_load_b32 s14, s[14:15], 0x0
	s_add_u32 s15, s12, 1
	s_addc_u32 s16, s13, 0
	s_waitcnt lgkmcnt(0)
	s_cmp_gt_u32 s14, 4
	s_cselect_b32 s9, s9, s16
	s_cselect_b32 s8, s8, s15
	;; [unrolled: 1-line block ×4, first 2 shown]
	s_delay_alu instid0(SALU_CYCLE_1) | instskip(NEXT) | instid1(VALU_DEP_1)
	v_cmp_lt_i64_e64 s12, s[8:9], s[10:11]
	s_and_b32 vcc_lo, exec_lo, s12
	s_cbranch_vccnz .LBB118_14
.LBB118_15:
	v_mov_b32_e32 v0, s8
	v_dual_mov_b32 v2, 0 :: v_dual_mov_b32 v1, s9
	s_and_b32 vcc_lo, exec_lo, s1
	s_mov_b64 s[8:9], 0
	global_store_b64 v2, v[0:1], s[2:3] offset:32
	s_cbranch_vccnz .LBB118_18
; %bb.16:
	s_mov_b64 s[10:11], s[4:5]
	.p2align	6
.LBB118_17:                             ; =>This Inner Loop Header: Depth=1
	s_delay_alu instid0(SALU_CYCLE_1) | instskip(SKIP_1) | instid1(SALU_CYCLE_1)
	s_sub_u32 s12, s10, s8
	s_subb_u32 s13, s11, s9
	s_lshr_b32 s14, s13, 31
	s_delay_alu instid0(SALU_CYCLE_1) | instskip(SKIP_1) | instid1(SALU_CYCLE_1)
	s_add_u32 s12, s12, s14
	s_addc_u32 s13, s13, 0
	s_ashr_i64 s[12:13], s[12:13], 1
	s_delay_alu instid0(SALU_CYCLE_1) | instskip(SKIP_1) | instid1(SALU_CYCLE_1)
	s_add_u32 s12, s12, s8
	s_addc_u32 s13, s13, s9
	s_lshl_b64 s[14:15], s[12:13], 2
	s_delay_alu instid0(SALU_CYCLE_1)
	s_add_u32 s14, s6, s14
	s_addc_u32 s15, s7, s15
	s_load_b32 s14, s[14:15], 0x0
	s_add_u32 s15, s12, 1
	s_addc_u32 s16, s13, 0
	s_waitcnt lgkmcnt(0)
	s_cmp_gt_u32 s14, 5
	s_cselect_b32 s9, s9, s16
	s_cselect_b32 s8, s8, s15
	;; [unrolled: 1-line block ×4, first 2 shown]
	s_delay_alu instid0(SALU_CYCLE_1) | instskip(NEXT) | instid1(VALU_DEP_1)
	v_cmp_lt_i64_e64 s12, s[8:9], s[10:11]
	s_and_b32 vcc_lo, exec_lo, s12
	s_cbranch_vccnz .LBB118_17
.LBB118_18:
	v_mov_b32_e32 v0, s8
	v_dual_mov_b32 v2, 0 :: v_dual_mov_b32 v1, s9
	s_and_b32 vcc_lo, exec_lo, s1
	s_mov_b64 s[8:9], 0
	global_store_b64 v2, v[0:1], s[2:3] offset:40
	s_cbranch_vccnz .LBB118_21
; %bb.19:
	s_mov_b64 s[10:11], s[4:5]
	.p2align	6
.LBB118_20:                             ; =>This Inner Loop Header: Depth=1
	s_delay_alu instid0(SALU_CYCLE_1) | instskip(SKIP_1) | instid1(SALU_CYCLE_1)
	s_sub_u32 s12, s10, s8
	s_subb_u32 s13, s11, s9
	s_lshr_b32 s14, s13, 31
	s_delay_alu instid0(SALU_CYCLE_1) | instskip(SKIP_1) | instid1(SALU_CYCLE_1)
	s_add_u32 s12, s12, s14
	s_addc_u32 s13, s13, 0
	s_ashr_i64 s[12:13], s[12:13], 1
	s_delay_alu instid0(SALU_CYCLE_1) | instskip(SKIP_1) | instid1(SALU_CYCLE_1)
	s_add_u32 s12, s12, s8
	s_addc_u32 s13, s13, s9
	s_lshl_b64 s[14:15], s[12:13], 2
	s_delay_alu instid0(SALU_CYCLE_1)
	s_add_u32 s14, s6, s14
	s_addc_u32 s15, s7, s15
	s_load_b32 s14, s[14:15], 0x0
	s_add_u32 s15, s12, 1
	s_addc_u32 s16, s13, 0
	s_waitcnt lgkmcnt(0)
	s_cmp_gt_u32 s14, 6
	s_cselect_b32 s9, s9, s16
	s_cselect_b32 s8, s8, s15
	;; [unrolled: 1-line block ×4, first 2 shown]
	s_delay_alu instid0(SALU_CYCLE_1) | instskip(NEXT) | instid1(VALU_DEP_1)
	v_cmp_lt_i64_e64 s12, s[8:9], s[10:11]
	s_and_b32 vcc_lo, exec_lo, s12
	s_cbranch_vccnz .LBB118_20
.LBB118_21:
	v_mov_b32_e32 v0, s8
	v_dual_mov_b32 v2, 0 :: v_dual_mov_b32 v1, s9
	s_and_b32 vcc_lo, exec_lo, s1
	s_mov_b64 s[8:9], 0
	global_store_b64 v2, v[0:1], s[2:3] offset:48
	s_cbranch_vccnz .LBB118_24
; %bb.22:
	s_mov_b64 s[10:11], s[4:5]
	.p2align	6
.LBB118_23:                             ; =>This Inner Loop Header: Depth=1
	s_delay_alu instid0(SALU_CYCLE_1) | instskip(SKIP_1) | instid1(SALU_CYCLE_1)
	s_sub_u32 s1, s10, s8
	s_subb_u32 s13, s11, s9
	s_lshr_b32 s12, s13, 31
	s_delay_alu instid0(SALU_CYCLE_1) | instskip(SKIP_1) | instid1(SALU_CYCLE_1)
	s_add_u32 s12, s1, s12
	s_addc_u32 s13, s13, 0
	s_ashr_i64 s[12:13], s[12:13], 1
	s_delay_alu instid0(SALU_CYCLE_1) | instskip(SKIP_1) | instid1(SALU_CYCLE_1)
	s_add_u32 s12, s12, s8
	s_addc_u32 s13, s13, s9
	s_lshl_b64 s[14:15], s[12:13], 2
	s_delay_alu instid0(SALU_CYCLE_1)
	s_add_u32 s14, s6, s14
	s_addc_u32 s15, s7, s15
	s_load_b32 s1, s[14:15], 0x0
	s_add_u32 s14, s12, 1
	s_addc_u32 s15, s13, 0
	s_waitcnt lgkmcnt(0)
	s_cmp_gt_u32 s1, 7
	s_cselect_b32 s9, s9, s15
	s_cselect_b32 s8, s8, s14
	;; [unrolled: 1-line block ×4, first 2 shown]
	s_delay_alu instid0(SALU_CYCLE_1) | instskip(NEXT) | instid1(VALU_DEP_1)
	v_cmp_lt_i64_e64 s1, s[8:9], s[10:11]
	s_and_b32 vcc_lo, exec_lo, s1
	s_cbranch_vccnz .LBB118_23
.LBB118_24:
	v_dual_mov_b32 v0, 0 :: v_dual_mov_b32 v1, s8
	v_mov_b32_e32 v2, s9
	s_mov_b32 vcc_lo, s0
	global_store_b64 v0, v[1:2], s[2:3] offset:56
	s_cbranch_vccz .LBB118_26
; %bb.25:
	v_mov_b32_e32 v1, v0
	s_mov_b64 s[0:1], 0
	global_store_b64 v0, v[0:1], s[2:3] offset:64
	s_cbranch_execz .LBB118_27
	s_branch .LBB118_31
.LBB118_26:
                                        ; implicit-def: $sgpr0_sgpr1
.LBB118_27:
	s_mov_b64 s[0:1], 0
	s_mov_b64 s[8:9], s[4:5]
	.p2align	6
.LBB118_28:                             ; =>This Inner Loop Header: Depth=1
	s_delay_alu instid0(SALU_CYCLE_1) | instskip(SKIP_1) | instid1(SALU_CYCLE_1)
	s_sub_u32 s10, s8, s0
	s_subb_u32 s11, s9, s1
	s_lshr_b32 s12, s11, 31
	s_delay_alu instid0(SALU_CYCLE_1) | instskip(SKIP_1) | instid1(SALU_CYCLE_1)
	s_add_u32 s10, s10, s12
	s_addc_u32 s11, s11, 0
	s_ashr_i64 s[10:11], s[10:11], 1
	s_delay_alu instid0(SALU_CYCLE_1) | instskip(SKIP_1) | instid1(SALU_CYCLE_1)
	s_add_u32 s10, s10, s0
	s_addc_u32 s11, s11, s1
	s_lshl_b64 s[12:13], s[10:11], 2
	s_delay_alu instid0(SALU_CYCLE_1)
	s_add_u32 s12, s6, s12
	s_addc_u32 s13, s7, s13
	s_load_b32 s12, s[12:13], 0x0
	s_add_u32 s13, s10, 1
	s_addc_u32 s14, s11, 0
	s_waitcnt lgkmcnt(0)
	s_cmp_gt_u32 s12, 8
	s_cselect_b32 s1, s1, s14
	s_cselect_b32 s0, s0, s13
	;; [unrolled: 1-line block ×4, first 2 shown]
	s_delay_alu instid0(SALU_CYCLE_1) | instskip(NEXT) | instid1(VALU_DEP_1)
	v_cmp_lt_i64_e64 s10, s[0:1], s[8:9]
	s_and_b32 vcc_lo, exec_lo, s10
	s_cbranch_vccnz .LBB118_28
; %bb.29:
	v_mov_b32_e32 v0, s0
	v_dual_mov_b32 v2, 0 :: v_dual_mov_b32 v1, s1
	s_mov_b64 s[0:1], 0
	global_store_b64 v2, v[0:1], s[2:3] offset:64
	.p2align	6
.LBB118_30:                             ; =>This Inner Loop Header: Depth=1
	s_sub_u32 s8, s4, s0
	s_subb_u32 s9, s5, s1
	s_delay_alu instid0(SALU_CYCLE_1) | instskip(NEXT) | instid1(SALU_CYCLE_1)
	s_lshr_b32 s10, s9, 31
	s_add_u32 s8, s8, s10
	s_addc_u32 s9, s9, 0
	s_delay_alu instid0(SALU_CYCLE_1) | instskip(NEXT) | instid1(SALU_CYCLE_1)
	s_ashr_i64 s[8:9], s[8:9], 1
	s_add_u32 s8, s8, s0
	s_addc_u32 s9, s9, s1
	s_delay_alu instid0(SALU_CYCLE_1) | instskip(NEXT) | instid1(SALU_CYCLE_1)
	s_lshl_b64 s[10:11], s[8:9], 2
	s_add_u32 s10, s6, s10
	s_addc_u32 s11, s7, s11
	s_load_b32 s10, s[10:11], 0x0
	s_add_u32 s11, s8, 1
	s_addc_u32 s12, s9, 0
	s_waitcnt lgkmcnt(0)
	s_cmp_gt_u32 s10, 9
	s_cselect_b32 s1, s1, s12
	s_cselect_b32 s0, s0, s11
	;; [unrolled: 1-line block ×4, first 2 shown]
	s_delay_alu instid0(SALU_CYCLE_1) | instskip(NEXT) | instid1(VALU_DEP_1)
	v_cmp_ge_i64_e64 s8, s[0:1], s[4:5]
	s_and_b32 vcc_lo, exec_lo, s8
	s_cbranch_vccz .LBB118_30
.LBB118_31:
	v_mov_b32_e32 v0, s0
	v_dual_mov_b32 v2, 0 :: v_dual_mov_b32 v1, s1
	global_store_b64 v2, v[0:1], s[2:3] offset:72
	s_nop 0
	s_sendmsg sendmsg(MSG_DEALLOC_VGPRS)
	s_endpgm
	.section	.rodata,"a",@progbits
	.p2align	6, 0x0
	.amdhsa_kernel _Z18upper_bound_kernelIjEvmPT_Pl
		.amdhsa_group_segment_fixed_size 0
		.amdhsa_private_segment_fixed_size 0
		.amdhsa_kernarg_size 24
		.amdhsa_user_sgpr_count 15
		.amdhsa_user_sgpr_dispatch_ptr 0
		.amdhsa_user_sgpr_queue_ptr 0
		.amdhsa_user_sgpr_kernarg_segment_ptr 1
		.amdhsa_user_sgpr_dispatch_id 0
		.amdhsa_user_sgpr_private_segment_size 0
		.amdhsa_wavefront_size32 1
		.amdhsa_uses_dynamic_stack 0
		.amdhsa_enable_private_segment 0
		.amdhsa_system_sgpr_workgroup_id_x 1
		.amdhsa_system_sgpr_workgroup_id_y 0
		.amdhsa_system_sgpr_workgroup_id_z 0
		.amdhsa_system_sgpr_workgroup_info 0
		.amdhsa_system_vgpr_workitem_id 0
		.amdhsa_next_free_vgpr 3
		.amdhsa_next_free_sgpr 17
		.amdhsa_reserve_vcc 1
		.amdhsa_float_round_mode_32 0
		.amdhsa_float_round_mode_16_64 0
		.amdhsa_float_denorm_mode_32 3
		.amdhsa_float_denorm_mode_16_64 3
		.amdhsa_dx10_clamp 1
		.amdhsa_ieee_mode 1
		.amdhsa_fp16_overflow 0
		.amdhsa_workgroup_processor_mode 1
		.amdhsa_memory_ordered 1
		.amdhsa_forward_progress 0
		.amdhsa_shared_vgpr_count 0
		.amdhsa_exception_fp_ieee_invalid_op 0
		.amdhsa_exception_fp_denorm_src 0
		.amdhsa_exception_fp_ieee_div_zero 0
		.amdhsa_exception_fp_ieee_overflow 0
		.amdhsa_exception_fp_ieee_underflow 0
		.amdhsa_exception_fp_ieee_inexact 0
		.amdhsa_exception_int_div_zero 0
	.end_amdhsa_kernel
	.section	.text._Z18upper_bound_kernelIjEvmPT_Pl,"axG",@progbits,_Z18upper_bound_kernelIjEvmPT_Pl,comdat
.Lfunc_end118:
	.size	_Z18upper_bound_kernelIjEvmPT_Pl, .Lfunc_end118-_Z18upper_bound_kernelIjEvmPT_Pl
                                        ; -- End function
	.section	.AMDGPU.csdata,"",@progbits
; Kernel info:
; codeLenInByte = 1648
; NumSgprs: 19
; NumVgprs: 3
; ScratchSize: 0
; MemoryBound: 0
; FloatMode: 240
; IeeeMode: 1
; LDSByteSize: 0 bytes/workgroup (compile time only)
; SGPRBlocks: 2
; VGPRBlocks: 0
; NumSGPRsForWavesPerEU: 19
; NumVGPRsForWavesPerEU: 3
; Occupancy: 16
; WaveLimiterHint : 0
; COMPUTE_PGM_RSRC2:SCRATCH_EN: 0
; COMPUTE_PGM_RSRC2:USER_SGPR: 15
; COMPUTE_PGM_RSRC2:TRAP_HANDLER: 0
; COMPUTE_PGM_RSRC2:TGID_X_EN: 1
; COMPUTE_PGM_RSRC2:TGID_Y_EN: 0
; COMPUTE_PGM_RSRC2:TGID_Z_EN: 0
; COMPUTE_PGM_RSRC2:TIDIG_COMP_CNT: 0
	.section	.text._ZN7rocprim17ROCPRIM_400000_NS6detail17trampoline_kernelINS0_14default_configENS1_27upper_bound_config_selectorIjlEEZNS1_14transform_implILb0ES3_S5_N6thrust23THRUST_200600_302600_NS17counting_iteratorIjNS8_11use_defaultESA_SA_EEPlZNS1_13binary_searchIS3_S5_PjSB_SC_NS1_21upper_bound_search_opENS8_6detail16wrapped_functionINS0_4lessIvEEbEEEE10hipError_tPvRmT1_T2_T3_mmT4_T5_P12ihipStream_tbEUlRKjE_EESL_SP_SQ_mSR_SU_bEUlT_E_NS1_11comp_targetILNS1_3genE0ELNS1_11target_archE4294967295ELNS1_3gpuE0ELNS1_3repE0EEENS1_30default_config_static_selectorELNS0_4arch9wavefront6targetE0EEEvSO_,"axG",@progbits,_ZN7rocprim17ROCPRIM_400000_NS6detail17trampoline_kernelINS0_14default_configENS1_27upper_bound_config_selectorIjlEEZNS1_14transform_implILb0ES3_S5_N6thrust23THRUST_200600_302600_NS17counting_iteratorIjNS8_11use_defaultESA_SA_EEPlZNS1_13binary_searchIS3_S5_PjSB_SC_NS1_21upper_bound_search_opENS8_6detail16wrapped_functionINS0_4lessIvEEbEEEE10hipError_tPvRmT1_T2_T3_mmT4_T5_P12ihipStream_tbEUlRKjE_EESL_SP_SQ_mSR_SU_bEUlT_E_NS1_11comp_targetILNS1_3genE0ELNS1_11target_archE4294967295ELNS1_3gpuE0ELNS1_3repE0EEENS1_30default_config_static_selectorELNS0_4arch9wavefront6targetE0EEEvSO_,comdat
	.protected	_ZN7rocprim17ROCPRIM_400000_NS6detail17trampoline_kernelINS0_14default_configENS1_27upper_bound_config_selectorIjlEEZNS1_14transform_implILb0ES3_S5_N6thrust23THRUST_200600_302600_NS17counting_iteratorIjNS8_11use_defaultESA_SA_EEPlZNS1_13binary_searchIS3_S5_PjSB_SC_NS1_21upper_bound_search_opENS8_6detail16wrapped_functionINS0_4lessIvEEbEEEE10hipError_tPvRmT1_T2_T3_mmT4_T5_P12ihipStream_tbEUlRKjE_EESL_SP_SQ_mSR_SU_bEUlT_E_NS1_11comp_targetILNS1_3genE0ELNS1_11target_archE4294967295ELNS1_3gpuE0ELNS1_3repE0EEENS1_30default_config_static_selectorELNS0_4arch9wavefront6targetE0EEEvSO_ ; -- Begin function _ZN7rocprim17ROCPRIM_400000_NS6detail17trampoline_kernelINS0_14default_configENS1_27upper_bound_config_selectorIjlEEZNS1_14transform_implILb0ES3_S5_N6thrust23THRUST_200600_302600_NS17counting_iteratorIjNS8_11use_defaultESA_SA_EEPlZNS1_13binary_searchIS3_S5_PjSB_SC_NS1_21upper_bound_search_opENS8_6detail16wrapped_functionINS0_4lessIvEEbEEEE10hipError_tPvRmT1_T2_T3_mmT4_T5_P12ihipStream_tbEUlRKjE_EESL_SP_SQ_mSR_SU_bEUlT_E_NS1_11comp_targetILNS1_3genE0ELNS1_11target_archE4294967295ELNS1_3gpuE0ELNS1_3repE0EEENS1_30default_config_static_selectorELNS0_4arch9wavefront6targetE0EEEvSO_
	.globl	_ZN7rocprim17ROCPRIM_400000_NS6detail17trampoline_kernelINS0_14default_configENS1_27upper_bound_config_selectorIjlEEZNS1_14transform_implILb0ES3_S5_N6thrust23THRUST_200600_302600_NS17counting_iteratorIjNS8_11use_defaultESA_SA_EEPlZNS1_13binary_searchIS3_S5_PjSB_SC_NS1_21upper_bound_search_opENS8_6detail16wrapped_functionINS0_4lessIvEEbEEEE10hipError_tPvRmT1_T2_T3_mmT4_T5_P12ihipStream_tbEUlRKjE_EESL_SP_SQ_mSR_SU_bEUlT_E_NS1_11comp_targetILNS1_3genE0ELNS1_11target_archE4294967295ELNS1_3gpuE0ELNS1_3repE0EEENS1_30default_config_static_selectorELNS0_4arch9wavefront6targetE0EEEvSO_
	.p2align	8
	.type	_ZN7rocprim17ROCPRIM_400000_NS6detail17trampoline_kernelINS0_14default_configENS1_27upper_bound_config_selectorIjlEEZNS1_14transform_implILb0ES3_S5_N6thrust23THRUST_200600_302600_NS17counting_iteratorIjNS8_11use_defaultESA_SA_EEPlZNS1_13binary_searchIS3_S5_PjSB_SC_NS1_21upper_bound_search_opENS8_6detail16wrapped_functionINS0_4lessIvEEbEEEE10hipError_tPvRmT1_T2_T3_mmT4_T5_P12ihipStream_tbEUlRKjE_EESL_SP_SQ_mSR_SU_bEUlT_E_NS1_11comp_targetILNS1_3genE0ELNS1_11target_archE4294967295ELNS1_3gpuE0ELNS1_3repE0EEENS1_30default_config_static_selectorELNS0_4arch9wavefront6targetE0EEEvSO_,@function
_ZN7rocprim17ROCPRIM_400000_NS6detail17trampoline_kernelINS0_14default_configENS1_27upper_bound_config_selectorIjlEEZNS1_14transform_implILb0ES3_S5_N6thrust23THRUST_200600_302600_NS17counting_iteratorIjNS8_11use_defaultESA_SA_EEPlZNS1_13binary_searchIS3_S5_PjSB_SC_NS1_21upper_bound_search_opENS8_6detail16wrapped_functionINS0_4lessIvEEbEEEE10hipError_tPvRmT1_T2_T3_mmT4_T5_P12ihipStream_tbEUlRKjE_EESL_SP_SQ_mSR_SU_bEUlT_E_NS1_11comp_targetILNS1_3genE0ELNS1_11target_archE4294967295ELNS1_3gpuE0ELNS1_3repE0EEENS1_30default_config_static_selectorELNS0_4arch9wavefront6targetE0EEEvSO_: ; @_ZN7rocprim17ROCPRIM_400000_NS6detail17trampoline_kernelINS0_14default_configENS1_27upper_bound_config_selectorIjlEEZNS1_14transform_implILb0ES3_S5_N6thrust23THRUST_200600_302600_NS17counting_iteratorIjNS8_11use_defaultESA_SA_EEPlZNS1_13binary_searchIS3_S5_PjSB_SC_NS1_21upper_bound_search_opENS8_6detail16wrapped_functionINS0_4lessIvEEbEEEE10hipError_tPvRmT1_T2_T3_mmT4_T5_P12ihipStream_tbEUlRKjE_EESL_SP_SQ_mSR_SU_bEUlT_E_NS1_11comp_targetILNS1_3genE0ELNS1_11target_archE4294967295ELNS1_3gpuE0ELNS1_3repE0EEENS1_30default_config_static_selectorELNS0_4arch9wavefront6targetE0EEEvSO_
; %bb.0:
	.section	.rodata,"a",@progbits
	.p2align	6, 0x0
	.amdhsa_kernel _ZN7rocprim17ROCPRIM_400000_NS6detail17trampoline_kernelINS0_14default_configENS1_27upper_bound_config_selectorIjlEEZNS1_14transform_implILb0ES3_S5_N6thrust23THRUST_200600_302600_NS17counting_iteratorIjNS8_11use_defaultESA_SA_EEPlZNS1_13binary_searchIS3_S5_PjSB_SC_NS1_21upper_bound_search_opENS8_6detail16wrapped_functionINS0_4lessIvEEbEEEE10hipError_tPvRmT1_T2_T3_mmT4_T5_P12ihipStream_tbEUlRKjE_EESL_SP_SQ_mSR_SU_bEUlT_E_NS1_11comp_targetILNS1_3genE0ELNS1_11target_archE4294967295ELNS1_3gpuE0ELNS1_3repE0EEENS1_30default_config_static_selectorELNS0_4arch9wavefront6targetE0EEEvSO_
		.amdhsa_group_segment_fixed_size 0
		.amdhsa_private_segment_fixed_size 0
		.amdhsa_kernarg_size 56
		.amdhsa_user_sgpr_count 15
		.amdhsa_user_sgpr_dispatch_ptr 0
		.amdhsa_user_sgpr_queue_ptr 0
		.amdhsa_user_sgpr_kernarg_segment_ptr 1
		.amdhsa_user_sgpr_dispatch_id 0
		.amdhsa_user_sgpr_private_segment_size 0
		.amdhsa_wavefront_size32 1
		.amdhsa_uses_dynamic_stack 0
		.amdhsa_enable_private_segment 0
		.amdhsa_system_sgpr_workgroup_id_x 1
		.amdhsa_system_sgpr_workgroup_id_y 0
		.amdhsa_system_sgpr_workgroup_id_z 0
		.amdhsa_system_sgpr_workgroup_info 0
		.amdhsa_system_vgpr_workitem_id 0
		.amdhsa_next_free_vgpr 1
		.amdhsa_next_free_sgpr 1
		.amdhsa_reserve_vcc 0
		.amdhsa_float_round_mode_32 0
		.amdhsa_float_round_mode_16_64 0
		.amdhsa_float_denorm_mode_32 3
		.amdhsa_float_denorm_mode_16_64 3
		.amdhsa_dx10_clamp 1
		.amdhsa_ieee_mode 1
		.amdhsa_fp16_overflow 0
		.amdhsa_workgroup_processor_mode 1
		.amdhsa_memory_ordered 1
		.amdhsa_forward_progress 0
		.amdhsa_shared_vgpr_count 0
		.amdhsa_exception_fp_ieee_invalid_op 0
		.amdhsa_exception_fp_denorm_src 0
		.amdhsa_exception_fp_ieee_div_zero 0
		.amdhsa_exception_fp_ieee_overflow 0
		.amdhsa_exception_fp_ieee_underflow 0
		.amdhsa_exception_fp_ieee_inexact 0
		.amdhsa_exception_int_div_zero 0
	.end_amdhsa_kernel
	.section	.text._ZN7rocprim17ROCPRIM_400000_NS6detail17trampoline_kernelINS0_14default_configENS1_27upper_bound_config_selectorIjlEEZNS1_14transform_implILb0ES3_S5_N6thrust23THRUST_200600_302600_NS17counting_iteratorIjNS8_11use_defaultESA_SA_EEPlZNS1_13binary_searchIS3_S5_PjSB_SC_NS1_21upper_bound_search_opENS8_6detail16wrapped_functionINS0_4lessIvEEbEEEE10hipError_tPvRmT1_T2_T3_mmT4_T5_P12ihipStream_tbEUlRKjE_EESL_SP_SQ_mSR_SU_bEUlT_E_NS1_11comp_targetILNS1_3genE0ELNS1_11target_archE4294967295ELNS1_3gpuE0ELNS1_3repE0EEENS1_30default_config_static_selectorELNS0_4arch9wavefront6targetE0EEEvSO_,"axG",@progbits,_ZN7rocprim17ROCPRIM_400000_NS6detail17trampoline_kernelINS0_14default_configENS1_27upper_bound_config_selectorIjlEEZNS1_14transform_implILb0ES3_S5_N6thrust23THRUST_200600_302600_NS17counting_iteratorIjNS8_11use_defaultESA_SA_EEPlZNS1_13binary_searchIS3_S5_PjSB_SC_NS1_21upper_bound_search_opENS8_6detail16wrapped_functionINS0_4lessIvEEbEEEE10hipError_tPvRmT1_T2_T3_mmT4_T5_P12ihipStream_tbEUlRKjE_EESL_SP_SQ_mSR_SU_bEUlT_E_NS1_11comp_targetILNS1_3genE0ELNS1_11target_archE4294967295ELNS1_3gpuE0ELNS1_3repE0EEENS1_30default_config_static_selectorELNS0_4arch9wavefront6targetE0EEEvSO_,comdat
.Lfunc_end119:
	.size	_ZN7rocprim17ROCPRIM_400000_NS6detail17trampoline_kernelINS0_14default_configENS1_27upper_bound_config_selectorIjlEEZNS1_14transform_implILb0ES3_S5_N6thrust23THRUST_200600_302600_NS17counting_iteratorIjNS8_11use_defaultESA_SA_EEPlZNS1_13binary_searchIS3_S5_PjSB_SC_NS1_21upper_bound_search_opENS8_6detail16wrapped_functionINS0_4lessIvEEbEEEE10hipError_tPvRmT1_T2_T3_mmT4_T5_P12ihipStream_tbEUlRKjE_EESL_SP_SQ_mSR_SU_bEUlT_E_NS1_11comp_targetILNS1_3genE0ELNS1_11target_archE4294967295ELNS1_3gpuE0ELNS1_3repE0EEENS1_30default_config_static_selectorELNS0_4arch9wavefront6targetE0EEEvSO_, .Lfunc_end119-_ZN7rocprim17ROCPRIM_400000_NS6detail17trampoline_kernelINS0_14default_configENS1_27upper_bound_config_selectorIjlEEZNS1_14transform_implILb0ES3_S5_N6thrust23THRUST_200600_302600_NS17counting_iteratorIjNS8_11use_defaultESA_SA_EEPlZNS1_13binary_searchIS3_S5_PjSB_SC_NS1_21upper_bound_search_opENS8_6detail16wrapped_functionINS0_4lessIvEEbEEEE10hipError_tPvRmT1_T2_T3_mmT4_T5_P12ihipStream_tbEUlRKjE_EESL_SP_SQ_mSR_SU_bEUlT_E_NS1_11comp_targetILNS1_3genE0ELNS1_11target_archE4294967295ELNS1_3gpuE0ELNS1_3repE0EEENS1_30default_config_static_selectorELNS0_4arch9wavefront6targetE0EEEvSO_
                                        ; -- End function
	.section	.AMDGPU.csdata,"",@progbits
; Kernel info:
; codeLenInByte = 0
; NumSgprs: 0
; NumVgprs: 0
; ScratchSize: 0
; MemoryBound: 0
; FloatMode: 240
; IeeeMode: 1
; LDSByteSize: 0 bytes/workgroup (compile time only)
; SGPRBlocks: 0
; VGPRBlocks: 0
; NumSGPRsForWavesPerEU: 1
; NumVGPRsForWavesPerEU: 1
; Occupancy: 16
; WaveLimiterHint : 0
; COMPUTE_PGM_RSRC2:SCRATCH_EN: 0
; COMPUTE_PGM_RSRC2:USER_SGPR: 15
; COMPUTE_PGM_RSRC2:TRAP_HANDLER: 0
; COMPUTE_PGM_RSRC2:TGID_X_EN: 1
; COMPUTE_PGM_RSRC2:TGID_Y_EN: 0
; COMPUTE_PGM_RSRC2:TGID_Z_EN: 0
; COMPUTE_PGM_RSRC2:TIDIG_COMP_CNT: 0
	.section	.text._ZN7rocprim17ROCPRIM_400000_NS6detail17trampoline_kernelINS0_14default_configENS1_27upper_bound_config_selectorIjlEEZNS1_14transform_implILb0ES3_S5_N6thrust23THRUST_200600_302600_NS17counting_iteratorIjNS8_11use_defaultESA_SA_EEPlZNS1_13binary_searchIS3_S5_PjSB_SC_NS1_21upper_bound_search_opENS8_6detail16wrapped_functionINS0_4lessIvEEbEEEE10hipError_tPvRmT1_T2_T3_mmT4_T5_P12ihipStream_tbEUlRKjE_EESL_SP_SQ_mSR_SU_bEUlT_E_NS1_11comp_targetILNS1_3genE5ELNS1_11target_archE942ELNS1_3gpuE9ELNS1_3repE0EEENS1_30default_config_static_selectorELNS0_4arch9wavefront6targetE0EEEvSO_,"axG",@progbits,_ZN7rocprim17ROCPRIM_400000_NS6detail17trampoline_kernelINS0_14default_configENS1_27upper_bound_config_selectorIjlEEZNS1_14transform_implILb0ES3_S5_N6thrust23THRUST_200600_302600_NS17counting_iteratorIjNS8_11use_defaultESA_SA_EEPlZNS1_13binary_searchIS3_S5_PjSB_SC_NS1_21upper_bound_search_opENS8_6detail16wrapped_functionINS0_4lessIvEEbEEEE10hipError_tPvRmT1_T2_T3_mmT4_T5_P12ihipStream_tbEUlRKjE_EESL_SP_SQ_mSR_SU_bEUlT_E_NS1_11comp_targetILNS1_3genE5ELNS1_11target_archE942ELNS1_3gpuE9ELNS1_3repE0EEENS1_30default_config_static_selectorELNS0_4arch9wavefront6targetE0EEEvSO_,comdat
	.protected	_ZN7rocprim17ROCPRIM_400000_NS6detail17trampoline_kernelINS0_14default_configENS1_27upper_bound_config_selectorIjlEEZNS1_14transform_implILb0ES3_S5_N6thrust23THRUST_200600_302600_NS17counting_iteratorIjNS8_11use_defaultESA_SA_EEPlZNS1_13binary_searchIS3_S5_PjSB_SC_NS1_21upper_bound_search_opENS8_6detail16wrapped_functionINS0_4lessIvEEbEEEE10hipError_tPvRmT1_T2_T3_mmT4_T5_P12ihipStream_tbEUlRKjE_EESL_SP_SQ_mSR_SU_bEUlT_E_NS1_11comp_targetILNS1_3genE5ELNS1_11target_archE942ELNS1_3gpuE9ELNS1_3repE0EEENS1_30default_config_static_selectorELNS0_4arch9wavefront6targetE0EEEvSO_ ; -- Begin function _ZN7rocprim17ROCPRIM_400000_NS6detail17trampoline_kernelINS0_14default_configENS1_27upper_bound_config_selectorIjlEEZNS1_14transform_implILb0ES3_S5_N6thrust23THRUST_200600_302600_NS17counting_iteratorIjNS8_11use_defaultESA_SA_EEPlZNS1_13binary_searchIS3_S5_PjSB_SC_NS1_21upper_bound_search_opENS8_6detail16wrapped_functionINS0_4lessIvEEbEEEE10hipError_tPvRmT1_T2_T3_mmT4_T5_P12ihipStream_tbEUlRKjE_EESL_SP_SQ_mSR_SU_bEUlT_E_NS1_11comp_targetILNS1_3genE5ELNS1_11target_archE942ELNS1_3gpuE9ELNS1_3repE0EEENS1_30default_config_static_selectorELNS0_4arch9wavefront6targetE0EEEvSO_
	.globl	_ZN7rocprim17ROCPRIM_400000_NS6detail17trampoline_kernelINS0_14default_configENS1_27upper_bound_config_selectorIjlEEZNS1_14transform_implILb0ES3_S5_N6thrust23THRUST_200600_302600_NS17counting_iteratorIjNS8_11use_defaultESA_SA_EEPlZNS1_13binary_searchIS3_S5_PjSB_SC_NS1_21upper_bound_search_opENS8_6detail16wrapped_functionINS0_4lessIvEEbEEEE10hipError_tPvRmT1_T2_T3_mmT4_T5_P12ihipStream_tbEUlRKjE_EESL_SP_SQ_mSR_SU_bEUlT_E_NS1_11comp_targetILNS1_3genE5ELNS1_11target_archE942ELNS1_3gpuE9ELNS1_3repE0EEENS1_30default_config_static_selectorELNS0_4arch9wavefront6targetE0EEEvSO_
	.p2align	8
	.type	_ZN7rocprim17ROCPRIM_400000_NS6detail17trampoline_kernelINS0_14default_configENS1_27upper_bound_config_selectorIjlEEZNS1_14transform_implILb0ES3_S5_N6thrust23THRUST_200600_302600_NS17counting_iteratorIjNS8_11use_defaultESA_SA_EEPlZNS1_13binary_searchIS3_S5_PjSB_SC_NS1_21upper_bound_search_opENS8_6detail16wrapped_functionINS0_4lessIvEEbEEEE10hipError_tPvRmT1_T2_T3_mmT4_T5_P12ihipStream_tbEUlRKjE_EESL_SP_SQ_mSR_SU_bEUlT_E_NS1_11comp_targetILNS1_3genE5ELNS1_11target_archE942ELNS1_3gpuE9ELNS1_3repE0EEENS1_30default_config_static_selectorELNS0_4arch9wavefront6targetE0EEEvSO_,@function
_ZN7rocprim17ROCPRIM_400000_NS6detail17trampoline_kernelINS0_14default_configENS1_27upper_bound_config_selectorIjlEEZNS1_14transform_implILb0ES3_S5_N6thrust23THRUST_200600_302600_NS17counting_iteratorIjNS8_11use_defaultESA_SA_EEPlZNS1_13binary_searchIS3_S5_PjSB_SC_NS1_21upper_bound_search_opENS8_6detail16wrapped_functionINS0_4lessIvEEbEEEE10hipError_tPvRmT1_T2_T3_mmT4_T5_P12ihipStream_tbEUlRKjE_EESL_SP_SQ_mSR_SU_bEUlT_E_NS1_11comp_targetILNS1_3genE5ELNS1_11target_archE942ELNS1_3gpuE9ELNS1_3repE0EEENS1_30default_config_static_selectorELNS0_4arch9wavefront6targetE0EEEvSO_: ; @_ZN7rocprim17ROCPRIM_400000_NS6detail17trampoline_kernelINS0_14default_configENS1_27upper_bound_config_selectorIjlEEZNS1_14transform_implILb0ES3_S5_N6thrust23THRUST_200600_302600_NS17counting_iteratorIjNS8_11use_defaultESA_SA_EEPlZNS1_13binary_searchIS3_S5_PjSB_SC_NS1_21upper_bound_search_opENS8_6detail16wrapped_functionINS0_4lessIvEEbEEEE10hipError_tPvRmT1_T2_T3_mmT4_T5_P12ihipStream_tbEUlRKjE_EESL_SP_SQ_mSR_SU_bEUlT_E_NS1_11comp_targetILNS1_3genE5ELNS1_11target_archE942ELNS1_3gpuE9ELNS1_3repE0EEENS1_30default_config_static_selectorELNS0_4arch9wavefront6targetE0EEEvSO_
; %bb.0:
	.section	.rodata,"a",@progbits
	.p2align	6, 0x0
	.amdhsa_kernel _ZN7rocprim17ROCPRIM_400000_NS6detail17trampoline_kernelINS0_14default_configENS1_27upper_bound_config_selectorIjlEEZNS1_14transform_implILb0ES3_S5_N6thrust23THRUST_200600_302600_NS17counting_iteratorIjNS8_11use_defaultESA_SA_EEPlZNS1_13binary_searchIS3_S5_PjSB_SC_NS1_21upper_bound_search_opENS8_6detail16wrapped_functionINS0_4lessIvEEbEEEE10hipError_tPvRmT1_T2_T3_mmT4_T5_P12ihipStream_tbEUlRKjE_EESL_SP_SQ_mSR_SU_bEUlT_E_NS1_11comp_targetILNS1_3genE5ELNS1_11target_archE942ELNS1_3gpuE9ELNS1_3repE0EEENS1_30default_config_static_selectorELNS0_4arch9wavefront6targetE0EEEvSO_
		.amdhsa_group_segment_fixed_size 0
		.amdhsa_private_segment_fixed_size 0
		.amdhsa_kernarg_size 56
		.amdhsa_user_sgpr_count 15
		.amdhsa_user_sgpr_dispatch_ptr 0
		.amdhsa_user_sgpr_queue_ptr 0
		.amdhsa_user_sgpr_kernarg_segment_ptr 1
		.amdhsa_user_sgpr_dispatch_id 0
		.amdhsa_user_sgpr_private_segment_size 0
		.amdhsa_wavefront_size32 1
		.amdhsa_uses_dynamic_stack 0
		.amdhsa_enable_private_segment 0
		.amdhsa_system_sgpr_workgroup_id_x 1
		.amdhsa_system_sgpr_workgroup_id_y 0
		.amdhsa_system_sgpr_workgroup_id_z 0
		.amdhsa_system_sgpr_workgroup_info 0
		.amdhsa_system_vgpr_workitem_id 0
		.amdhsa_next_free_vgpr 1
		.amdhsa_next_free_sgpr 1
		.amdhsa_reserve_vcc 0
		.amdhsa_float_round_mode_32 0
		.amdhsa_float_round_mode_16_64 0
		.amdhsa_float_denorm_mode_32 3
		.amdhsa_float_denorm_mode_16_64 3
		.amdhsa_dx10_clamp 1
		.amdhsa_ieee_mode 1
		.amdhsa_fp16_overflow 0
		.amdhsa_workgroup_processor_mode 1
		.amdhsa_memory_ordered 1
		.amdhsa_forward_progress 0
		.amdhsa_shared_vgpr_count 0
		.amdhsa_exception_fp_ieee_invalid_op 0
		.amdhsa_exception_fp_denorm_src 0
		.amdhsa_exception_fp_ieee_div_zero 0
		.amdhsa_exception_fp_ieee_overflow 0
		.amdhsa_exception_fp_ieee_underflow 0
		.amdhsa_exception_fp_ieee_inexact 0
		.amdhsa_exception_int_div_zero 0
	.end_amdhsa_kernel
	.section	.text._ZN7rocprim17ROCPRIM_400000_NS6detail17trampoline_kernelINS0_14default_configENS1_27upper_bound_config_selectorIjlEEZNS1_14transform_implILb0ES3_S5_N6thrust23THRUST_200600_302600_NS17counting_iteratorIjNS8_11use_defaultESA_SA_EEPlZNS1_13binary_searchIS3_S5_PjSB_SC_NS1_21upper_bound_search_opENS8_6detail16wrapped_functionINS0_4lessIvEEbEEEE10hipError_tPvRmT1_T2_T3_mmT4_T5_P12ihipStream_tbEUlRKjE_EESL_SP_SQ_mSR_SU_bEUlT_E_NS1_11comp_targetILNS1_3genE5ELNS1_11target_archE942ELNS1_3gpuE9ELNS1_3repE0EEENS1_30default_config_static_selectorELNS0_4arch9wavefront6targetE0EEEvSO_,"axG",@progbits,_ZN7rocprim17ROCPRIM_400000_NS6detail17trampoline_kernelINS0_14default_configENS1_27upper_bound_config_selectorIjlEEZNS1_14transform_implILb0ES3_S5_N6thrust23THRUST_200600_302600_NS17counting_iteratorIjNS8_11use_defaultESA_SA_EEPlZNS1_13binary_searchIS3_S5_PjSB_SC_NS1_21upper_bound_search_opENS8_6detail16wrapped_functionINS0_4lessIvEEbEEEE10hipError_tPvRmT1_T2_T3_mmT4_T5_P12ihipStream_tbEUlRKjE_EESL_SP_SQ_mSR_SU_bEUlT_E_NS1_11comp_targetILNS1_3genE5ELNS1_11target_archE942ELNS1_3gpuE9ELNS1_3repE0EEENS1_30default_config_static_selectorELNS0_4arch9wavefront6targetE0EEEvSO_,comdat
.Lfunc_end120:
	.size	_ZN7rocprim17ROCPRIM_400000_NS6detail17trampoline_kernelINS0_14default_configENS1_27upper_bound_config_selectorIjlEEZNS1_14transform_implILb0ES3_S5_N6thrust23THRUST_200600_302600_NS17counting_iteratorIjNS8_11use_defaultESA_SA_EEPlZNS1_13binary_searchIS3_S5_PjSB_SC_NS1_21upper_bound_search_opENS8_6detail16wrapped_functionINS0_4lessIvEEbEEEE10hipError_tPvRmT1_T2_T3_mmT4_T5_P12ihipStream_tbEUlRKjE_EESL_SP_SQ_mSR_SU_bEUlT_E_NS1_11comp_targetILNS1_3genE5ELNS1_11target_archE942ELNS1_3gpuE9ELNS1_3repE0EEENS1_30default_config_static_selectorELNS0_4arch9wavefront6targetE0EEEvSO_, .Lfunc_end120-_ZN7rocprim17ROCPRIM_400000_NS6detail17trampoline_kernelINS0_14default_configENS1_27upper_bound_config_selectorIjlEEZNS1_14transform_implILb0ES3_S5_N6thrust23THRUST_200600_302600_NS17counting_iteratorIjNS8_11use_defaultESA_SA_EEPlZNS1_13binary_searchIS3_S5_PjSB_SC_NS1_21upper_bound_search_opENS8_6detail16wrapped_functionINS0_4lessIvEEbEEEE10hipError_tPvRmT1_T2_T3_mmT4_T5_P12ihipStream_tbEUlRKjE_EESL_SP_SQ_mSR_SU_bEUlT_E_NS1_11comp_targetILNS1_3genE5ELNS1_11target_archE942ELNS1_3gpuE9ELNS1_3repE0EEENS1_30default_config_static_selectorELNS0_4arch9wavefront6targetE0EEEvSO_
                                        ; -- End function
	.section	.AMDGPU.csdata,"",@progbits
; Kernel info:
; codeLenInByte = 0
; NumSgprs: 0
; NumVgprs: 0
; ScratchSize: 0
; MemoryBound: 0
; FloatMode: 240
; IeeeMode: 1
; LDSByteSize: 0 bytes/workgroup (compile time only)
; SGPRBlocks: 0
; VGPRBlocks: 0
; NumSGPRsForWavesPerEU: 1
; NumVGPRsForWavesPerEU: 1
; Occupancy: 16
; WaveLimiterHint : 0
; COMPUTE_PGM_RSRC2:SCRATCH_EN: 0
; COMPUTE_PGM_RSRC2:USER_SGPR: 15
; COMPUTE_PGM_RSRC2:TRAP_HANDLER: 0
; COMPUTE_PGM_RSRC2:TGID_X_EN: 1
; COMPUTE_PGM_RSRC2:TGID_Y_EN: 0
; COMPUTE_PGM_RSRC2:TGID_Z_EN: 0
; COMPUTE_PGM_RSRC2:TIDIG_COMP_CNT: 0
	.section	.text._ZN7rocprim17ROCPRIM_400000_NS6detail17trampoline_kernelINS0_14default_configENS1_27upper_bound_config_selectorIjlEEZNS1_14transform_implILb0ES3_S5_N6thrust23THRUST_200600_302600_NS17counting_iteratorIjNS8_11use_defaultESA_SA_EEPlZNS1_13binary_searchIS3_S5_PjSB_SC_NS1_21upper_bound_search_opENS8_6detail16wrapped_functionINS0_4lessIvEEbEEEE10hipError_tPvRmT1_T2_T3_mmT4_T5_P12ihipStream_tbEUlRKjE_EESL_SP_SQ_mSR_SU_bEUlT_E_NS1_11comp_targetILNS1_3genE4ELNS1_11target_archE910ELNS1_3gpuE8ELNS1_3repE0EEENS1_30default_config_static_selectorELNS0_4arch9wavefront6targetE0EEEvSO_,"axG",@progbits,_ZN7rocprim17ROCPRIM_400000_NS6detail17trampoline_kernelINS0_14default_configENS1_27upper_bound_config_selectorIjlEEZNS1_14transform_implILb0ES3_S5_N6thrust23THRUST_200600_302600_NS17counting_iteratorIjNS8_11use_defaultESA_SA_EEPlZNS1_13binary_searchIS3_S5_PjSB_SC_NS1_21upper_bound_search_opENS8_6detail16wrapped_functionINS0_4lessIvEEbEEEE10hipError_tPvRmT1_T2_T3_mmT4_T5_P12ihipStream_tbEUlRKjE_EESL_SP_SQ_mSR_SU_bEUlT_E_NS1_11comp_targetILNS1_3genE4ELNS1_11target_archE910ELNS1_3gpuE8ELNS1_3repE0EEENS1_30default_config_static_selectorELNS0_4arch9wavefront6targetE0EEEvSO_,comdat
	.protected	_ZN7rocprim17ROCPRIM_400000_NS6detail17trampoline_kernelINS0_14default_configENS1_27upper_bound_config_selectorIjlEEZNS1_14transform_implILb0ES3_S5_N6thrust23THRUST_200600_302600_NS17counting_iteratorIjNS8_11use_defaultESA_SA_EEPlZNS1_13binary_searchIS3_S5_PjSB_SC_NS1_21upper_bound_search_opENS8_6detail16wrapped_functionINS0_4lessIvEEbEEEE10hipError_tPvRmT1_T2_T3_mmT4_T5_P12ihipStream_tbEUlRKjE_EESL_SP_SQ_mSR_SU_bEUlT_E_NS1_11comp_targetILNS1_3genE4ELNS1_11target_archE910ELNS1_3gpuE8ELNS1_3repE0EEENS1_30default_config_static_selectorELNS0_4arch9wavefront6targetE0EEEvSO_ ; -- Begin function _ZN7rocprim17ROCPRIM_400000_NS6detail17trampoline_kernelINS0_14default_configENS1_27upper_bound_config_selectorIjlEEZNS1_14transform_implILb0ES3_S5_N6thrust23THRUST_200600_302600_NS17counting_iteratorIjNS8_11use_defaultESA_SA_EEPlZNS1_13binary_searchIS3_S5_PjSB_SC_NS1_21upper_bound_search_opENS8_6detail16wrapped_functionINS0_4lessIvEEbEEEE10hipError_tPvRmT1_T2_T3_mmT4_T5_P12ihipStream_tbEUlRKjE_EESL_SP_SQ_mSR_SU_bEUlT_E_NS1_11comp_targetILNS1_3genE4ELNS1_11target_archE910ELNS1_3gpuE8ELNS1_3repE0EEENS1_30default_config_static_selectorELNS0_4arch9wavefront6targetE0EEEvSO_
	.globl	_ZN7rocprim17ROCPRIM_400000_NS6detail17trampoline_kernelINS0_14default_configENS1_27upper_bound_config_selectorIjlEEZNS1_14transform_implILb0ES3_S5_N6thrust23THRUST_200600_302600_NS17counting_iteratorIjNS8_11use_defaultESA_SA_EEPlZNS1_13binary_searchIS3_S5_PjSB_SC_NS1_21upper_bound_search_opENS8_6detail16wrapped_functionINS0_4lessIvEEbEEEE10hipError_tPvRmT1_T2_T3_mmT4_T5_P12ihipStream_tbEUlRKjE_EESL_SP_SQ_mSR_SU_bEUlT_E_NS1_11comp_targetILNS1_3genE4ELNS1_11target_archE910ELNS1_3gpuE8ELNS1_3repE0EEENS1_30default_config_static_selectorELNS0_4arch9wavefront6targetE0EEEvSO_
	.p2align	8
	.type	_ZN7rocprim17ROCPRIM_400000_NS6detail17trampoline_kernelINS0_14default_configENS1_27upper_bound_config_selectorIjlEEZNS1_14transform_implILb0ES3_S5_N6thrust23THRUST_200600_302600_NS17counting_iteratorIjNS8_11use_defaultESA_SA_EEPlZNS1_13binary_searchIS3_S5_PjSB_SC_NS1_21upper_bound_search_opENS8_6detail16wrapped_functionINS0_4lessIvEEbEEEE10hipError_tPvRmT1_T2_T3_mmT4_T5_P12ihipStream_tbEUlRKjE_EESL_SP_SQ_mSR_SU_bEUlT_E_NS1_11comp_targetILNS1_3genE4ELNS1_11target_archE910ELNS1_3gpuE8ELNS1_3repE0EEENS1_30default_config_static_selectorELNS0_4arch9wavefront6targetE0EEEvSO_,@function
_ZN7rocprim17ROCPRIM_400000_NS6detail17trampoline_kernelINS0_14default_configENS1_27upper_bound_config_selectorIjlEEZNS1_14transform_implILb0ES3_S5_N6thrust23THRUST_200600_302600_NS17counting_iteratorIjNS8_11use_defaultESA_SA_EEPlZNS1_13binary_searchIS3_S5_PjSB_SC_NS1_21upper_bound_search_opENS8_6detail16wrapped_functionINS0_4lessIvEEbEEEE10hipError_tPvRmT1_T2_T3_mmT4_T5_P12ihipStream_tbEUlRKjE_EESL_SP_SQ_mSR_SU_bEUlT_E_NS1_11comp_targetILNS1_3genE4ELNS1_11target_archE910ELNS1_3gpuE8ELNS1_3repE0EEENS1_30default_config_static_selectorELNS0_4arch9wavefront6targetE0EEEvSO_: ; @_ZN7rocprim17ROCPRIM_400000_NS6detail17trampoline_kernelINS0_14default_configENS1_27upper_bound_config_selectorIjlEEZNS1_14transform_implILb0ES3_S5_N6thrust23THRUST_200600_302600_NS17counting_iteratorIjNS8_11use_defaultESA_SA_EEPlZNS1_13binary_searchIS3_S5_PjSB_SC_NS1_21upper_bound_search_opENS8_6detail16wrapped_functionINS0_4lessIvEEbEEEE10hipError_tPvRmT1_T2_T3_mmT4_T5_P12ihipStream_tbEUlRKjE_EESL_SP_SQ_mSR_SU_bEUlT_E_NS1_11comp_targetILNS1_3genE4ELNS1_11target_archE910ELNS1_3gpuE8ELNS1_3repE0EEENS1_30default_config_static_selectorELNS0_4arch9wavefront6targetE0EEEvSO_
; %bb.0:
	.section	.rodata,"a",@progbits
	.p2align	6, 0x0
	.amdhsa_kernel _ZN7rocprim17ROCPRIM_400000_NS6detail17trampoline_kernelINS0_14default_configENS1_27upper_bound_config_selectorIjlEEZNS1_14transform_implILb0ES3_S5_N6thrust23THRUST_200600_302600_NS17counting_iteratorIjNS8_11use_defaultESA_SA_EEPlZNS1_13binary_searchIS3_S5_PjSB_SC_NS1_21upper_bound_search_opENS8_6detail16wrapped_functionINS0_4lessIvEEbEEEE10hipError_tPvRmT1_T2_T3_mmT4_T5_P12ihipStream_tbEUlRKjE_EESL_SP_SQ_mSR_SU_bEUlT_E_NS1_11comp_targetILNS1_3genE4ELNS1_11target_archE910ELNS1_3gpuE8ELNS1_3repE0EEENS1_30default_config_static_selectorELNS0_4arch9wavefront6targetE0EEEvSO_
		.amdhsa_group_segment_fixed_size 0
		.amdhsa_private_segment_fixed_size 0
		.amdhsa_kernarg_size 56
		.amdhsa_user_sgpr_count 15
		.amdhsa_user_sgpr_dispatch_ptr 0
		.amdhsa_user_sgpr_queue_ptr 0
		.amdhsa_user_sgpr_kernarg_segment_ptr 1
		.amdhsa_user_sgpr_dispatch_id 0
		.amdhsa_user_sgpr_private_segment_size 0
		.amdhsa_wavefront_size32 1
		.amdhsa_uses_dynamic_stack 0
		.amdhsa_enable_private_segment 0
		.amdhsa_system_sgpr_workgroup_id_x 1
		.amdhsa_system_sgpr_workgroup_id_y 0
		.amdhsa_system_sgpr_workgroup_id_z 0
		.amdhsa_system_sgpr_workgroup_info 0
		.amdhsa_system_vgpr_workitem_id 0
		.amdhsa_next_free_vgpr 1
		.amdhsa_next_free_sgpr 1
		.amdhsa_reserve_vcc 0
		.amdhsa_float_round_mode_32 0
		.amdhsa_float_round_mode_16_64 0
		.amdhsa_float_denorm_mode_32 3
		.amdhsa_float_denorm_mode_16_64 3
		.amdhsa_dx10_clamp 1
		.amdhsa_ieee_mode 1
		.amdhsa_fp16_overflow 0
		.amdhsa_workgroup_processor_mode 1
		.amdhsa_memory_ordered 1
		.amdhsa_forward_progress 0
		.amdhsa_shared_vgpr_count 0
		.amdhsa_exception_fp_ieee_invalid_op 0
		.amdhsa_exception_fp_denorm_src 0
		.amdhsa_exception_fp_ieee_div_zero 0
		.amdhsa_exception_fp_ieee_overflow 0
		.amdhsa_exception_fp_ieee_underflow 0
		.amdhsa_exception_fp_ieee_inexact 0
		.amdhsa_exception_int_div_zero 0
	.end_amdhsa_kernel
	.section	.text._ZN7rocprim17ROCPRIM_400000_NS6detail17trampoline_kernelINS0_14default_configENS1_27upper_bound_config_selectorIjlEEZNS1_14transform_implILb0ES3_S5_N6thrust23THRUST_200600_302600_NS17counting_iteratorIjNS8_11use_defaultESA_SA_EEPlZNS1_13binary_searchIS3_S5_PjSB_SC_NS1_21upper_bound_search_opENS8_6detail16wrapped_functionINS0_4lessIvEEbEEEE10hipError_tPvRmT1_T2_T3_mmT4_T5_P12ihipStream_tbEUlRKjE_EESL_SP_SQ_mSR_SU_bEUlT_E_NS1_11comp_targetILNS1_3genE4ELNS1_11target_archE910ELNS1_3gpuE8ELNS1_3repE0EEENS1_30default_config_static_selectorELNS0_4arch9wavefront6targetE0EEEvSO_,"axG",@progbits,_ZN7rocprim17ROCPRIM_400000_NS6detail17trampoline_kernelINS0_14default_configENS1_27upper_bound_config_selectorIjlEEZNS1_14transform_implILb0ES3_S5_N6thrust23THRUST_200600_302600_NS17counting_iteratorIjNS8_11use_defaultESA_SA_EEPlZNS1_13binary_searchIS3_S5_PjSB_SC_NS1_21upper_bound_search_opENS8_6detail16wrapped_functionINS0_4lessIvEEbEEEE10hipError_tPvRmT1_T2_T3_mmT4_T5_P12ihipStream_tbEUlRKjE_EESL_SP_SQ_mSR_SU_bEUlT_E_NS1_11comp_targetILNS1_3genE4ELNS1_11target_archE910ELNS1_3gpuE8ELNS1_3repE0EEENS1_30default_config_static_selectorELNS0_4arch9wavefront6targetE0EEEvSO_,comdat
.Lfunc_end121:
	.size	_ZN7rocprim17ROCPRIM_400000_NS6detail17trampoline_kernelINS0_14default_configENS1_27upper_bound_config_selectorIjlEEZNS1_14transform_implILb0ES3_S5_N6thrust23THRUST_200600_302600_NS17counting_iteratorIjNS8_11use_defaultESA_SA_EEPlZNS1_13binary_searchIS3_S5_PjSB_SC_NS1_21upper_bound_search_opENS8_6detail16wrapped_functionINS0_4lessIvEEbEEEE10hipError_tPvRmT1_T2_T3_mmT4_T5_P12ihipStream_tbEUlRKjE_EESL_SP_SQ_mSR_SU_bEUlT_E_NS1_11comp_targetILNS1_3genE4ELNS1_11target_archE910ELNS1_3gpuE8ELNS1_3repE0EEENS1_30default_config_static_selectorELNS0_4arch9wavefront6targetE0EEEvSO_, .Lfunc_end121-_ZN7rocprim17ROCPRIM_400000_NS6detail17trampoline_kernelINS0_14default_configENS1_27upper_bound_config_selectorIjlEEZNS1_14transform_implILb0ES3_S5_N6thrust23THRUST_200600_302600_NS17counting_iteratorIjNS8_11use_defaultESA_SA_EEPlZNS1_13binary_searchIS3_S5_PjSB_SC_NS1_21upper_bound_search_opENS8_6detail16wrapped_functionINS0_4lessIvEEbEEEE10hipError_tPvRmT1_T2_T3_mmT4_T5_P12ihipStream_tbEUlRKjE_EESL_SP_SQ_mSR_SU_bEUlT_E_NS1_11comp_targetILNS1_3genE4ELNS1_11target_archE910ELNS1_3gpuE8ELNS1_3repE0EEENS1_30default_config_static_selectorELNS0_4arch9wavefront6targetE0EEEvSO_
                                        ; -- End function
	.section	.AMDGPU.csdata,"",@progbits
; Kernel info:
; codeLenInByte = 0
; NumSgprs: 0
; NumVgprs: 0
; ScratchSize: 0
; MemoryBound: 0
; FloatMode: 240
; IeeeMode: 1
; LDSByteSize: 0 bytes/workgroup (compile time only)
; SGPRBlocks: 0
; VGPRBlocks: 0
; NumSGPRsForWavesPerEU: 1
; NumVGPRsForWavesPerEU: 1
; Occupancy: 16
; WaveLimiterHint : 0
; COMPUTE_PGM_RSRC2:SCRATCH_EN: 0
; COMPUTE_PGM_RSRC2:USER_SGPR: 15
; COMPUTE_PGM_RSRC2:TRAP_HANDLER: 0
; COMPUTE_PGM_RSRC2:TGID_X_EN: 1
; COMPUTE_PGM_RSRC2:TGID_Y_EN: 0
; COMPUTE_PGM_RSRC2:TGID_Z_EN: 0
; COMPUTE_PGM_RSRC2:TIDIG_COMP_CNT: 0
	.section	.text._ZN7rocprim17ROCPRIM_400000_NS6detail17trampoline_kernelINS0_14default_configENS1_27upper_bound_config_selectorIjlEEZNS1_14transform_implILb0ES3_S5_N6thrust23THRUST_200600_302600_NS17counting_iteratorIjNS8_11use_defaultESA_SA_EEPlZNS1_13binary_searchIS3_S5_PjSB_SC_NS1_21upper_bound_search_opENS8_6detail16wrapped_functionINS0_4lessIvEEbEEEE10hipError_tPvRmT1_T2_T3_mmT4_T5_P12ihipStream_tbEUlRKjE_EESL_SP_SQ_mSR_SU_bEUlT_E_NS1_11comp_targetILNS1_3genE3ELNS1_11target_archE908ELNS1_3gpuE7ELNS1_3repE0EEENS1_30default_config_static_selectorELNS0_4arch9wavefront6targetE0EEEvSO_,"axG",@progbits,_ZN7rocprim17ROCPRIM_400000_NS6detail17trampoline_kernelINS0_14default_configENS1_27upper_bound_config_selectorIjlEEZNS1_14transform_implILb0ES3_S5_N6thrust23THRUST_200600_302600_NS17counting_iteratorIjNS8_11use_defaultESA_SA_EEPlZNS1_13binary_searchIS3_S5_PjSB_SC_NS1_21upper_bound_search_opENS8_6detail16wrapped_functionINS0_4lessIvEEbEEEE10hipError_tPvRmT1_T2_T3_mmT4_T5_P12ihipStream_tbEUlRKjE_EESL_SP_SQ_mSR_SU_bEUlT_E_NS1_11comp_targetILNS1_3genE3ELNS1_11target_archE908ELNS1_3gpuE7ELNS1_3repE0EEENS1_30default_config_static_selectorELNS0_4arch9wavefront6targetE0EEEvSO_,comdat
	.protected	_ZN7rocprim17ROCPRIM_400000_NS6detail17trampoline_kernelINS0_14default_configENS1_27upper_bound_config_selectorIjlEEZNS1_14transform_implILb0ES3_S5_N6thrust23THRUST_200600_302600_NS17counting_iteratorIjNS8_11use_defaultESA_SA_EEPlZNS1_13binary_searchIS3_S5_PjSB_SC_NS1_21upper_bound_search_opENS8_6detail16wrapped_functionINS0_4lessIvEEbEEEE10hipError_tPvRmT1_T2_T3_mmT4_T5_P12ihipStream_tbEUlRKjE_EESL_SP_SQ_mSR_SU_bEUlT_E_NS1_11comp_targetILNS1_3genE3ELNS1_11target_archE908ELNS1_3gpuE7ELNS1_3repE0EEENS1_30default_config_static_selectorELNS0_4arch9wavefront6targetE0EEEvSO_ ; -- Begin function _ZN7rocprim17ROCPRIM_400000_NS6detail17trampoline_kernelINS0_14default_configENS1_27upper_bound_config_selectorIjlEEZNS1_14transform_implILb0ES3_S5_N6thrust23THRUST_200600_302600_NS17counting_iteratorIjNS8_11use_defaultESA_SA_EEPlZNS1_13binary_searchIS3_S5_PjSB_SC_NS1_21upper_bound_search_opENS8_6detail16wrapped_functionINS0_4lessIvEEbEEEE10hipError_tPvRmT1_T2_T3_mmT4_T5_P12ihipStream_tbEUlRKjE_EESL_SP_SQ_mSR_SU_bEUlT_E_NS1_11comp_targetILNS1_3genE3ELNS1_11target_archE908ELNS1_3gpuE7ELNS1_3repE0EEENS1_30default_config_static_selectorELNS0_4arch9wavefront6targetE0EEEvSO_
	.globl	_ZN7rocprim17ROCPRIM_400000_NS6detail17trampoline_kernelINS0_14default_configENS1_27upper_bound_config_selectorIjlEEZNS1_14transform_implILb0ES3_S5_N6thrust23THRUST_200600_302600_NS17counting_iteratorIjNS8_11use_defaultESA_SA_EEPlZNS1_13binary_searchIS3_S5_PjSB_SC_NS1_21upper_bound_search_opENS8_6detail16wrapped_functionINS0_4lessIvEEbEEEE10hipError_tPvRmT1_T2_T3_mmT4_T5_P12ihipStream_tbEUlRKjE_EESL_SP_SQ_mSR_SU_bEUlT_E_NS1_11comp_targetILNS1_3genE3ELNS1_11target_archE908ELNS1_3gpuE7ELNS1_3repE0EEENS1_30default_config_static_selectorELNS0_4arch9wavefront6targetE0EEEvSO_
	.p2align	8
	.type	_ZN7rocprim17ROCPRIM_400000_NS6detail17trampoline_kernelINS0_14default_configENS1_27upper_bound_config_selectorIjlEEZNS1_14transform_implILb0ES3_S5_N6thrust23THRUST_200600_302600_NS17counting_iteratorIjNS8_11use_defaultESA_SA_EEPlZNS1_13binary_searchIS3_S5_PjSB_SC_NS1_21upper_bound_search_opENS8_6detail16wrapped_functionINS0_4lessIvEEbEEEE10hipError_tPvRmT1_T2_T3_mmT4_T5_P12ihipStream_tbEUlRKjE_EESL_SP_SQ_mSR_SU_bEUlT_E_NS1_11comp_targetILNS1_3genE3ELNS1_11target_archE908ELNS1_3gpuE7ELNS1_3repE0EEENS1_30default_config_static_selectorELNS0_4arch9wavefront6targetE0EEEvSO_,@function
_ZN7rocprim17ROCPRIM_400000_NS6detail17trampoline_kernelINS0_14default_configENS1_27upper_bound_config_selectorIjlEEZNS1_14transform_implILb0ES3_S5_N6thrust23THRUST_200600_302600_NS17counting_iteratorIjNS8_11use_defaultESA_SA_EEPlZNS1_13binary_searchIS3_S5_PjSB_SC_NS1_21upper_bound_search_opENS8_6detail16wrapped_functionINS0_4lessIvEEbEEEE10hipError_tPvRmT1_T2_T3_mmT4_T5_P12ihipStream_tbEUlRKjE_EESL_SP_SQ_mSR_SU_bEUlT_E_NS1_11comp_targetILNS1_3genE3ELNS1_11target_archE908ELNS1_3gpuE7ELNS1_3repE0EEENS1_30default_config_static_selectorELNS0_4arch9wavefront6targetE0EEEvSO_: ; @_ZN7rocprim17ROCPRIM_400000_NS6detail17trampoline_kernelINS0_14default_configENS1_27upper_bound_config_selectorIjlEEZNS1_14transform_implILb0ES3_S5_N6thrust23THRUST_200600_302600_NS17counting_iteratorIjNS8_11use_defaultESA_SA_EEPlZNS1_13binary_searchIS3_S5_PjSB_SC_NS1_21upper_bound_search_opENS8_6detail16wrapped_functionINS0_4lessIvEEbEEEE10hipError_tPvRmT1_T2_T3_mmT4_T5_P12ihipStream_tbEUlRKjE_EESL_SP_SQ_mSR_SU_bEUlT_E_NS1_11comp_targetILNS1_3genE3ELNS1_11target_archE908ELNS1_3gpuE7ELNS1_3repE0EEENS1_30default_config_static_selectorELNS0_4arch9wavefront6targetE0EEEvSO_
; %bb.0:
	.section	.rodata,"a",@progbits
	.p2align	6, 0x0
	.amdhsa_kernel _ZN7rocprim17ROCPRIM_400000_NS6detail17trampoline_kernelINS0_14default_configENS1_27upper_bound_config_selectorIjlEEZNS1_14transform_implILb0ES3_S5_N6thrust23THRUST_200600_302600_NS17counting_iteratorIjNS8_11use_defaultESA_SA_EEPlZNS1_13binary_searchIS3_S5_PjSB_SC_NS1_21upper_bound_search_opENS8_6detail16wrapped_functionINS0_4lessIvEEbEEEE10hipError_tPvRmT1_T2_T3_mmT4_T5_P12ihipStream_tbEUlRKjE_EESL_SP_SQ_mSR_SU_bEUlT_E_NS1_11comp_targetILNS1_3genE3ELNS1_11target_archE908ELNS1_3gpuE7ELNS1_3repE0EEENS1_30default_config_static_selectorELNS0_4arch9wavefront6targetE0EEEvSO_
		.amdhsa_group_segment_fixed_size 0
		.amdhsa_private_segment_fixed_size 0
		.amdhsa_kernarg_size 56
		.amdhsa_user_sgpr_count 15
		.amdhsa_user_sgpr_dispatch_ptr 0
		.amdhsa_user_sgpr_queue_ptr 0
		.amdhsa_user_sgpr_kernarg_segment_ptr 1
		.amdhsa_user_sgpr_dispatch_id 0
		.amdhsa_user_sgpr_private_segment_size 0
		.amdhsa_wavefront_size32 1
		.amdhsa_uses_dynamic_stack 0
		.amdhsa_enable_private_segment 0
		.amdhsa_system_sgpr_workgroup_id_x 1
		.amdhsa_system_sgpr_workgroup_id_y 0
		.amdhsa_system_sgpr_workgroup_id_z 0
		.amdhsa_system_sgpr_workgroup_info 0
		.amdhsa_system_vgpr_workitem_id 0
		.amdhsa_next_free_vgpr 1
		.amdhsa_next_free_sgpr 1
		.amdhsa_reserve_vcc 0
		.amdhsa_float_round_mode_32 0
		.amdhsa_float_round_mode_16_64 0
		.amdhsa_float_denorm_mode_32 3
		.amdhsa_float_denorm_mode_16_64 3
		.amdhsa_dx10_clamp 1
		.amdhsa_ieee_mode 1
		.amdhsa_fp16_overflow 0
		.amdhsa_workgroup_processor_mode 1
		.amdhsa_memory_ordered 1
		.amdhsa_forward_progress 0
		.amdhsa_shared_vgpr_count 0
		.amdhsa_exception_fp_ieee_invalid_op 0
		.amdhsa_exception_fp_denorm_src 0
		.amdhsa_exception_fp_ieee_div_zero 0
		.amdhsa_exception_fp_ieee_overflow 0
		.amdhsa_exception_fp_ieee_underflow 0
		.amdhsa_exception_fp_ieee_inexact 0
		.amdhsa_exception_int_div_zero 0
	.end_amdhsa_kernel
	.section	.text._ZN7rocprim17ROCPRIM_400000_NS6detail17trampoline_kernelINS0_14default_configENS1_27upper_bound_config_selectorIjlEEZNS1_14transform_implILb0ES3_S5_N6thrust23THRUST_200600_302600_NS17counting_iteratorIjNS8_11use_defaultESA_SA_EEPlZNS1_13binary_searchIS3_S5_PjSB_SC_NS1_21upper_bound_search_opENS8_6detail16wrapped_functionINS0_4lessIvEEbEEEE10hipError_tPvRmT1_T2_T3_mmT4_T5_P12ihipStream_tbEUlRKjE_EESL_SP_SQ_mSR_SU_bEUlT_E_NS1_11comp_targetILNS1_3genE3ELNS1_11target_archE908ELNS1_3gpuE7ELNS1_3repE0EEENS1_30default_config_static_selectorELNS0_4arch9wavefront6targetE0EEEvSO_,"axG",@progbits,_ZN7rocprim17ROCPRIM_400000_NS6detail17trampoline_kernelINS0_14default_configENS1_27upper_bound_config_selectorIjlEEZNS1_14transform_implILb0ES3_S5_N6thrust23THRUST_200600_302600_NS17counting_iteratorIjNS8_11use_defaultESA_SA_EEPlZNS1_13binary_searchIS3_S5_PjSB_SC_NS1_21upper_bound_search_opENS8_6detail16wrapped_functionINS0_4lessIvEEbEEEE10hipError_tPvRmT1_T2_T3_mmT4_T5_P12ihipStream_tbEUlRKjE_EESL_SP_SQ_mSR_SU_bEUlT_E_NS1_11comp_targetILNS1_3genE3ELNS1_11target_archE908ELNS1_3gpuE7ELNS1_3repE0EEENS1_30default_config_static_selectorELNS0_4arch9wavefront6targetE0EEEvSO_,comdat
.Lfunc_end122:
	.size	_ZN7rocprim17ROCPRIM_400000_NS6detail17trampoline_kernelINS0_14default_configENS1_27upper_bound_config_selectorIjlEEZNS1_14transform_implILb0ES3_S5_N6thrust23THRUST_200600_302600_NS17counting_iteratorIjNS8_11use_defaultESA_SA_EEPlZNS1_13binary_searchIS3_S5_PjSB_SC_NS1_21upper_bound_search_opENS8_6detail16wrapped_functionINS0_4lessIvEEbEEEE10hipError_tPvRmT1_T2_T3_mmT4_T5_P12ihipStream_tbEUlRKjE_EESL_SP_SQ_mSR_SU_bEUlT_E_NS1_11comp_targetILNS1_3genE3ELNS1_11target_archE908ELNS1_3gpuE7ELNS1_3repE0EEENS1_30default_config_static_selectorELNS0_4arch9wavefront6targetE0EEEvSO_, .Lfunc_end122-_ZN7rocprim17ROCPRIM_400000_NS6detail17trampoline_kernelINS0_14default_configENS1_27upper_bound_config_selectorIjlEEZNS1_14transform_implILb0ES3_S5_N6thrust23THRUST_200600_302600_NS17counting_iteratorIjNS8_11use_defaultESA_SA_EEPlZNS1_13binary_searchIS3_S5_PjSB_SC_NS1_21upper_bound_search_opENS8_6detail16wrapped_functionINS0_4lessIvEEbEEEE10hipError_tPvRmT1_T2_T3_mmT4_T5_P12ihipStream_tbEUlRKjE_EESL_SP_SQ_mSR_SU_bEUlT_E_NS1_11comp_targetILNS1_3genE3ELNS1_11target_archE908ELNS1_3gpuE7ELNS1_3repE0EEENS1_30default_config_static_selectorELNS0_4arch9wavefront6targetE0EEEvSO_
                                        ; -- End function
	.section	.AMDGPU.csdata,"",@progbits
; Kernel info:
; codeLenInByte = 0
; NumSgprs: 0
; NumVgprs: 0
; ScratchSize: 0
; MemoryBound: 0
; FloatMode: 240
; IeeeMode: 1
; LDSByteSize: 0 bytes/workgroup (compile time only)
; SGPRBlocks: 0
; VGPRBlocks: 0
; NumSGPRsForWavesPerEU: 1
; NumVGPRsForWavesPerEU: 1
; Occupancy: 16
; WaveLimiterHint : 0
; COMPUTE_PGM_RSRC2:SCRATCH_EN: 0
; COMPUTE_PGM_RSRC2:USER_SGPR: 15
; COMPUTE_PGM_RSRC2:TRAP_HANDLER: 0
; COMPUTE_PGM_RSRC2:TGID_X_EN: 1
; COMPUTE_PGM_RSRC2:TGID_Y_EN: 0
; COMPUTE_PGM_RSRC2:TGID_Z_EN: 0
; COMPUTE_PGM_RSRC2:TIDIG_COMP_CNT: 0
	.section	.text._ZN7rocprim17ROCPRIM_400000_NS6detail17trampoline_kernelINS0_14default_configENS1_27upper_bound_config_selectorIjlEEZNS1_14transform_implILb0ES3_S5_N6thrust23THRUST_200600_302600_NS17counting_iteratorIjNS8_11use_defaultESA_SA_EEPlZNS1_13binary_searchIS3_S5_PjSB_SC_NS1_21upper_bound_search_opENS8_6detail16wrapped_functionINS0_4lessIvEEbEEEE10hipError_tPvRmT1_T2_T3_mmT4_T5_P12ihipStream_tbEUlRKjE_EESL_SP_SQ_mSR_SU_bEUlT_E_NS1_11comp_targetILNS1_3genE2ELNS1_11target_archE906ELNS1_3gpuE6ELNS1_3repE0EEENS1_30default_config_static_selectorELNS0_4arch9wavefront6targetE0EEEvSO_,"axG",@progbits,_ZN7rocprim17ROCPRIM_400000_NS6detail17trampoline_kernelINS0_14default_configENS1_27upper_bound_config_selectorIjlEEZNS1_14transform_implILb0ES3_S5_N6thrust23THRUST_200600_302600_NS17counting_iteratorIjNS8_11use_defaultESA_SA_EEPlZNS1_13binary_searchIS3_S5_PjSB_SC_NS1_21upper_bound_search_opENS8_6detail16wrapped_functionINS0_4lessIvEEbEEEE10hipError_tPvRmT1_T2_T3_mmT4_T5_P12ihipStream_tbEUlRKjE_EESL_SP_SQ_mSR_SU_bEUlT_E_NS1_11comp_targetILNS1_3genE2ELNS1_11target_archE906ELNS1_3gpuE6ELNS1_3repE0EEENS1_30default_config_static_selectorELNS0_4arch9wavefront6targetE0EEEvSO_,comdat
	.protected	_ZN7rocprim17ROCPRIM_400000_NS6detail17trampoline_kernelINS0_14default_configENS1_27upper_bound_config_selectorIjlEEZNS1_14transform_implILb0ES3_S5_N6thrust23THRUST_200600_302600_NS17counting_iteratorIjNS8_11use_defaultESA_SA_EEPlZNS1_13binary_searchIS3_S5_PjSB_SC_NS1_21upper_bound_search_opENS8_6detail16wrapped_functionINS0_4lessIvEEbEEEE10hipError_tPvRmT1_T2_T3_mmT4_T5_P12ihipStream_tbEUlRKjE_EESL_SP_SQ_mSR_SU_bEUlT_E_NS1_11comp_targetILNS1_3genE2ELNS1_11target_archE906ELNS1_3gpuE6ELNS1_3repE0EEENS1_30default_config_static_selectorELNS0_4arch9wavefront6targetE0EEEvSO_ ; -- Begin function _ZN7rocprim17ROCPRIM_400000_NS6detail17trampoline_kernelINS0_14default_configENS1_27upper_bound_config_selectorIjlEEZNS1_14transform_implILb0ES3_S5_N6thrust23THRUST_200600_302600_NS17counting_iteratorIjNS8_11use_defaultESA_SA_EEPlZNS1_13binary_searchIS3_S5_PjSB_SC_NS1_21upper_bound_search_opENS8_6detail16wrapped_functionINS0_4lessIvEEbEEEE10hipError_tPvRmT1_T2_T3_mmT4_T5_P12ihipStream_tbEUlRKjE_EESL_SP_SQ_mSR_SU_bEUlT_E_NS1_11comp_targetILNS1_3genE2ELNS1_11target_archE906ELNS1_3gpuE6ELNS1_3repE0EEENS1_30default_config_static_selectorELNS0_4arch9wavefront6targetE0EEEvSO_
	.globl	_ZN7rocprim17ROCPRIM_400000_NS6detail17trampoline_kernelINS0_14default_configENS1_27upper_bound_config_selectorIjlEEZNS1_14transform_implILb0ES3_S5_N6thrust23THRUST_200600_302600_NS17counting_iteratorIjNS8_11use_defaultESA_SA_EEPlZNS1_13binary_searchIS3_S5_PjSB_SC_NS1_21upper_bound_search_opENS8_6detail16wrapped_functionINS0_4lessIvEEbEEEE10hipError_tPvRmT1_T2_T3_mmT4_T5_P12ihipStream_tbEUlRKjE_EESL_SP_SQ_mSR_SU_bEUlT_E_NS1_11comp_targetILNS1_3genE2ELNS1_11target_archE906ELNS1_3gpuE6ELNS1_3repE0EEENS1_30default_config_static_selectorELNS0_4arch9wavefront6targetE0EEEvSO_
	.p2align	8
	.type	_ZN7rocprim17ROCPRIM_400000_NS6detail17trampoline_kernelINS0_14default_configENS1_27upper_bound_config_selectorIjlEEZNS1_14transform_implILb0ES3_S5_N6thrust23THRUST_200600_302600_NS17counting_iteratorIjNS8_11use_defaultESA_SA_EEPlZNS1_13binary_searchIS3_S5_PjSB_SC_NS1_21upper_bound_search_opENS8_6detail16wrapped_functionINS0_4lessIvEEbEEEE10hipError_tPvRmT1_T2_T3_mmT4_T5_P12ihipStream_tbEUlRKjE_EESL_SP_SQ_mSR_SU_bEUlT_E_NS1_11comp_targetILNS1_3genE2ELNS1_11target_archE906ELNS1_3gpuE6ELNS1_3repE0EEENS1_30default_config_static_selectorELNS0_4arch9wavefront6targetE0EEEvSO_,@function
_ZN7rocprim17ROCPRIM_400000_NS6detail17trampoline_kernelINS0_14default_configENS1_27upper_bound_config_selectorIjlEEZNS1_14transform_implILb0ES3_S5_N6thrust23THRUST_200600_302600_NS17counting_iteratorIjNS8_11use_defaultESA_SA_EEPlZNS1_13binary_searchIS3_S5_PjSB_SC_NS1_21upper_bound_search_opENS8_6detail16wrapped_functionINS0_4lessIvEEbEEEE10hipError_tPvRmT1_T2_T3_mmT4_T5_P12ihipStream_tbEUlRKjE_EESL_SP_SQ_mSR_SU_bEUlT_E_NS1_11comp_targetILNS1_3genE2ELNS1_11target_archE906ELNS1_3gpuE6ELNS1_3repE0EEENS1_30default_config_static_selectorELNS0_4arch9wavefront6targetE0EEEvSO_: ; @_ZN7rocprim17ROCPRIM_400000_NS6detail17trampoline_kernelINS0_14default_configENS1_27upper_bound_config_selectorIjlEEZNS1_14transform_implILb0ES3_S5_N6thrust23THRUST_200600_302600_NS17counting_iteratorIjNS8_11use_defaultESA_SA_EEPlZNS1_13binary_searchIS3_S5_PjSB_SC_NS1_21upper_bound_search_opENS8_6detail16wrapped_functionINS0_4lessIvEEbEEEE10hipError_tPvRmT1_T2_T3_mmT4_T5_P12ihipStream_tbEUlRKjE_EESL_SP_SQ_mSR_SU_bEUlT_E_NS1_11comp_targetILNS1_3genE2ELNS1_11target_archE906ELNS1_3gpuE6ELNS1_3repE0EEENS1_30default_config_static_selectorELNS0_4arch9wavefront6targetE0EEEvSO_
; %bb.0:
	.section	.rodata,"a",@progbits
	.p2align	6, 0x0
	.amdhsa_kernel _ZN7rocprim17ROCPRIM_400000_NS6detail17trampoline_kernelINS0_14default_configENS1_27upper_bound_config_selectorIjlEEZNS1_14transform_implILb0ES3_S5_N6thrust23THRUST_200600_302600_NS17counting_iteratorIjNS8_11use_defaultESA_SA_EEPlZNS1_13binary_searchIS3_S5_PjSB_SC_NS1_21upper_bound_search_opENS8_6detail16wrapped_functionINS0_4lessIvEEbEEEE10hipError_tPvRmT1_T2_T3_mmT4_T5_P12ihipStream_tbEUlRKjE_EESL_SP_SQ_mSR_SU_bEUlT_E_NS1_11comp_targetILNS1_3genE2ELNS1_11target_archE906ELNS1_3gpuE6ELNS1_3repE0EEENS1_30default_config_static_selectorELNS0_4arch9wavefront6targetE0EEEvSO_
		.amdhsa_group_segment_fixed_size 0
		.amdhsa_private_segment_fixed_size 0
		.amdhsa_kernarg_size 56
		.amdhsa_user_sgpr_count 15
		.amdhsa_user_sgpr_dispatch_ptr 0
		.amdhsa_user_sgpr_queue_ptr 0
		.amdhsa_user_sgpr_kernarg_segment_ptr 1
		.amdhsa_user_sgpr_dispatch_id 0
		.amdhsa_user_sgpr_private_segment_size 0
		.amdhsa_wavefront_size32 1
		.amdhsa_uses_dynamic_stack 0
		.amdhsa_enable_private_segment 0
		.amdhsa_system_sgpr_workgroup_id_x 1
		.amdhsa_system_sgpr_workgroup_id_y 0
		.amdhsa_system_sgpr_workgroup_id_z 0
		.amdhsa_system_sgpr_workgroup_info 0
		.amdhsa_system_vgpr_workitem_id 0
		.amdhsa_next_free_vgpr 1
		.amdhsa_next_free_sgpr 1
		.amdhsa_reserve_vcc 0
		.amdhsa_float_round_mode_32 0
		.amdhsa_float_round_mode_16_64 0
		.amdhsa_float_denorm_mode_32 3
		.amdhsa_float_denorm_mode_16_64 3
		.amdhsa_dx10_clamp 1
		.amdhsa_ieee_mode 1
		.amdhsa_fp16_overflow 0
		.amdhsa_workgroup_processor_mode 1
		.amdhsa_memory_ordered 1
		.amdhsa_forward_progress 0
		.amdhsa_shared_vgpr_count 0
		.amdhsa_exception_fp_ieee_invalid_op 0
		.amdhsa_exception_fp_denorm_src 0
		.amdhsa_exception_fp_ieee_div_zero 0
		.amdhsa_exception_fp_ieee_overflow 0
		.amdhsa_exception_fp_ieee_underflow 0
		.amdhsa_exception_fp_ieee_inexact 0
		.amdhsa_exception_int_div_zero 0
	.end_amdhsa_kernel
	.section	.text._ZN7rocprim17ROCPRIM_400000_NS6detail17trampoline_kernelINS0_14default_configENS1_27upper_bound_config_selectorIjlEEZNS1_14transform_implILb0ES3_S5_N6thrust23THRUST_200600_302600_NS17counting_iteratorIjNS8_11use_defaultESA_SA_EEPlZNS1_13binary_searchIS3_S5_PjSB_SC_NS1_21upper_bound_search_opENS8_6detail16wrapped_functionINS0_4lessIvEEbEEEE10hipError_tPvRmT1_T2_T3_mmT4_T5_P12ihipStream_tbEUlRKjE_EESL_SP_SQ_mSR_SU_bEUlT_E_NS1_11comp_targetILNS1_3genE2ELNS1_11target_archE906ELNS1_3gpuE6ELNS1_3repE0EEENS1_30default_config_static_selectorELNS0_4arch9wavefront6targetE0EEEvSO_,"axG",@progbits,_ZN7rocprim17ROCPRIM_400000_NS6detail17trampoline_kernelINS0_14default_configENS1_27upper_bound_config_selectorIjlEEZNS1_14transform_implILb0ES3_S5_N6thrust23THRUST_200600_302600_NS17counting_iteratorIjNS8_11use_defaultESA_SA_EEPlZNS1_13binary_searchIS3_S5_PjSB_SC_NS1_21upper_bound_search_opENS8_6detail16wrapped_functionINS0_4lessIvEEbEEEE10hipError_tPvRmT1_T2_T3_mmT4_T5_P12ihipStream_tbEUlRKjE_EESL_SP_SQ_mSR_SU_bEUlT_E_NS1_11comp_targetILNS1_3genE2ELNS1_11target_archE906ELNS1_3gpuE6ELNS1_3repE0EEENS1_30default_config_static_selectorELNS0_4arch9wavefront6targetE0EEEvSO_,comdat
.Lfunc_end123:
	.size	_ZN7rocprim17ROCPRIM_400000_NS6detail17trampoline_kernelINS0_14default_configENS1_27upper_bound_config_selectorIjlEEZNS1_14transform_implILb0ES3_S5_N6thrust23THRUST_200600_302600_NS17counting_iteratorIjNS8_11use_defaultESA_SA_EEPlZNS1_13binary_searchIS3_S5_PjSB_SC_NS1_21upper_bound_search_opENS8_6detail16wrapped_functionINS0_4lessIvEEbEEEE10hipError_tPvRmT1_T2_T3_mmT4_T5_P12ihipStream_tbEUlRKjE_EESL_SP_SQ_mSR_SU_bEUlT_E_NS1_11comp_targetILNS1_3genE2ELNS1_11target_archE906ELNS1_3gpuE6ELNS1_3repE0EEENS1_30default_config_static_selectorELNS0_4arch9wavefront6targetE0EEEvSO_, .Lfunc_end123-_ZN7rocprim17ROCPRIM_400000_NS6detail17trampoline_kernelINS0_14default_configENS1_27upper_bound_config_selectorIjlEEZNS1_14transform_implILb0ES3_S5_N6thrust23THRUST_200600_302600_NS17counting_iteratorIjNS8_11use_defaultESA_SA_EEPlZNS1_13binary_searchIS3_S5_PjSB_SC_NS1_21upper_bound_search_opENS8_6detail16wrapped_functionINS0_4lessIvEEbEEEE10hipError_tPvRmT1_T2_T3_mmT4_T5_P12ihipStream_tbEUlRKjE_EESL_SP_SQ_mSR_SU_bEUlT_E_NS1_11comp_targetILNS1_3genE2ELNS1_11target_archE906ELNS1_3gpuE6ELNS1_3repE0EEENS1_30default_config_static_selectorELNS0_4arch9wavefront6targetE0EEEvSO_
                                        ; -- End function
	.section	.AMDGPU.csdata,"",@progbits
; Kernel info:
; codeLenInByte = 0
; NumSgprs: 0
; NumVgprs: 0
; ScratchSize: 0
; MemoryBound: 0
; FloatMode: 240
; IeeeMode: 1
; LDSByteSize: 0 bytes/workgroup (compile time only)
; SGPRBlocks: 0
; VGPRBlocks: 0
; NumSGPRsForWavesPerEU: 1
; NumVGPRsForWavesPerEU: 1
; Occupancy: 16
; WaveLimiterHint : 0
; COMPUTE_PGM_RSRC2:SCRATCH_EN: 0
; COMPUTE_PGM_RSRC2:USER_SGPR: 15
; COMPUTE_PGM_RSRC2:TRAP_HANDLER: 0
; COMPUTE_PGM_RSRC2:TGID_X_EN: 1
; COMPUTE_PGM_RSRC2:TGID_Y_EN: 0
; COMPUTE_PGM_RSRC2:TGID_Z_EN: 0
; COMPUTE_PGM_RSRC2:TIDIG_COMP_CNT: 0
	.section	.text._ZN7rocprim17ROCPRIM_400000_NS6detail17trampoline_kernelINS0_14default_configENS1_27upper_bound_config_selectorIjlEEZNS1_14transform_implILb0ES3_S5_N6thrust23THRUST_200600_302600_NS17counting_iteratorIjNS8_11use_defaultESA_SA_EEPlZNS1_13binary_searchIS3_S5_PjSB_SC_NS1_21upper_bound_search_opENS8_6detail16wrapped_functionINS0_4lessIvEEbEEEE10hipError_tPvRmT1_T2_T3_mmT4_T5_P12ihipStream_tbEUlRKjE_EESL_SP_SQ_mSR_SU_bEUlT_E_NS1_11comp_targetILNS1_3genE10ELNS1_11target_archE1201ELNS1_3gpuE5ELNS1_3repE0EEENS1_30default_config_static_selectorELNS0_4arch9wavefront6targetE0EEEvSO_,"axG",@progbits,_ZN7rocprim17ROCPRIM_400000_NS6detail17trampoline_kernelINS0_14default_configENS1_27upper_bound_config_selectorIjlEEZNS1_14transform_implILb0ES3_S5_N6thrust23THRUST_200600_302600_NS17counting_iteratorIjNS8_11use_defaultESA_SA_EEPlZNS1_13binary_searchIS3_S5_PjSB_SC_NS1_21upper_bound_search_opENS8_6detail16wrapped_functionINS0_4lessIvEEbEEEE10hipError_tPvRmT1_T2_T3_mmT4_T5_P12ihipStream_tbEUlRKjE_EESL_SP_SQ_mSR_SU_bEUlT_E_NS1_11comp_targetILNS1_3genE10ELNS1_11target_archE1201ELNS1_3gpuE5ELNS1_3repE0EEENS1_30default_config_static_selectorELNS0_4arch9wavefront6targetE0EEEvSO_,comdat
	.protected	_ZN7rocprim17ROCPRIM_400000_NS6detail17trampoline_kernelINS0_14default_configENS1_27upper_bound_config_selectorIjlEEZNS1_14transform_implILb0ES3_S5_N6thrust23THRUST_200600_302600_NS17counting_iteratorIjNS8_11use_defaultESA_SA_EEPlZNS1_13binary_searchIS3_S5_PjSB_SC_NS1_21upper_bound_search_opENS8_6detail16wrapped_functionINS0_4lessIvEEbEEEE10hipError_tPvRmT1_T2_T3_mmT4_T5_P12ihipStream_tbEUlRKjE_EESL_SP_SQ_mSR_SU_bEUlT_E_NS1_11comp_targetILNS1_3genE10ELNS1_11target_archE1201ELNS1_3gpuE5ELNS1_3repE0EEENS1_30default_config_static_selectorELNS0_4arch9wavefront6targetE0EEEvSO_ ; -- Begin function _ZN7rocprim17ROCPRIM_400000_NS6detail17trampoline_kernelINS0_14default_configENS1_27upper_bound_config_selectorIjlEEZNS1_14transform_implILb0ES3_S5_N6thrust23THRUST_200600_302600_NS17counting_iteratorIjNS8_11use_defaultESA_SA_EEPlZNS1_13binary_searchIS3_S5_PjSB_SC_NS1_21upper_bound_search_opENS8_6detail16wrapped_functionINS0_4lessIvEEbEEEE10hipError_tPvRmT1_T2_T3_mmT4_T5_P12ihipStream_tbEUlRKjE_EESL_SP_SQ_mSR_SU_bEUlT_E_NS1_11comp_targetILNS1_3genE10ELNS1_11target_archE1201ELNS1_3gpuE5ELNS1_3repE0EEENS1_30default_config_static_selectorELNS0_4arch9wavefront6targetE0EEEvSO_
	.globl	_ZN7rocprim17ROCPRIM_400000_NS6detail17trampoline_kernelINS0_14default_configENS1_27upper_bound_config_selectorIjlEEZNS1_14transform_implILb0ES3_S5_N6thrust23THRUST_200600_302600_NS17counting_iteratorIjNS8_11use_defaultESA_SA_EEPlZNS1_13binary_searchIS3_S5_PjSB_SC_NS1_21upper_bound_search_opENS8_6detail16wrapped_functionINS0_4lessIvEEbEEEE10hipError_tPvRmT1_T2_T3_mmT4_T5_P12ihipStream_tbEUlRKjE_EESL_SP_SQ_mSR_SU_bEUlT_E_NS1_11comp_targetILNS1_3genE10ELNS1_11target_archE1201ELNS1_3gpuE5ELNS1_3repE0EEENS1_30default_config_static_selectorELNS0_4arch9wavefront6targetE0EEEvSO_
	.p2align	8
	.type	_ZN7rocprim17ROCPRIM_400000_NS6detail17trampoline_kernelINS0_14default_configENS1_27upper_bound_config_selectorIjlEEZNS1_14transform_implILb0ES3_S5_N6thrust23THRUST_200600_302600_NS17counting_iteratorIjNS8_11use_defaultESA_SA_EEPlZNS1_13binary_searchIS3_S5_PjSB_SC_NS1_21upper_bound_search_opENS8_6detail16wrapped_functionINS0_4lessIvEEbEEEE10hipError_tPvRmT1_T2_T3_mmT4_T5_P12ihipStream_tbEUlRKjE_EESL_SP_SQ_mSR_SU_bEUlT_E_NS1_11comp_targetILNS1_3genE10ELNS1_11target_archE1201ELNS1_3gpuE5ELNS1_3repE0EEENS1_30default_config_static_selectorELNS0_4arch9wavefront6targetE0EEEvSO_,@function
_ZN7rocprim17ROCPRIM_400000_NS6detail17trampoline_kernelINS0_14default_configENS1_27upper_bound_config_selectorIjlEEZNS1_14transform_implILb0ES3_S5_N6thrust23THRUST_200600_302600_NS17counting_iteratorIjNS8_11use_defaultESA_SA_EEPlZNS1_13binary_searchIS3_S5_PjSB_SC_NS1_21upper_bound_search_opENS8_6detail16wrapped_functionINS0_4lessIvEEbEEEE10hipError_tPvRmT1_T2_T3_mmT4_T5_P12ihipStream_tbEUlRKjE_EESL_SP_SQ_mSR_SU_bEUlT_E_NS1_11comp_targetILNS1_3genE10ELNS1_11target_archE1201ELNS1_3gpuE5ELNS1_3repE0EEENS1_30default_config_static_selectorELNS0_4arch9wavefront6targetE0EEEvSO_: ; @_ZN7rocprim17ROCPRIM_400000_NS6detail17trampoline_kernelINS0_14default_configENS1_27upper_bound_config_selectorIjlEEZNS1_14transform_implILb0ES3_S5_N6thrust23THRUST_200600_302600_NS17counting_iteratorIjNS8_11use_defaultESA_SA_EEPlZNS1_13binary_searchIS3_S5_PjSB_SC_NS1_21upper_bound_search_opENS8_6detail16wrapped_functionINS0_4lessIvEEbEEEE10hipError_tPvRmT1_T2_T3_mmT4_T5_P12ihipStream_tbEUlRKjE_EESL_SP_SQ_mSR_SU_bEUlT_E_NS1_11comp_targetILNS1_3genE10ELNS1_11target_archE1201ELNS1_3gpuE5ELNS1_3repE0EEENS1_30default_config_static_selectorELNS0_4arch9wavefront6targetE0EEEvSO_
; %bb.0:
	.section	.rodata,"a",@progbits
	.p2align	6, 0x0
	.amdhsa_kernel _ZN7rocprim17ROCPRIM_400000_NS6detail17trampoline_kernelINS0_14default_configENS1_27upper_bound_config_selectorIjlEEZNS1_14transform_implILb0ES3_S5_N6thrust23THRUST_200600_302600_NS17counting_iteratorIjNS8_11use_defaultESA_SA_EEPlZNS1_13binary_searchIS3_S5_PjSB_SC_NS1_21upper_bound_search_opENS8_6detail16wrapped_functionINS0_4lessIvEEbEEEE10hipError_tPvRmT1_T2_T3_mmT4_T5_P12ihipStream_tbEUlRKjE_EESL_SP_SQ_mSR_SU_bEUlT_E_NS1_11comp_targetILNS1_3genE10ELNS1_11target_archE1201ELNS1_3gpuE5ELNS1_3repE0EEENS1_30default_config_static_selectorELNS0_4arch9wavefront6targetE0EEEvSO_
		.amdhsa_group_segment_fixed_size 0
		.amdhsa_private_segment_fixed_size 0
		.amdhsa_kernarg_size 56
		.amdhsa_user_sgpr_count 15
		.amdhsa_user_sgpr_dispatch_ptr 0
		.amdhsa_user_sgpr_queue_ptr 0
		.amdhsa_user_sgpr_kernarg_segment_ptr 1
		.amdhsa_user_sgpr_dispatch_id 0
		.amdhsa_user_sgpr_private_segment_size 0
		.amdhsa_wavefront_size32 1
		.amdhsa_uses_dynamic_stack 0
		.amdhsa_enable_private_segment 0
		.amdhsa_system_sgpr_workgroup_id_x 1
		.amdhsa_system_sgpr_workgroup_id_y 0
		.amdhsa_system_sgpr_workgroup_id_z 0
		.amdhsa_system_sgpr_workgroup_info 0
		.amdhsa_system_vgpr_workitem_id 0
		.amdhsa_next_free_vgpr 1
		.amdhsa_next_free_sgpr 1
		.amdhsa_reserve_vcc 0
		.amdhsa_float_round_mode_32 0
		.amdhsa_float_round_mode_16_64 0
		.amdhsa_float_denorm_mode_32 3
		.amdhsa_float_denorm_mode_16_64 3
		.amdhsa_dx10_clamp 1
		.amdhsa_ieee_mode 1
		.amdhsa_fp16_overflow 0
		.amdhsa_workgroup_processor_mode 1
		.amdhsa_memory_ordered 1
		.amdhsa_forward_progress 0
		.amdhsa_shared_vgpr_count 0
		.amdhsa_exception_fp_ieee_invalid_op 0
		.amdhsa_exception_fp_denorm_src 0
		.amdhsa_exception_fp_ieee_div_zero 0
		.amdhsa_exception_fp_ieee_overflow 0
		.amdhsa_exception_fp_ieee_underflow 0
		.amdhsa_exception_fp_ieee_inexact 0
		.amdhsa_exception_int_div_zero 0
	.end_amdhsa_kernel
	.section	.text._ZN7rocprim17ROCPRIM_400000_NS6detail17trampoline_kernelINS0_14default_configENS1_27upper_bound_config_selectorIjlEEZNS1_14transform_implILb0ES3_S5_N6thrust23THRUST_200600_302600_NS17counting_iteratorIjNS8_11use_defaultESA_SA_EEPlZNS1_13binary_searchIS3_S5_PjSB_SC_NS1_21upper_bound_search_opENS8_6detail16wrapped_functionINS0_4lessIvEEbEEEE10hipError_tPvRmT1_T2_T3_mmT4_T5_P12ihipStream_tbEUlRKjE_EESL_SP_SQ_mSR_SU_bEUlT_E_NS1_11comp_targetILNS1_3genE10ELNS1_11target_archE1201ELNS1_3gpuE5ELNS1_3repE0EEENS1_30default_config_static_selectorELNS0_4arch9wavefront6targetE0EEEvSO_,"axG",@progbits,_ZN7rocprim17ROCPRIM_400000_NS6detail17trampoline_kernelINS0_14default_configENS1_27upper_bound_config_selectorIjlEEZNS1_14transform_implILb0ES3_S5_N6thrust23THRUST_200600_302600_NS17counting_iteratorIjNS8_11use_defaultESA_SA_EEPlZNS1_13binary_searchIS3_S5_PjSB_SC_NS1_21upper_bound_search_opENS8_6detail16wrapped_functionINS0_4lessIvEEbEEEE10hipError_tPvRmT1_T2_T3_mmT4_T5_P12ihipStream_tbEUlRKjE_EESL_SP_SQ_mSR_SU_bEUlT_E_NS1_11comp_targetILNS1_3genE10ELNS1_11target_archE1201ELNS1_3gpuE5ELNS1_3repE0EEENS1_30default_config_static_selectorELNS0_4arch9wavefront6targetE0EEEvSO_,comdat
.Lfunc_end124:
	.size	_ZN7rocprim17ROCPRIM_400000_NS6detail17trampoline_kernelINS0_14default_configENS1_27upper_bound_config_selectorIjlEEZNS1_14transform_implILb0ES3_S5_N6thrust23THRUST_200600_302600_NS17counting_iteratorIjNS8_11use_defaultESA_SA_EEPlZNS1_13binary_searchIS3_S5_PjSB_SC_NS1_21upper_bound_search_opENS8_6detail16wrapped_functionINS0_4lessIvEEbEEEE10hipError_tPvRmT1_T2_T3_mmT4_T5_P12ihipStream_tbEUlRKjE_EESL_SP_SQ_mSR_SU_bEUlT_E_NS1_11comp_targetILNS1_3genE10ELNS1_11target_archE1201ELNS1_3gpuE5ELNS1_3repE0EEENS1_30default_config_static_selectorELNS0_4arch9wavefront6targetE0EEEvSO_, .Lfunc_end124-_ZN7rocprim17ROCPRIM_400000_NS6detail17trampoline_kernelINS0_14default_configENS1_27upper_bound_config_selectorIjlEEZNS1_14transform_implILb0ES3_S5_N6thrust23THRUST_200600_302600_NS17counting_iteratorIjNS8_11use_defaultESA_SA_EEPlZNS1_13binary_searchIS3_S5_PjSB_SC_NS1_21upper_bound_search_opENS8_6detail16wrapped_functionINS0_4lessIvEEbEEEE10hipError_tPvRmT1_T2_T3_mmT4_T5_P12ihipStream_tbEUlRKjE_EESL_SP_SQ_mSR_SU_bEUlT_E_NS1_11comp_targetILNS1_3genE10ELNS1_11target_archE1201ELNS1_3gpuE5ELNS1_3repE0EEENS1_30default_config_static_selectorELNS0_4arch9wavefront6targetE0EEEvSO_
                                        ; -- End function
	.section	.AMDGPU.csdata,"",@progbits
; Kernel info:
; codeLenInByte = 0
; NumSgprs: 0
; NumVgprs: 0
; ScratchSize: 0
; MemoryBound: 0
; FloatMode: 240
; IeeeMode: 1
; LDSByteSize: 0 bytes/workgroup (compile time only)
; SGPRBlocks: 0
; VGPRBlocks: 0
; NumSGPRsForWavesPerEU: 1
; NumVGPRsForWavesPerEU: 1
; Occupancy: 16
; WaveLimiterHint : 0
; COMPUTE_PGM_RSRC2:SCRATCH_EN: 0
; COMPUTE_PGM_RSRC2:USER_SGPR: 15
; COMPUTE_PGM_RSRC2:TRAP_HANDLER: 0
; COMPUTE_PGM_RSRC2:TGID_X_EN: 1
; COMPUTE_PGM_RSRC2:TGID_Y_EN: 0
; COMPUTE_PGM_RSRC2:TGID_Z_EN: 0
; COMPUTE_PGM_RSRC2:TIDIG_COMP_CNT: 0
	.section	.text._ZN7rocprim17ROCPRIM_400000_NS6detail17trampoline_kernelINS0_14default_configENS1_27upper_bound_config_selectorIjlEEZNS1_14transform_implILb0ES3_S5_N6thrust23THRUST_200600_302600_NS17counting_iteratorIjNS8_11use_defaultESA_SA_EEPlZNS1_13binary_searchIS3_S5_PjSB_SC_NS1_21upper_bound_search_opENS8_6detail16wrapped_functionINS0_4lessIvEEbEEEE10hipError_tPvRmT1_T2_T3_mmT4_T5_P12ihipStream_tbEUlRKjE_EESL_SP_SQ_mSR_SU_bEUlT_E_NS1_11comp_targetILNS1_3genE10ELNS1_11target_archE1200ELNS1_3gpuE4ELNS1_3repE0EEENS1_30default_config_static_selectorELNS0_4arch9wavefront6targetE0EEEvSO_,"axG",@progbits,_ZN7rocprim17ROCPRIM_400000_NS6detail17trampoline_kernelINS0_14default_configENS1_27upper_bound_config_selectorIjlEEZNS1_14transform_implILb0ES3_S5_N6thrust23THRUST_200600_302600_NS17counting_iteratorIjNS8_11use_defaultESA_SA_EEPlZNS1_13binary_searchIS3_S5_PjSB_SC_NS1_21upper_bound_search_opENS8_6detail16wrapped_functionINS0_4lessIvEEbEEEE10hipError_tPvRmT1_T2_T3_mmT4_T5_P12ihipStream_tbEUlRKjE_EESL_SP_SQ_mSR_SU_bEUlT_E_NS1_11comp_targetILNS1_3genE10ELNS1_11target_archE1200ELNS1_3gpuE4ELNS1_3repE0EEENS1_30default_config_static_selectorELNS0_4arch9wavefront6targetE0EEEvSO_,comdat
	.protected	_ZN7rocprim17ROCPRIM_400000_NS6detail17trampoline_kernelINS0_14default_configENS1_27upper_bound_config_selectorIjlEEZNS1_14transform_implILb0ES3_S5_N6thrust23THRUST_200600_302600_NS17counting_iteratorIjNS8_11use_defaultESA_SA_EEPlZNS1_13binary_searchIS3_S5_PjSB_SC_NS1_21upper_bound_search_opENS8_6detail16wrapped_functionINS0_4lessIvEEbEEEE10hipError_tPvRmT1_T2_T3_mmT4_T5_P12ihipStream_tbEUlRKjE_EESL_SP_SQ_mSR_SU_bEUlT_E_NS1_11comp_targetILNS1_3genE10ELNS1_11target_archE1200ELNS1_3gpuE4ELNS1_3repE0EEENS1_30default_config_static_selectorELNS0_4arch9wavefront6targetE0EEEvSO_ ; -- Begin function _ZN7rocprim17ROCPRIM_400000_NS6detail17trampoline_kernelINS0_14default_configENS1_27upper_bound_config_selectorIjlEEZNS1_14transform_implILb0ES3_S5_N6thrust23THRUST_200600_302600_NS17counting_iteratorIjNS8_11use_defaultESA_SA_EEPlZNS1_13binary_searchIS3_S5_PjSB_SC_NS1_21upper_bound_search_opENS8_6detail16wrapped_functionINS0_4lessIvEEbEEEE10hipError_tPvRmT1_T2_T3_mmT4_T5_P12ihipStream_tbEUlRKjE_EESL_SP_SQ_mSR_SU_bEUlT_E_NS1_11comp_targetILNS1_3genE10ELNS1_11target_archE1200ELNS1_3gpuE4ELNS1_3repE0EEENS1_30default_config_static_selectorELNS0_4arch9wavefront6targetE0EEEvSO_
	.globl	_ZN7rocprim17ROCPRIM_400000_NS6detail17trampoline_kernelINS0_14default_configENS1_27upper_bound_config_selectorIjlEEZNS1_14transform_implILb0ES3_S5_N6thrust23THRUST_200600_302600_NS17counting_iteratorIjNS8_11use_defaultESA_SA_EEPlZNS1_13binary_searchIS3_S5_PjSB_SC_NS1_21upper_bound_search_opENS8_6detail16wrapped_functionINS0_4lessIvEEbEEEE10hipError_tPvRmT1_T2_T3_mmT4_T5_P12ihipStream_tbEUlRKjE_EESL_SP_SQ_mSR_SU_bEUlT_E_NS1_11comp_targetILNS1_3genE10ELNS1_11target_archE1200ELNS1_3gpuE4ELNS1_3repE0EEENS1_30default_config_static_selectorELNS0_4arch9wavefront6targetE0EEEvSO_
	.p2align	8
	.type	_ZN7rocprim17ROCPRIM_400000_NS6detail17trampoline_kernelINS0_14default_configENS1_27upper_bound_config_selectorIjlEEZNS1_14transform_implILb0ES3_S5_N6thrust23THRUST_200600_302600_NS17counting_iteratorIjNS8_11use_defaultESA_SA_EEPlZNS1_13binary_searchIS3_S5_PjSB_SC_NS1_21upper_bound_search_opENS8_6detail16wrapped_functionINS0_4lessIvEEbEEEE10hipError_tPvRmT1_T2_T3_mmT4_T5_P12ihipStream_tbEUlRKjE_EESL_SP_SQ_mSR_SU_bEUlT_E_NS1_11comp_targetILNS1_3genE10ELNS1_11target_archE1200ELNS1_3gpuE4ELNS1_3repE0EEENS1_30default_config_static_selectorELNS0_4arch9wavefront6targetE0EEEvSO_,@function
_ZN7rocprim17ROCPRIM_400000_NS6detail17trampoline_kernelINS0_14default_configENS1_27upper_bound_config_selectorIjlEEZNS1_14transform_implILb0ES3_S5_N6thrust23THRUST_200600_302600_NS17counting_iteratorIjNS8_11use_defaultESA_SA_EEPlZNS1_13binary_searchIS3_S5_PjSB_SC_NS1_21upper_bound_search_opENS8_6detail16wrapped_functionINS0_4lessIvEEbEEEE10hipError_tPvRmT1_T2_T3_mmT4_T5_P12ihipStream_tbEUlRKjE_EESL_SP_SQ_mSR_SU_bEUlT_E_NS1_11comp_targetILNS1_3genE10ELNS1_11target_archE1200ELNS1_3gpuE4ELNS1_3repE0EEENS1_30default_config_static_selectorELNS0_4arch9wavefront6targetE0EEEvSO_: ; @_ZN7rocprim17ROCPRIM_400000_NS6detail17trampoline_kernelINS0_14default_configENS1_27upper_bound_config_selectorIjlEEZNS1_14transform_implILb0ES3_S5_N6thrust23THRUST_200600_302600_NS17counting_iteratorIjNS8_11use_defaultESA_SA_EEPlZNS1_13binary_searchIS3_S5_PjSB_SC_NS1_21upper_bound_search_opENS8_6detail16wrapped_functionINS0_4lessIvEEbEEEE10hipError_tPvRmT1_T2_T3_mmT4_T5_P12ihipStream_tbEUlRKjE_EESL_SP_SQ_mSR_SU_bEUlT_E_NS1_11comp_targetILNS1_3genE10ELNS1_11target_archE1200ELNS1_3gpuE4ELNS1_3repE0EEENS1_30default_config_static_selectorELNS0_4arch9wavefront6targetE0EEEvSO_
; %bb.0:
	.section	.rodata,"a",@progbits
	.p2align	6, 0x0
	.amdhsa_kernel _ZN7rocprim17ROCPRIM_400000_NS6detail17trampoline_kernelINS0_14default_configENS1_27upper_bound_config_selectorIjlEEZNS1_14transform_implILb0ES3_S5_N6thrust23THRUST_200600_302600_NS17counting_iteratorIjNS8_11use_defaultESA_SA_EEPlZNS1_13binary_searchIS3_S5_PjSB_SC_NS1_21upper_bound_search_opENS8_6detail16wrapped_functionINS0_4lessIvEEbEEEE10hipError_tPvRmT1_T2_T3_mmT4_T5_P12ihipStream_tbEUlRKjE_EESL_SP_SQ_mSR_SU_bEUlT_E_NS1_11comp_targetILNS1_3genE10ELNS1_11target_archE1200ELNS1_3gpuE4ELNS1_3repE0EEENS1_30default_config_static_selectorELNS0_4arch9wavefront6targetE0EEEvSO_
		.amdhsa_group_segment_fixed_size 0
		.amdhsa_private_segment_fixed_size 0
		.amdhsa_kernarg_size 56
		.amdhsa_user_sgpr_count 15
		.amdhsa_user_sgpr_dispatch_ptr 0
		.amdhsa_user_sgpr_queue_ptr 0
		.amdhsa_user_sgpr_kernarg_segment_ptr 1
		.amdhsa_user_sgpr_dispatch_id 0
		.amdhsa_user_sgpr_private_segment_size 0
		.amdhsa_wavefront_size32 1
		.amdhsa_uses_dynamic_stack 0
		.amdhsa_enable_private_segment 0
		.amdhsa_system_sgpr_workgroup_id_x 1
		.amdhsa_system_sgpr_workgroup_id_y 0
		.amdhsa_system_sgpr_workgroup_id_z 0
		.amdhsa_system_sgpr_workgroup_info 0
		.amdhsa_system_vgpr_workitem_id 0
		.amdhsa_next_free_vgpr 1
		.amdhsa_next_free_sgpr 1
		.amdhsa_reserve_vcc 0
		.amdhsa_float_round_mode_32 0
		.amdhsa_float_round_mode_16_64 0
		.amdhsa_float_denorm_mode_32 3
		.amdhsa_float_denorm_mode_16_64 3
		.amdhsa_dx10_clamp 1
		.amdhsa_ieee_mode 1
		.amdhsa_fp16_overflow 0
		.amdhsa_workgroup_processor_mode 1
		.amdhsa_memory_ordered 1
		.amdhsa_forward_progress 0
		.amdhsa_shared_vgpr_count 0
		.amdhsa_exception_fp_ieee_invalid_op 0
		.amdhsa_exception_fp_denorm_src 0
		.amdhsa_exception_fp_ieee_div_zero 0
		.amdhsa_exception_fp_ieee_overflow 0
		.amdhsa_exception_fp_ieee_underflow 0
		.amdhsa_exception_fp_ieee_inexact 0
		.amdhsa_exception_int_div_zero 0
	.end_amdhsa_kernel
	.section	.text._ZN7rocprim17ROCPRIM_400000_NS6detail17trampoline_kernelINS0_14default_configENS1_27upper_bound_config_selectorIjlEEZNS1_14transform_implILb0ES3_S5_N6thrust23THRUST_200600_302600_NS17counting_iteratorIjNS8_11use_defaultESA_SA_EEPlZNS1_13binary_searchIS3_S5_PjSB_SC_NS1_21upper_bound_search_opENS8_6detail16wrapped_functionINS0_4lessIvEEbEEEE10hipError_tPvRmT1_T2_T3_mmT4_T5_P12ihipStream_tbEUlRKjE_EESL_SP_SQ_mSR_SU_bEUlT_E_NS1_11comp_targetILNS1_3genE10ELNS1_11target_archE1200ELNS1_3gpuE4ELNS1_3repE0EEENS1_30default_config_static_selectorELNS0_4arch9wavefront6targetE0EEEvSO_,"axG",@progbits,_ZN7rocprim17ROCPRIM_400000_NS6detail17trampoline_kernelINS0_14default_configENS1_27upper_bound_config_selectorIjlEEZNS1_14transform_implILb0ES3_S5_N6thrust23THRUST_200600_302600_NS17counting_iteratorIjNS8_11use_defaultESA_SA_EEPlZNS1_13binary_searchIS3_S5_PjSB_SC_NS1_21upper_bound_search_opENS8_6detail16wrapped_functionINS0_4lessIvEEbEEEE10hipError_tPvRmT1_T2_T3_mmT4_T5_P12ihipStream_tbEUlRKjE_EESL_SP_SQ_mSR_SU_bEUlT_E_NS1_11comp_targetILNS1_3genE10ELNS1_11target_archE1200ELNS1_3gpuE4ELNS1_3repE0EEENS1_30default_config_static_selectorELNS0_4arch9wavefront6targetE0EEEvSO_,comdat
.Lfunc_end125:
	.size	_ZN7rocprim17ROCPRIM_400000_NS6detail17trampoline_kernelINS0_14default_configENS1_27upper_bound_config_selectorIjlEEZNS1_14transform_implILb0ES3_S5_N6thrust23THRUST_200600_302600_NS17counting_iteratorIjNS8_11use_defaultESA_SA_EEPlZNS1_13binary_searchIS3_S5_PjSB_SC_NS1_21upper_bound_search_opENS8_6detail16wrapped_functionINS0_4lessIvEEbEEEE10hipError_tPvRmT1_T2_T3_mmT4_T5_P12ihipStream_tbEUlRKjE_EESL_SP_SQ_mSR_SU_bEUlT_E_NS1_11comp_targetILNS1_3genE10ELNS1_11target_archE1200ELNS1_3gpuE4ELNS1_3repE0EEENS1_30default_config_static_selectorELNS0_4arch9wavefront6targetE0EEEvSO_, .Lfunc_end125-_ZN7rocprim17ROCPRIM_400000_NS6detail17trampoline_kernelINS0_14default_configENS1_27upper_bound_config_selectorIjlEEZNS1_14transform_implILb0ES3_S5_N6thrust23THRUST_200600_302600_NS17counting_iteratorIjNS8_11use_defaultESA_SA_EEPlZNS1_13binary_searchIS3_S5_PjSB_SC_NS1_21upper_bound_search_opENS8_6detail16wrapped_functionINS0_4lessIvEEbEEEE10hipError_tPvRmT1_T2_T3_mmT4_T5_P12ihipStream_tbEUlRKjE_EESL_SP_SQ_mSR_SU_bEUlT_E_NS1_11comp_targetILNS1_3genE10ELNS1_11target_archE1200ELNS1_3gpuE4ELNS1_3repE0EEENS1_30default_config_static_selectorELNS0_4arch9wavefront6targetE0EEEvSO_
                                        ; -- End function
	.section	.AMDGPU.csdata,"",@progbits
; Kernel info:
; codeLenInByte = 0
; NumSgprs: 0
; NumVgprs: 0
; ScratchSize: 0
; MemoryBound: 0
; FloatMode: 240
; IeeeMode: 1
; LDSByteSize: 0 bytes/workgroup (compile time only)
; SGPRBlocks: 0
; VGPRBlocks: 0
; NumSGPRsForWavesPerEU: 1
; NumVGPRsForWavesPerEU: 1
; Occupancy: 16
; WaveLimiterHint : 0
; COMPUTE_PGM_RSRC2:SCRATCH_EN: 0
; COMPUTE_PGM_RSRC2:USER_SGPR: 15
; COMPUTE_PGM_RSRC2:TRAP_HANDLER: 0
; COMPUTE_PGM_RSRC2:TGID_X_EN: 1
; COMPUTE_PGM_RSRC2:TGID_Y_EN: 0
; COMPUTE_PGM_RSRC2:TGID_Z_EN: 0
; COMPUTE_PGM_RSRC2:TIDIG_COMP_CNT: 0
	.section	.text._ZN7rocprim17ROCPRIM_400000_NS6detail17trampoline_kernelINS0_14default_configENS1_27upper_bound_config_selectorIjlEEZNS1_14transform_implILb0ES3_S5_N6thrust23THRUST_200600_302600_NS17counting_iteratorIjNS8_11use_defaultESA_SA_EEPlZNS1_13binary_searchIS3_S5_PjSB_SC_NS1_21upper_bound_search_opENS8_6detail16wrapped_functionINS0_4lessIvEEbEEEE10hipError_tPvRmT1_T2_T3_mmT4_T5_P12ihipStream_tbEUlRKjE_EESL_SP_SQ_mSR_SU_bEUlT_E_NS1_11comp_targetILNS1_3genE9ELNS1_11target_archE1100ELNS1_3gpuE3ELNS1_3repE0EEENS1_30default_config_static_selectorELNS0_4arch9wavefront6targetE0EEEvSO_,"axG",@progbits,_ZN7rocprim17ROCPRIM_400000_NS6detail17trampoline_kernelINS0_14default_configENS1_27upper_bound_config_selectorIjlEEZNS1_14transform_implILb0ES3_S5_N6thrust23THRUST_200600_302600_NS17counting_iteratorIjNS8_11use_defaultESA_SA_EEPlZNS1_13binary_searchIS3_S5_PjSB_SC_NS1_21upper_bound_search_opENS8_6detail16wrapped_functionINS0_4lessIvEEbEEEE10hipError_tPvRmT1_T2_T3_mmT4_T5_P12ihipStream_tbEUlRKjE_EESL_SP_SQ_mSR_SU_bEUlT_E_NS1_11comp_targetILNS1_3genE9ELNS1_11target_archE1100ELNS1_3gpuE3ELNS1_3repE0EEENS1_30default_config_static_selectorELNS0_4arch9wavefront6targetE0EEEvSO_,comdat
	.protected	_ZN7rocprim17ROCPRIM_400000_NS6detail17trampoline_kernelINS0_14default_configENS1_27upper_bound_config_selectorIjlEEZNS1_14transform_implILb0ES3_S5_N6thrust23THRUST_200600_302600_NS17counting_iteratorIjNS8_11use_defaultESA_SA_EEPlZNS1_13binary_searchIS3_S5_PjSB_SC_NS1_21upper_bound_search_opENS8_6detail16wrapped_functionINS0_4lessIvEEbEEEE10hipError_tPvRmT1_T2_T3_mmT4_T5_P12ihipStream_tbEUlRKjE_EESL_SP_SQ_mSR_SU_bEUlT_E_NS1_11comp_targetILNS1_3genE9ELNS1_11target_archE1100ELNS1_3gpuE3ELNS1_3repE0EEENS1_30default_config_static_selectorELNS0_4arch9wavefront6targetE0EEEvSO_ ; -- Begin function _ZN7rocprim17ROCPRIM_400000_NS6detail17trampoline_kernelINS0_14default_configENS1_27upper_bound_config_selectorIjlEEZNS1_14transform_implILb0ES3_S5_N6thrust23THRUST_200600_302600_NS17counting_iteratorIjNS8_11use_defaultESA_SA_EEPlZNS1_13binary_searchIS3_S5_PjSB_SC_NS1_21upper_bound_search_opENS8_6detail16wrapped_functionINS0_4lessIvEEbEEEE10hipError_tPvRmT1_T2_T3_mmT4_T5_P12ihipStream_tbEUlRKjE_EESL_SP_SQ_mSR_SU_bEUlT_E_NS1_11comp_targetILNS1_3genE9ELNS1_11target_archE1100ELNS1_3gpuE3ELNS1_3repE0EEENS1_30default_config_static_selectorELNS0_4arch9wavefront6targetE0EEEvSO_
	.globl	_ZN7rocprim17ROCPRIM_400000_NS6detail17trampoline_kernelINS0_14default_configENS1_27upper_bound_config_selectorIjlEEZNS1_14transform_implILb0ES3_S5_N6thrust23THRUST_200600_302600_NS17counting_iteratorIjNS8_11use_defaultESA_SA_EEPlZNS1_13binary_searchIS3_S5_PjSB_SC_NS1_21upper_bound_search_opENS8_6detail16wrapped_functionINS0_4lessIvEEbEEEE10hipError_tPvRmT1_T2_T3_mmT4_T5_P12ihipStream_tbEUlRKjE_EESL_SP_SQ_mSR_SU_bEUlT_E_NS1_11comp_targetILNS1_3genE9ELNS1_11target_archE1100ELNS1_3gpuE3ELNS1_3repE0EEENS1_30default_config_static_selectorELNS0_4arch9wavefront6targetE0EEEvSO_
	.p2align	8
	.type	_ZN7rocprim17ROCPRIM_400000_NS6detail17trampoline_kernelINS0_14default_configENS1_27upper_bound_config_selectorIjlEEZNS1_14transform_implILb0ES3_S5_N6thrust23THRUST_200600_302600_NS17counting_iteratorIjNS8_11use_defaultESA_SA_EEPlZNS1_13binary_searchIS3_S5_PjSB_SC_NS1_21upper_bound_search_opENS8_6detail16wrapped_functionINS0_4lessIvEEbEEEE10hipError_tPvRmT1_T2_T3_mmT4_T5_P12ihipStream_tbEUlRKjE_EESL_SP_SQ_mSR_SU_bEUlT_E_NS1_11comp_targetILNS1_3genE9ELNS1_11target_archE1100ELNS1_3gpuE3ELNS1_3repE0EEENS1_30default_config_static_selectorELNS0_4arch9wavefront6targetE0EEEvSO_,@function
_ZN7rocprim17ROCPRIM_400000_NS6detail17trampoline_kernelINS0_14default_configENS1_27upper_bound_config_selectorIjlEEZNS1_14transform_implILb0ES3_S5_N6thrust23THRUST_200600_302600_NS17counting_iteratorIjNS8_11use_defaultESA_SA_EEPlZNS1_13binary_searchIS3_S5_PjSB_SC_NS1_21upper_bound_search_opENS8_6detail16wrapped_functionINS0_4lessIvEEbEEEE10hipError_tPvRmT1_T2_T3_mmT4_T5_P12ihipStream_tbEUlRKjE_EESL_SP_SQ_mSR_SU_bEUlT_E_NS1_11comp_targetILNS1_3genE9ELNS1_11target_archE1100ELNS1_3gpuE3ELNS1_3repE0EEENS1_30default_config_static_selectorELNS0_4arch9wavefront6targetE0EEEvSO_: ; @_ZN7rocprim17ROCPRIM_400000_NS6detail17trampoline_kernelINS0_14default_configENS1_27upper_bound_config_selectorIjlEEZNS1_14transform_implILb0ES3_S5_N6thrust23THRUST_200600_302600_NS17counting_iteratorIjNS8_11use_defaultESA_SA_EEPlZNS1_13binary_searchIS3_S5_PjSB_SC_NS1_21upper_bound_search_opENS8_6detail16wrapped_functionINS0_4lessIvEEbEEEE10hipError_tPvRmT1_T2_T3_mmT4_T5_P12ihipStream_tbEUlRKjE_EESL_SP_SQ_mSR_SU_bEUlT_E_NS1_11comp_targetILNS1_3genE9ELNS1_11target_archE1100ELNS1_3gpuE3ELNS1_3repE0EEENS1_30default_config_static_selectorELNS0_4arch9wavefront6targetE0EEEvSO_
; %bb.0:
	s_clause 0x4
	s_load_b32 s12, s[0:1], 0x0
	s_load_b64 s[2:3], s[0:1], 0x8
	s_load_b32 s9, s[0:1], 0x38
	s_load_b128 s[4:7], s[0:1], 0x18
	s_load_b64 s[10:11], s[0:1], 0x28
	s_lshl_b32 s8, s15, 8
	s_mov_b32 s14, -1
	s_waitcnt lgkmcnt(0)
	s_add_i32 s12, s12, s2
	s_add_i32 s13, s9, -1
	s_mov_b32 s9, 0
	s_cmp_lg_u32 s15, s13
	s_cbranch_scc0 .LBB126_6
; %bb.1:
	v_mov_b32_e32 v1, 0
	v_mov_b32_e32 v2, 0
	s_cmp_eq_u64 s[10:11], 0
	s_cbranch_scc1 .LBB126_5
; %bb.2:
	v_mov_b32_e32 v1, 0
	v_dual_mov_b32 v2, 0 :: v_dual_mov_b32 v3, s10
	v_add3_u32 v5, s12, s8, v0
	v_mov_b32_e32 v4, s11
	s_mov_b32 s13, 0
	.p2align	6
.LBB126_3:                              ; =>This Inner Loop Header: Depth=1
	s_delay_alu instid0(VALU_DEP_3) | instskip(NEXT) | instid1(VALU_DEP_2)
	v_sub_co_u32 v6, vcc_lo, v3, v1
	v_sub_co_ci_u32_e32 v7, vcc_lo, v4, v2, vcc_lo
	s_delay_alu instid0(VALU_DEP_1) | instskip(SKIP_1) | instid1(VALU_DEP_2)
	v_lshrrev_b64 v[8:9], 1, v[6:7]
	v_lshrrev_b64 v[6:7], 6, v[6:7]
	v_add_co_u32 v8, vcc_lo, v8, v1
	s_delay_alu instid0(VALU_DEP_3) | instskip(NEXT) | instid1(VALU_DEP_2)
	v_add_co_ci_u32_e32 v9, vcc_lo, v9, v2, vcc_lo
	v_add_co_u32 v6, vcc_lo, v8, v6
	s_delay_alu instid0(VALU_DEP_2) | instskip(NEXT) | instid1(VALU_DEP_1)
	v_add_co_ci_u32_e32 v7, vcc_lo, v9, v7, vcc_lo
	v_lshlrev_b64 v[8:9], 2, v[6:7]
	s_delay_alu instid0(VALU_DEP_1) | instskip(NEXT) | instid1(VALU_DEP_2)
	v_add_co_u32 v8, vcc_lo, s6, v8
	v_add_co_ci_u32_e32 v9, vcc_lo, s7, v9, vcc_lo
	global_load_b32 v8, v[8:9], off
	v_add_co_u32 v9, vcc_lo, v6, 1
	v_add_co_ci_u32_e32 v10, vcc_lo, 0, v7, vcc_lo
	s_waitcnt vmcnt(0)
	v_cmp_gt_u32_e32 vcc_lo, v8, v5
	v_dual_cndmask_b32 v4, v4, v7 :: v_dual_cndmask_b32 v3, v3, v6
	s_delay_alu instid0(VALU_DEP_3) | instskip(NEXT) | instid1(VALU_DEP_1)
	v_dual_cndmask_b32 v2, v10, v2 :: v_dual_cndmask_b32 v1, v9, v1
	v_cmp_ge_u64_e32 vcc_lo, v[1:2], v[3:4]
	s_or_b32 s13, vcc_lo, s13
	s_delay_alu instid0(SALU_CYCLE_1)
	s_and_not1_b32 exec_lo, exec_lo, s13
	s_cbranch_execnz .LBB126_3
; %bb.4:
	s_or_b32 exec_lo, exec_lo, s13
.LBB126_5:
	s_mov_b32 s13, -1
	s_cbranch_execz .LBB126_7
	s_branch .LBB126_13
.LBB126_6:
	s_mov_b32 s13, s9
                                        ; implicit-def: $vgpr1_vgpr2
	s_and_not1_b32 vcc_lo, exec_lo, s14
	s_cbranch_vccnz .LBB126_13
.LBB126_7:
	s_load_b32 s0, s[0:1], 0x10
                                        ; implicit-def: $vgpr1_vgpr2
	s_waitcnt lgkmcnt(0)
	s_sub_i32 s0, s0, s8
	s_delay_alu instid0(SALU_CYCLE_1) | instskip(NEXT) | instid1(VALU_DEP_1)
	v_cmp_gt_u32_e64 s13, s0, v0
	s_and_saveexec_b32 s0, s13
	s_cbranch_execz .LBB126_12
; %bb.8:
	v_mov_b32_e32 v1, 0
	v_mov_b32_e32 v2, 0
	s_cmp_eq_u64 s[10:11], 0
	s_cbranch_scc1 .LBB126_12
; %bb.9:
	v_mov_b32_e32 v1, 0
	v_dual_mov_b32 v2, 0 :: v_dual_mov_b32 v3, s10
	v_add3_u32 v5, s12, s8, v0
	v_mov_b32_e32 v4, s11
	s_mov_b32 s1, 0
	.p2align	6
.LBB126_10:                             ; =>This Inner Loop Header: Depth=1
	s_delay_alu instid0(VALU_DEP_3) | instskip(NEXT) | instid1(VALU_DEP_2)
	v_sub_co_u32 v6, vcc_lo, v3, v1
	v_sub_co_ci_u32_e32 v7, vcc_lo, v4, v2, vcc_lo
	s_delay_alu instid0(VALU_DEP_1) | instskip(SKIP_1) | instid1(VALU_DEP_2)
	v_lshrrev_b64 v[8:9], 1, v[6:7]
	v_lshrrev_b64 v[6:7], 6, v[6:7]
	v_add_co_u32 v8, vcc_lo, v8, v1
	s_delay_alu instid0(VALU_DEP_3) | instskip(NEXT) | instid1(VALU_DEP_2)
	v_add_co_ci_u32_e32 v9, vcc_lo, v9, v2, vcc_lo
	v_add_co_u32 v6, vcc_lo, v8, v6
	s_delay_alu instid0(VALU_DEP_2) | instskip(NEXT) | instid1(VALU_DEP_1)
	v_add_co_ci_u32_e32 v7, vcc_lo, v9, v7, vcc_lo
	v_lshlrev_b64 v[8:9], 2, v[6:7]
	s_delay_alu instid0(VALU_DEP_1) | instskip(NEXT) | instid1(VALU_DEP_2)
	v_add_co_u32 v8, vcc_lo, s6, v8
	v_add_co_ci_u32_e32 v9, vcc_lo, s7, v9, vcc_lo
	global_load_b32 v8, v[8:9], off
	v_add_co_u32 v9, vcc_lo, v6, 1
	v_add_co_ci_u32_e32 v10, vcc_lo, 0, v7, vcc_lo
	s_waitcnt vmcnt(0)
	v_cmp_gt_u32_e32 vcc_lo, v8, v5
	v_dual_cndmask_b32 v4, v4, v7 :: v_dual_cndmask_b32 v3, v3, v6
	s_delay_alu instid0(VALU_DEP_3) | instskip(NEXT) | instid1(VALU_DEP_1)
	v_dual_cndmask_b32 v2, v10, v2 :: v_dual_cndmask_b32 v1, v9, v1
	v_cmp_ge_u64_e32 vcc_lo, v[1:2], v[3:4]
	s_or_b32 s1, vcc_lo, s1
	s_delay_alu instid0(SALU_CYCLE_1)
	s_and_not1_b32 exec_lo, exec_lo, s1
	s_cbranch_execnz .LBB126_10
; %bb.11:
	s_or_b32 exec_lo, exec_lo, s1
.LBB126_12:
	s_delay_alu instid0(SALU_CYCLE_1)
	s_or_b32 exec_lo, exec_lo, s0
.LBB126_13:
	s_and_saveexec_b32 s0, s13
	s_cbranch_execnz .LBB126_15
; %bb.14:
	s_endpgm
.LBB126_15:
	s_lshl_b64 s[0:1], s[2:3], 3
	v_lshlrev_b32_e32 v0, 3, v0
	s_add_u32 s2, s4, s0
	s_addc_u32 s3, s5, s1
	s_lshl_b64 s[0:1], s[8:9], 3
	s_delay_alu instid0(SALU_CYCLE_1)
	s_add_u32 s0, s2, s0
	s_addc_u32 s1, s3, s1
	global_store_b64 v0, v[1:2], s[0:1]
	s_nop 0
	s_sendmsg sendmsg(MSG_DEALLOC_VGPRS)
	s_endpgm
	.section	.rodata,"a",@progbits
	.p2align	6, 0x0
	.amdhsa_kernel _ZN7rocprim17ROCPRIM_400000_NS6detail17trampoline_kernelINS0_14default_configENS1_27upper_bound_config_selectorIjlEEZNS1_14transform_implILb0ES3_S5_N6thrust23THRUST_200600_302600_NS17counting_iteratorIjNS8_11use_defaultESA_SA_EEPlZNS1_13binary_searchIS3_S5_PjSB_SC_NS1_21upper_bound_search_opENS8_6detail16wrapped_functionINS0_4lessIvEEbEEEE10hipError_tPvRmT1_T2_T3_mmT4_T5_P12ihipStream_tbEUlRKjE_EESL_SP_SQ_mSR_SU_bEUlT_E_NS1_11comp_targetILNS1_3genE9ELNS1_11target_archE1100ELNS1_3gpuE3ELNS1_3repE0EEENS1_30default_config_static_selectorELNS0_4arch9wavefront6targetE0EEEvSO_
		.amdhsa_group_segment_fixed_size 0
		.amdhsa_private_segment_fixed_size 0
		.amdhsa_kernarg_size 312
		.amdhsa_user_sgpr_count 15
		.amdhsa_user_sgpr_dispatch_ptr 0
		.amdhsa_user_sgpr_queue_ptr 0
		.amdhsa_user_sgpr_kernarg_segment_ptr 1
		.amdhsa_user_sgpr_dispatch_id 0
		.amdhsa_user_sgpr_private_segment_size 0
		.amdhsa_wavefront_size32 1
		.amdhsa_uses_dynamic_stack 0
		.amdhsa_enable_private_segment 0
		.amdhsa_system_sgpr_workgroup_id_x 1
		.amdhsa_system_sgpr_workgroup_id_y 0
		.amdhsa_system_sgpr_workgroup_id_z 0
		.amdhsa_system_sgpr_workgroup_info 0
		.amdhsa_system_vgpr_workitem_id 0
		.amdhsa_next_free_vgpr 11
		.amdhsa_next_free_sgpr 16
		.amdhsa_reserve_vcc 1
		.amdhsa_float_round_mode_32 0
		.amdhsa_float_round_mode_16_64 0
		.amdhsa_float_denorm_mode_32 3
		.amdhsa_float_denorm_mode_16_64 3
		.amdhsa_dx10_clamp 1
		.amdhsa_ieee_mode 1
		.amdhsa_fp16_overflow 0
		.amdhsa_workgroup_processor_mode 1
		.amdhsa_memory_ordered 1
		.amdhsa_forward_progress 0
		.amdhsa_shared_vgpr_count 0
		.amdhsa_exception_fp_ieee_invalid_op 0
		.amdhsa_exception_fp_denorm_src 0
		.amdhsa_exception_fp_ieee_div_zero 0
		.amdhsa_exception_fp_ieee_overflow 0
		.amdhsa_exception_fp_ieee_underflow 0
		.amdhsa_exception_fp_ieee_inexact 0
		.amdhsa_exception_int_div_zero 0
	.end_amdhsa_kernel
	.section	.text._ZN7rocprim17ROCPRIM_400000_NS6detail17trampoline_kernelINS0_14default_configENS1_27upper_bound_config_selectorIjlEEZNS1_14transform_implILb0ES3_S5_N6thrust23THRUST_200600_302600_NS17counting_iteratorIjNS8_11use_defaultESA_SA_EEPlZNS1_13binary_searchIS3_S5_PjSB_SC_NS1_21upper_bound_search_opENS8_6detail16wrapped_functionINS0_4lessIvEEbEEEE10hipError_tPvRmT1_T2_T3_mmT4_T5_P12ihipStream_tbEUlRKjE_EESL_SP_SQ_mSR_SU_bEUlT_E_NS1_11comp_targetILNS1_3genE9ELNS1_11target_archE1100ELNS1_3gpuE3ELNS1_3repE0EEENS1_30default_config_static_selectorELNS0_4arch9wavefront6targetE0EEEvSO_,"axG",@progbits,_ZN7rocprim17ROCPRIM_400000_NS6detail17trampoline_kernelINS0_14default_configENS1_27upper_bound_config_selectorIjlEEZNS1_14transform_implILb0ES3_S5_N6thrust23THRUST_200600_302600_NS17counting_iteratorIjNS8_11use_defaultESA_SA_EEPlZNS1_13binary_searchIS3_S5_PjSB_SC_NS1_21upper_bound_search_opENS8_6detail16wrapped_functionINS0_4lessIvEEbEEEE10hipError_tPvRmT1_T2_T3_mmT4_T5_P12ihipStream_tbEUlRKjE_EESL_SP_SQ_mSR_SU_bEUlT_E_NS1_11comp_targetILNS1_3genE9ELNS1_11target_archE1100ELNS1_3gpuE3ELNS1_3repE0EEENS1_30default_config_static_selectorELNS0_4arch9wavefront6targetE0EEEvSO_,comdat
.Lfunc_end126:
	.size	_ZN7rocprim17ROCPRIM_400000_NS6detail17trampoline_kernelINS0_14default_configENS1_27upper_bound_config_selectorIjlEEZNS1_14transform_implILb0ES3_S5_N6thrust23THRUST_200600_302600_NS17counting_iteratorIjNS8_11use_defaultESA_SA_EEPlZNS1_13binary_searchIS3_S5_PjSB_SC_NS1_21upper_bound_search_opENS8_6detail16wrapped_functionINS0_4lessIvEEbEEEE10hipError_tPvRmT1_T2_T3_mmT4_T5_P12ihipStream_tbEUlRKjE_EESL_SP_SQ_mSR_SU_bEUlT_E_NS1_11comp_targetILNS1_3genE9ELNS1_11target_archE1100ELNS1_3gpuE3ELNS1_3repE0EEENS1_30default_config_static_selectorELNS0_4arch9wavefront6targetE0EEEvSO_, .Lfunc_end126-_ZN7rocprim17ROCPRIM_400000_NS6detail17trampoline_kernelINS0_14default_configENS1_27upper_bound_config_selectorIjlEEZNS1_14transform_implILb0ES3_S5_N6thrust23THRUST_200600_302600_NS17counting_iteratorIjNS8_11use_defaultESA_SA_EEPlZNS1_13binary_searchIS3_S5_PjSB_SC_NS1_21upper_bound_search_opENS8_6detail16wrapped_functionINS0_4lessIvEEbEEEE10hipError_tPvRmT1_T2_T3_mmT4_T5_P12ihipStream_tbEUlRKjE_EESL_SP_SQ_mSR_SU_bEUlT_E_NS1_11comp_targetILNS1_3genE9ELNS1_11target_archE1100ELNS1_3gpuE3ELNS1_3repE0EEENS1_30default_config_static_selectorELNS0_4arch9wavefront6targetE0EEEvSO_
                                        ; -- End function
	.section	.AMDGPU.csdata,"",@progbits
; Kernel info:
; codeLenInByte = 624
; NumSgprs: 18
; NumVgprs: 11
; ScratchSize: 0
; MemoryBound: 0
; FloatMode: 240
; IeeeMode: 1
; LDSByteSize: 0 bytes/workgroup (compile time only)
; SGPRBlocks: 2
; VGPRBlocks: 1
; NumSGPRsForWavesPerEU: 18
; NumVGPRsForWavesPerEU: 11
; Occupancy: 16
; WaveLimiterHint : 0
; COMPUTE_PGM_RSRC2:SCRATCH_EN: 0
; COMPUTE_PGM_RSRC2:USER_SGPR: 15
; COMPUTE_PGM_RSRC2:TRAP_HANDLER: 0
; COMPUTE_PGM_RSRC2:TGID_X_EN: 1
; COMPUTE_PGM_RSRC2:TGID_Y_EN: 0
; COMPUTE_PGM_RSRC2:TGID_Z_EN: 0
; COMPUTE_PGM_RSRC2:TIDIG_COMP_CNT: 0
	.section	.text._ZN7rocprim17ROCPRIM_400000_NS6detail17trampoline_kernelINS0_14default_configENS1_27upper_bound_config_selectorIjlEEZNS1_14transform_implILb0ES3_S5_N6thrust23THRUST_200600_302600_NS17counting_iteratorIjNS8_11use_defaultESA_SA_EEPlZNS1_13binary_searchIS3_S5_PjSB_SC_NS1_21upper_bound_search_opENS8_6detail16wrapped_functionINS0_4lessIvEEbEEEE10hipError_tPvRmT1_T2_T3_mmT4_T5_P12ihipStream_tbEUlRKjE_EESL_SP_SQ_mSR_SU_bEUlT_E_NS1_11comp_targetILNS1_3genE8ELNS1_11target_archE1030ELNS1_3gpuE2ELNS1_3repE0EEENS1_30default_config_static_selectorELNS0_4arch9wavefront6targetE0EEEvSO_,"axG",@progbits,_ZN7rocprim17ROCPRIM_400000_NS6detail17trampoline_kernelINS0_14default_configENS1_27upper_bound_config_selectorIjlEEZNS1_14transform_implILb0ES3_S5_N6thrust23THRUST_200600_302600_NS17counting_iteratorIjNS8_11use_defaultESA_SA_EEPlZNS1_13binary_searchIS3_S5_PjSB_SC_NS1_21upper_bound_search_opENS8_6detail16wrapped_functionINS0_4lessIvEEbEEEE10hipError_tPvRmT1_T2_T3_mmT4_T5_P12ihipStream_tbEUlRKjE_EESL_SP_SQ_mSR_SU_bEUlT_E_NS1_11comp_targetILNS1_3genE8ELNS1_11target_archE1030ELNS1_3gpuE2ELNS1_3repE0EEENS1_30default_config_static_selectorELNS0_4arch9wavefront6targetE0EEEvSO_,comdat
	.protected	_ZN7rocprim17ROCPRIM_400000_NS6detail17trampoline_kernelINS0_14default_configENS1_27upper_bound_config_selectorIjlEEZNS1_14transform_implILb0ES3_S5_N6thrust23THRUST_200600_302600_NS17counting_iteratorIjNS8_11use_defaultESA_SA_EEPlZNS1_13binary_searchIS3_S5_PjSB_SC_NS1_21upper_bound_search_opENS8_6detail16wrapped_functionINS0_4lessIvEEbEEEE10hipError_tPvRmT1_T2_T3_mmT4_T5_P12ihipStream_tbEUlRKjE_EESL_SP_SQ_mSR_SU_bEUlT_E_NS1_11comp_targetILNS1_3genE8ELNS1_11target_archE1030ELNS1_3gpuE2ELNS1_3repE0EEENS1_30default_config_static_selectorELNS0_4arch9wavefront6targetE0EEEvSO_ ; -- Begin function _ZN7rocprim17ROCPRIM_400000_NS6detail17trampoline_kernelINS0_14default_configENS1_27upper_bound_config_selectorIjlEEZNS1_14transform_implILb0ES3_S5_N6thrust23THRUST_200600_302600_NS17counting_iteratorIjNS8_11use_defaultESA_SA_EEPlZNS1_13binary_searchIS3_S5_PjSB_SC_NS1_21upper_bound_search_opENS8_6detail16wrapped_functionINS0_4lessIvEEbEEEE10hipError_tPvRmT1_T2_T3_mmT4_T5_P12ihipStream_tbEUlRKjE_EESL_SP_SQ_mSR_SU_bEUlT_E_NS1_11comp_targetILNS1_3genE8ELNS1_11target_archE1030ELNS1_3gpuE2ELNS1_3repE0EEENS1_30default_config_static_selectorELNS0_4arch9wavefront6targetE0EEEvSO_
	.globl	_ZN7rocprim17ROCPRIM_400000_NS6detail17trampoline_kernelINS0_14default_configENS1_27upper_bound_config_selectorIjlEEZNS1_14transform_implILb0ES3_S5_N6thrust23THRUST_200600_302600_NS17counting_iteratorIjNS8_11use_defaultESA_SA_EEPlZNS1_13binary_searchIS3_S5_PjSB_SC_NS1_21upper_bound_search_opENS8_6detail16wrapped_functionINS0_4lessIvEEbEEEE10hipError_tPvRmT1_T2_T3_mmT4_T5_P12ihipStream_tbEUlRKjE_EESL_SP_SQ_mSR_SU_bEUlT_E_NS1_11comp_targetILNS1_3genE8ELNS1_11target_archE1030ELNS1_3gpuE2ELNS1_3repE0EEENS1_30default_config_static_selectorELNS0_4arch9wavefront6targetE0EEEvSO_
	.p2align	8
	.type	_ZN7rocprim17ROCPRIM_400000_NS6detail17trampoline_kernelINS0_14default_configENS1_27upper_bound_config_selectorIjlEEZNS1_14transform_implILb0ES3_S5_N6thrust23THRUST_200600_302600_NS17counting_iteratorIjNS8_11use_defaultESA_SA_EEPlZNS1_13binary_searchIS3_S5_PjSB_SC_NS1_21upper_bound_search_opENS8_6detail16wrapped_functionINS0_4lessIvEEbEEEE10hipError_tPvRmT1_T2_T3_mmT4_T5_P12ihipStream_tbEUlRKjE_EESL_SP_SQ_mSR_SU_bEUlT_E_NS1_11comp_targetILNS1_3genE8ELNS1_11target_archE1030ELNS1_3gpuE2ELNS1_3repE0EEENS1_30default_config_static_selectorELNS0_4arch9wavefront6targetE0EEEvSO_,@function
_ZN7rocprim17ROCPRIM_400000_NS6detail17trampoline_kernelINS0_14default_configENS1_27upper_bound_config_selectorIjlEEZNS1_14transform_implILb0ES3_S5_N6thrust23THRUST_200600_302600_NS17counting_iteratorIjNS8_11use_defaultESA_SA_EEPlZNS1_13binary_searchIS3_S5_PjSB_SC_NS1_21upper_bound_search_opENS8_6detail16wrapped_functionINS0_4lessIvEEbEEEE10hipError_tPvRmT1_T2_T3_mmT4_T5_P12ihipStream_tbEUlRKjE_EESL_SP_SQ_mSR_SU_bEUlT_E_NS1_11comp_targetILNS1_3genE8ELNS1_11target_archE1030ELNS1_3gpuE2ELNS1_3repE0EEENS1_30default_config_static_selectorELNS0_4arch9wavefront6targetE0EEEvSO_: ; @_ZN7rocprim17ROCPRIM_400000_NS6detail17trampoline_kernelINS0_14default_configENS1_27upper_bound_config_selectorIjlEEZNS1_14transform_implILb0ES3_S5_N6thrust23THRUST_200600_302600_NS17counting_iteratorIjNS8_11use_defaultESA_SA_EEPlZNS1_13binary_searchIS3_S5_PjSB_SC_NS1_21upper_bound_search_opENS8_6detail16wrapped_functionINS0_4lessIvEEbEEEE10hipError_tPvRmT1_T2_T3_mmT4_T5_P12ihipStream_tbEUlRKjE_EESL_SP_SQ_mSR_SU_bEUlT_E_NS1_11comp_targetILNS1_3genE8ELNS1_11target_archE1030ELNS1_3gpuE2ELNS1_3repE0EEENS1_30default_config_static_selectorELNS0_4arch9wavefront6targetE0EEEvSO_
; %bb.0:
	.section	.rodata,"a",@progbits
	.p2align	6, 0x0
	.amdhsa_kernel _ZN7rocprim17ROCPRIM_400000_NS6detail17trampoline_kernelINS0_14default_configENS1_27upper_bound_config_selectorIjlEEZNS1_14transform_implILb0ES3_S5_N6thrust23THRUST_200600_302600_NS17counting_iteratorIjNS8_11use_defaultESA_SA_EEPlZNS1_13binary_searchIS3_S5_PjSB_SC_NS1_21upper_bound_search_opENS8_6detail16wrapped_functionINS0_4lessIvEEbEEEE10hipError_tPvRmT1_T2_T3_mmT4_T5_P12ihipStream_tbEUlRKjE_EESL_SP_SQ_mSR_SU_bEUlT_E_NS1_11comp_targetILNS1_3genE8ELNS1_11target_archE1030ELNS1_3gpuE2ELNS1_3repE0EEENS1_30default_config_static_selectorELNS0_4arch9wavefront6targetE0EEEvSO_
		.amdhsa_group_segment_fixed_size 0
		.amdhsa_private_segment_fixed_size 0
		.amdhsa_kernarg_size 56
		.amdhsa_user_sgpr_count 15
		.amdhsa_user_sgpr_dispatch_ptr 0
		.amdhsa_user_sgpr_queue_ptr 0
		.amdhsa_user_sgpr_kernarg_segment_ptr 1
		.amdhsa_user_sgpr_dispatch_id 0
		.amdhsa_user_sgpr_private_segment_size 0
		.amdhsa_wavefront_size32 1
		.amdhsa_uses_dynamic_stack 0
		.amdhsa_enable_private_segment 0
		.amdhsa_system_sgpr_workgroup_id_x 1
		.amdhsa_system_sgpr_workgroup_id_y 0
		.amdhsa_system_sgpr_workgroup_id_z 0
		.amdhsa_system_sgpr_workgroup_info 0
		.amdhsa_system_vgpr_workitem_id 0
		.amdhsa_next_free_vgpr 1
		.amdhsa_next_free_sgpr 1
		.amdhsa_reserve_vcc 0
		.amdhsa_float_round_mode_32 0
		.amdhsa_float_round_mode_16_64 0
		.amdhsa_float_denorm_mode_32 3
		.amdhsa_float_denorm_mode_16_64 3
		.amdhsa_dx10_clamp 1
		.amdhsa_ieee_mode 1
		.amdhsa_fp16_overflow 0
		.amdhsa_workgroup_processor_mode 1
		.amdhsa_memory_ordered 1
		.amdhsa_forward_progress 0
		.amdhsa_shared_vgpr_count 0
		.amdhsa_exception_fp_ieee_invalid_op 0
		.amdhsa_exception_fp_denorm_src 0
		.amdhsa_exception_fp_ieee_div_zero 0
		.amdhsa_exception_fp_ieee_overflow 0
		.amdhsa_exception_fp_ieee_underflow 0
		.amdhsa_exception_fp_ieee_inexact 0
		.amdhsa_exception_int_div_zero 0
	.end_amdhsa_kernel
	.section	.text._ZN7rocprim17ROCPRIM_400000_NS6detail17trampoline_kernelINS0_14default_configENS1_27upper_bound_config_selectorIjlEEZNS1_14transform_implILb0ES3_S5_N6thrust23THRUST_200600_302600_NS17counting_iteratorIjNS8_11use_defaultESA_SA_EEPlZNS1_13binary_searchIS3_S5_PjSB_SC_NS1_21upper_bound_search_opENS8_6detail16wrapped_functionINS0_4lessIvEEbEEEE10hipError_tPvRmT1_T2_T3_mmT4_T5_P12ihipStream_tbEUlRKjE_EESL_SP_SQ_mSR_SU_bEUlT_E_NS1_11comp_targetILNS1_3genE8ELNS1_11target_archE1030ELNS1_3gpuE2ELNS1_3repE0EEENS1_30default_config_static_selectorELNS0_4arch9wavefront6targetE0EEEvSO_,"axG",@progbits,_ZN7rocprim17ROCPRIM_400000_NS6detail17trampoline_kernelINS0_14default_configENS1_27upper_bound_config_selectorIjlEEZNS1_14transform_implILb0ES3_S5_N6thrust23THRUST_200600_302600_NS17counting_iteratorIjNS8_11use_defaultESA_SA_EEPlZNS1_13binary_searchIS3_S5_PjSB_SC_NS1_21upper_bound_search_opENS8_6detail16wrapped_functionINS0_4lessIvEEbEEEE10hipError_tPvRmT1_T2_T3_mmT4_T5_P12ihipStream_tbEUlRKjE_EESL_SP_SQ_mSR_SU_bEUlT_E_NS1_11comp_targetILNS1_3genE8ELNS1_11target_archE1030ELNS1_3gpuE2ELNS1_3repE0EEENS1_30default_config_static_selectorELNS0_4arch9wavefront6targetE0EEEvSO_,comdat
.Lfunc_end127:
	.size	_ZN7rocprim17ROCPRIM_400000_NS6detail17trampoline_kernelINS0_14default_configENS1_27upper_bound_config_selectorIjlEEZNS1_14transform_implILb0ES3_S5_N6thrust23THRUST_200600_302600_NS17counting_iteratorIjNS8_11use_defaultESA_SA_EEPlZNS1_13binary_searchIS3_S5_PjSB_SC_NS1_21upper_bound_search_opENS8_6detail16wrapped_functionINS0_4lessIvEEbEEEE10hipError_tPvRmT1_T2_T3_mmT4_T5_P12ihipStream_tbEUlRKjE_EESL_SP_SQ_mSR_SU_bEUlT_E_NS1_11comp_targetILNS1_3genE8ELNS1_11target_archE1030ELNS1_3gpuE2ELNS1_3repE0EEENS1_30default_config_static_selectorELNS0_4arch9wavefront6targetE0EEEvSO_, .Lfunc_end127-_ZN7rocprim17ROCPRIM_400000_NS6detail17trampoline_kernelINS0_14default_configENS1_27upper_bound_config_selectorIjlEEZNS1_14transform_implILb0ES3_S5_N6thrust23THRUST_200600_302600_NS17counting_iteratorIjNS8_11use_defaultESA_SA_EEPlZNS1_13binary_searchIS3_S5_PjSB_SC_NS1_21upper_bound_search_opENS8_6detail16wrapped_functionINS0_4lessIvEEbEEEE10hipError_tPvRmT1_T2_T3_mmT4_T5_P12ihipStream_tbEUlRKjE_EESL_SP_SQ_mSR_SU_bEUlT_E_NS1_11comp_targetILNS1_3genE8ELNS1_11target_archE1030ELNS1_3gpuE2ELNS1_3repE0EEENS1_30default_config_static_selectorELNS0_4arch9wavefront6targetE0EEEvSO_
                                        ; -- End function
	.section	.AMDGPU.csdata,"",@progbits
; Kernel info:
; codeLenInByte = 0
; NumSgprs: 0
; NumVgprs: 0
; ScratchSize: 0
; MemoryBound: 0
; FloatMode: 240
; IeeeMode: 1
; LDSByteSize: 0 bytes/workgroup (compile time only)
; SGPRBlocks: 0
; VGPRBlocks: 0
; NumSGPRsForWavesPerEU: 1
; NumVGPRsForWavesPerEU: 1
; Occupancy: 16
; WaveLimiterHint : 0
; COMPUTE_PGM_RSRC2:SCRATCH_EN: 0
; COMPUTE_PGM_RSRC2:USER_SGPR: 15
; COMPUTE_PGM_RSRC2:TRAP_HANDLER: 0
; COMPUTE_PGM_RSRC2:TGID_X_EN: 1
; COMPUTE_PGM_RSRC2:TGID_Y_EN: 0
; COMPUTE_PGM_RSRC2:TGID_Z_EN: 0
; COMPUTE_PGM_RSRC2:TIDIG_COMP_CNT: 0
	.section	.text._Z18upper_bound_kernelItEvmPT_Pl,"axG",@progbits,_Z18upper_bound_kernelItEvmPT_Pl,comdat
	.protected	_Z18upper_bound_kernelItEvmPT_Pl ; -- Begin function _Z18upper_bound_kernelItEvmPT_Pl
	.globl	_Z18upper_bound_kernelItEvmPT_Pl
	.p2align	8
	.type	_Z18upper_bound_kernelItEvmPT_Pl,@function
_Z18upper_bound_kernelItEvmPT_Pl:       ; @_Z18upper_bound_kernelItEvmPT_Pl
; %bb.0:
	s_clause 0x1
	s_load_b128 s[4:7], s[0:1], 0x0
	s_load_b64 s[2:3], s[0:1], 0x10
	s_mov_b64 s[8:9], 0
	s_waitcnt lgkmcnt(0)
	v_cmp_lt_i64_e64 s0, s[4:5], 1
	s_delay_alu instid0(VALU_DEP_1) | instskip(NEXT) | instid1(SALU_CYCLE_1)
	s_and_b32 s0, exec_lo, s0
	s_mov_b32 vcc_lo, s0
	s_cbranch_vccnz .LBB128_3
; %bb.1:
	v_mov_b32_e32 v0, 0
	s_mov_b64 s[10:11], s[4:5]
	.p2align	6
.LBB128_2:                              ; =>This Inner Loop Header: Depth=1
	s_delay_alu instid0(SALU_CYCLE_1) | instskip(SKIP_1) | instid1(SALU_CYCLE_1)
	s_sub_u32 s1, s10, s8
	s_subb_u32 s13, s11, s9
	s_lshr_b32 s12, s13, 31
	s_delay_alu instid0(SALU_CYCLE_1) | instskip(SKIP_1) | instid1(SALU_CYCLE_1)
	s_add_u32 s12, s1, s12
	s_addc_u32 s13, s13, 0
	s_ashr_i64 s[12:13], s[12:13], 1
	s_delay_alu instid0(SALU_CYCLE_1) | instskip(SKIP_1) | instid1(SALU_CYCLE_1)
	s_add_u32 s12, s12, s8
	s_addc_u32 s13, s13, s9
	s_lshl_b64 s[14:15], s[12:13], 1
	s_delay_alu instid0(SALU_CYCLE_1)
	s_add_u32 s14, s6, s14
	s_addc_u32 s15, s7, s15
	s_add_u32 s1, s12, 1
	global_load_u16 v1, v0, s[14:15]
	s_addc_u32 s14, s13, 0
	s_waitcnt vmcnt(0)
	v_cmp_eq_u16_e32 vcc_lo, 0, v1
	s_and_b32 s15, vcc_lo, exec_lo
	s_cselect_b32 s9, s14, s9
	s_cselect_b32 s8, s1, s8
	;; [unrolled: 1-line block ×4, first 2 shown]
	s_delay_alu instid0(SALU_CYCLE_1) | instskip(NEXT) | instid1(VALU_DEP_1)
	v_cmp_lt_i64_e64 s1, s[8:9], s[10:11]
	s_and_b32 vcc_lo, exec_lo, s1
	s_cbranch_vccnz .LBB128_2
.LBB128_3:
	v_cmp_gt_i64_e64 s10, s[4:5], 0
	v_dual_mov_b32 v1, s8 :: v_dual_mov_b32 v2, s9
	s_mov_b64 s[8:9], 0
	s_delay_alu instid0(VALU_DEP_2) | instskip(SKIP_1) | instid1(VALU_DEP_1)
	v_cndmask_b32_e64 v0, 0, 1, s10
	s_and_not1_b32 vcc_lo, exec_lo, s10
	v_cmp_ne_u32_e64 s1, 1, v0
	v_mov_b32_e32 v0, 0
	global_store_b64 v0, v[1:2], s[2:3]
	s_cbranch_vccnz .LBB128_6
; %bb.4:
	s_mov_b64 s[10:11], s[4:5]
	.p2align	6
.LBB128_5:                              ; =>This Inner Loop Header: Depth=1
	s_delay_alu instid0(SALU_CYCLE_1) | instskip(SKIP_1) | instid1(SALU_CYCLE_1)
	s_sub_u32 s12, s10, s8
	s_subb_u32 s13, s11, s9
	s_lshr_b32 s14, s13, 31
	s_delay_alu instid0(SALU_CYCLE_1) | instskip(SKIP_1) | instid1(SALU_CYCLE_1)
	s_add_u32 s12, s12, s14
	s_addc_u32 s13, s13, 0
	s_ashr_i64 s[12:13], s[12:13], 1
	s_delay_alu instid0(SALU_CYCLE_1) | instskip(SKIP_1) | instid1(SALU_CYCLE_1)
	s_add_u32 s12, s12, s8
	s_addc_u32 s13, s13, s9
	s_lshl_b64 s[14:15], s[12:13], 1
	s_delay_alu instid0(SALU_CYCLE_1)
	s_add_u32 s14, s6, s14
	s_addc_u32 s15, s7, s15
	global_load_u16 v1, v0, s[14:15]
	s_add_u32 s14, s12, 1
	s_addc_u32 s15, s13, 0
	s_waitcnt vmcnt(0)
	v_cmp_lt_u16_e32 vcc_lo, 1, v1
	s_and_b32 s16, vcc_lo, exec_lo
	s_cselect_b32 s9, s9, s15
	s_cselect_b32 s8, s8, s14
	;; [unrolled: 1-line block ×4, first 2 shown]
	s_delay_alu instid0(SALU_CYCLE_1) | instskip(NEXT) | instid1(VALU_DEP_1)
	v_cmp_lt_i64_e64 s12, s[8:9], s[10:11]
	s_and_b32 vcc_lo, exec_lo, s12
	s_cbranch_vccnz .LBB128_5
.LBB128_6:
	v_dual_mov_b32 v0, 0 :: v_dual_mov_b32 v1, s8
	v_mov_b32_e32 v2, s9
	s_and_b32 vcc_lo, exec_lo, s1
	s_mov_b64 s[8:9], 0
	global_store_b64 v0, v[1:2], s[2:3] offset:8
	s_cbranch_vccnz .LBB128_9
; %bb.7:
	s_mov_b64 s[10:11], s[4:5]
	.p2align	6
.LBB128_8:                              ; =>This Inner Loop Header: Depth=1
	s_delay_alu instid0(SALU_CYCLE_1) | instskip(SKIP_1) | instid1(SALU_CYCLE_1)
	s_sub_u32 s12, s10, s8
	s_subb_u32 s13, s11, s9
	s_lshr_b32 s14, s13, 31
	s_delay_alu instid0(SALU_CYCLE_1) | instskip(SKIP_1) | instid1(SALU_CYCLE_1)
	s_add_u32 s12, s12, s14
	s_addc_u32 s13, s13, 0
	s_ashr_i64 s[12:13], s[12:13], 1
	s_delay_alu instid0(SALU_CYCLE_1) | instskip(SKIP_1) | instid1(SALU_CYCLE_1)
	s_add_u32 s12, s12, s8
	s_addc_u32 s13, s13, s9
	s_lshl_b64 s[14:15], s[12:13], 1
	s_delay_alu instid0(SALU_CYCLE_1)
	s_add_u32 s14, s6, s14
	s_addc_u32 s15, s7, s15
	global_load_u16 v1, v0, s[14:15]
	s_add_u32 s14, s12, 1
	s_addc_u32 s15, s13, 0
	s_waitcnt vmcnt(0)
	v_cmp_lt_u16_e32 vcc_lo, 2, v1
	s_and_b32 s16, vcc_lo, exec_lo
	s_cselect_b32 s9, s9, s15
	s_cselect_b32 s8, s8, s14
	;; [unrolled: 1-line block ×4, first 2 shown]
	s_delay_alu instid0(SALU_CYCLE_1) | instskip(NEXT) | instid1(VALU_DEP_1)
	v_cmp_lt_i64_e64 s12, s[8:9], s[10:11]
	s_and_b32 vcc_lo, exec_lo, s12
	s_cbranch_vccnz .LBB128_8
.LBB128_9:
	v_dual_mov_b32 v0, 0 :: v_dual_mov_b32 v1, s8
	v_mov_b32_e32 v2, s9
	s_and_b32 vcc_lo, exec_lo, s1
	s_mov_b64 s[8:9], 0
	global_store_b64 v0, v[1:2], s[2:3] offset:16
	s_cbranch_vccnz .LBB128_12
; %bb.10:
	s_mov_b64 s[10:11], s[4:5]
	.p2align	6
.LBB128_11:                             ; =>This Inner Loop Header: Depth=1
	s_delay_alu instid0(SALU_CYCLE_1) | instskip(SKIP_1) | instid1(SALU_CYCLE_1)
	s_sub_u32 s12, s10, s8
	s_subb_u32 s13, s11, s9
	s_lshr_b32 s14, s13, 31
	s_delay_alu instid0(SALU_CYCLE_1) | instskip(SKIP_1) | instid1(SALU_CYCLE_1)
	s_add_u32 s12, s12, s14
	s_addc_u32 s13, s13, 0
	s_ashr_i64 s[12:13], s[12:13], 1
	s_delay_alu instid0(SALU_CYCLE_1) | instskip(SKIP_1) | instid1(SALU_CYCLE_1)
	s_add_u32 s12, s12, s8
	s_addc_u32 s13, s13, s9
	s_lshl_b64 s[14:15], s[12:13], 1
	s_delay_alu instid0(SALU_CYCLE_1)
	s_add_u32 s14, s6, s14
	s_addc_u32 s15, s7, s15
	global_load_u16 v1, v0, s[14:15]
	s_add_u32 s14, s12, 1
	s_addc_u32 s15, s13, 0
	s_waitcnt vmcnt(0)
	v_cmp_lt_u16_e32 vcc_lo, 3, v1
	s_and_b32 s16, vcc_lo, exec_lo
	s_cselect_b32 s9, s9, s15
	s_cselect_b32 s8, s8, s14
	;; [unrolled: 1-line block ×4, first 2 shown]
	s_delay_alu instid0(SALU_CYCLE_1) | instskip(NEXT) | instid1(VALU_DEP_1)
	v_cmp_lt_i64_e64 s12, s[8:9], s[10:11]
	s_and_b32 vcc_lo, exec_lo, s12
	s_cbranch_vccnz .LBB128_11
.LBB128_12:
	v_dual_mov_b32 v0, 0 :: v_dual_mov_b32 v1, s8
	v_mov_b32_e32 v2, s9
	s_and_b32 vcc_lo, exec_lo, s1
	s_mov_b64 s[8:9], 0
	global_store_b64 v0, v[1:2], s[2:3] offset:24
	s_cbranch_vccnz .LBB128_15
; %bb.13:
	s_mov_b64 s[10:11], s[4:5]
	.p2align	6
.LBB128_14:                             ; =>This Inner Loop Header: Depth=1
	s_delay_alu instid0(SALU_CYCLE_1) | instskip(SKIP_1) | instid1(SALU_CYCLE_1)
	s_sub_u32 s12, s10, s8
	s_subb_u32 s13, s11, s9
	s_lshr_b32 s14, s13, 31
	s_delay_alu instid0(SALU_CYCLE_1) | instskip(SKIP_1) | instid1(SALU_CYCLE_1)
	s_add_u32 s12, s12, s14
	s_addc_u32 s13, s13, 0
	s_ashr_i64 s[12:13], s[12:13], 1
	s_delay_alu instid0(SALU_CYCLE_1) | instskip(SKIP_1) | instid1(SALU_CYCLE_1)
	s_add_u32 s12, s12, s8
	s_addc_u32 s13, s13, s9
	s_lshl_b64 s[14:15], s[12:13], 1
	s_delay_alu instid0(SALU_CYCLE_1)
	s_add_u32 s14, s6, s14
	s_addc_u32 s15, s7, s15
	global_load_u16 v1, v0, s[14:15]
	s_add_u32 s14, s12, 1
	s_addc_u32 s15, s13, 0
	s_waitcnt vmcnt(0)
	v_cmp_lt_u16_e32 vcc_lo, 4, v1
	s_and_b32 s16, vcc_lo, exec_lo
	s_cselect_b32 s9, s9, s15
	s_cselect_b32 s8, s8, s14
	;; [unrolled: 1-line block ×4, first 2 shown]
	s_delay_alu instid0(SALU_CYCLE_1) | instskip(NEXT) | instid1(VALU_DEP_1)
	v_cmp_lt_i64_e64 s12, s[8:9], s[10:11]
	s_and_b32 vcc_lo, exec_lo, s12
	s_cbranch_vccnz .LBB128_14
.LBB128_15:
	v_dual_mov_b32 v0, 0 :: v_dual_mov_b32 v1, s8
	v_mov_b32_e32 v2, s9
	s_and_b32 vcc_lo, exec_lo, s1
	s_mov_b64 s[8:9], 0
	global_store_b64 v0, v[1:2], s[2:3] offset:32
	s_cbranch_vccnz .LBB128_18
; %bb.16:
	s_mov_b64 s[10:11], s[4:5]
	.p2align	6
.LBB128_17:                             ; =>This Inner Loop Header: Depth=1
	s_delay_alu instid0(SALU_CYCLE_1) | instskip(SKIP_1) | instid1(SALU_CYCLE_1)
	s_sub_u32 s12, s10, s8
	s_subb_u32 s13, s11, s9
	s_lshr_b32 s14, s13, 31
	s_delay_alu instid0(SALU_CYCLE_1) | instskip(SKIP_1) | instid1(SALU_CYCLE_1)
	s_add_u32 s12, s12, s14
	s_addc_u32 s13, s13, 0
	s_ashr_i64 s[12:13], s[12:13], 1
	s_delay_alu instid0(SALU_CYCLE_1) | instskip(SKIP_1) | instid1(SALU_CYCLE_1)
	s_add_u32 s12, s12, s8
	s_addc_u32 s13, s13, s9
	s_lshl_b64 s[14:15], s[12:13], 1
	s_delay_alu instid0(SALU_CYCLE_1)
	s_add_u32 s14, s6, s14
	s_addc_u32 s15, s7, s15
	global_load_u16 v1, v0, s[14:15]
	s_add_u32 s14, s12, 1
	s_addc_u32 s15, s13, 0
	s_waitcnt vmcnt(0)
	v_cmp_lt_u16_e32 vcc_lo, 5, v1
	s_and_b32 s16, vcc_lo, exec_lo
	s_cselect_b32 s9, s9, s15
	s_cselect_b32 s8, s8, s14
	;; [unrolled: 1-line block ×4, first 2 shown]
	s_delay_alu instid0(SALU_CYCLE_1) | instskip(NEXT) | instid1(VALU_DEP_1)
	v_cmp_lt_i64_e64 s12, s[8:9], s[10:11]
	s_and_b32 vcc_lo, exec_lo, s12
	s_cbranch_vccnz .LBB128_17
.LBB128_18:
	v_dual_mov_b32 v0, 0 :: v_dual_mov_b32 v1, s8
	v_mov_b32_e32 v2, s9
	s_and_b32 vcc_lo, exec_lo, s1
	s_mov_b64 s[8:9], 0
	global_store_b64 v0, v[1:2], s[2:3] offset:40
	s_cbranch_vccnz .LBB128_21
; %bb.19:
	s_mov_b64 s[10:11], s[4:5]
	.p2align	6
.LBB128_20:                             ; =>This Inner Loop Header: Depth=1
	s_delay_alu instid0(SALU_CYCLE_1) | instskip(SKIP_1) | instid1(SALU_CYCLE_1)
	s_sub_u32 s12, s10, s8
	s_subb_u32 s13, s11, s9
	s_lshr_b32 s14, s13, 31
	s_delay_alu instid0(SALU_CYCLE_1) | instskip(SKIP_1) | instid1(SALU_CYCLE_1)
	s_add_u32 s12, s12, s14
	s_addc_u32 s13, s13, 0
	s_ashr_i64 s[12:13], s[12:13], 1
	s_delay_alu instid0(SALU_CYCLE_1) | instskip(SKIP_1) | instid1(SALU_CYCLE_1)
	s_add_u32 s12, s12, s8
	s_addc_u32 s13, s13, s9
	s_lshl_b64 s[14:15], s[12:13], 1
	s_delay_alu instid0(SALU_CYCLE_1)
	s_add_u32 s14, s6, s14
	s_addc_u32 s15, s7, s15
	global_load_u16 v1, v0, s[14:15]
	s_add_u32 s14, s12, 1
	s_addc_u32 s15, s13, 0
	s_waitcnt vmcnt(0)
	v_cmp_lt_u16_e32 vcc_lo, 6, v1
	s_and_b32 s16, vcc_lo, exec_lo
	s_cselect_b32 s9, s9, s15
	s_cselect_b32 s8, s8, s14
	;; [unrolled: 1-line block ×4, first 2 shown]
	s_delay_alu instid0(SALU_CYCLE_1) | instskip(NEXT) | instid1(VALU_DEP_1)
	v_cmp_lt_i64_e64 s12, s[8:9], s[10:11]
	s_and_b32 vcc_lo, exec_lo, s12
	s_cbranch_vccnz .LBB128_20
.LBB128_21:
	v_dual_mov_b32 v0, 0 :: v_dual_mov_b32 v1, s8
	v_mov_b32_e32 v2, s9
	s_and_b32 vcc_lo, exec_lo, s1
	s_mov_b64 s[8:9], 0
	global_store_b64 v0, v[1:2], s[2:3] offset:48
	s_cbranch_vccnz .LBB128_24
; %bb.22:
	s_mov_b64 s[10:11], s[4:5]
	.p2align	6
.LBB128_23:                             ; =>This Inner Loop Header: Depth=1
	s_delay_alu instid0(SALU_CYCLE_1) | instskip(SKIP_1) | instid1(SALU_CYCLE_1)
	s_sub_u32 s1, s10, s8
	s_subb_u32 s13, s11, s9
	s_lshr_b32 s12, s13, 31
	s_delay_alu instid0(SALU_CYCLE_1) | instskip(SKIP_1) | instid1(SALU_CYCLE_1)
	s_add_u32 s12, s1, s12
	s_addc_u32 s13, s13, 0
	s_ashr_i64 s[12:13], s[12:13], 1
	s_delay_alu instid0(SALU_CYCLE_1) | instskip(SKIP_1) | instid1(SALU_CYCLE_1)
	s_add_u32 s12, s12, s8
	s_addc_u32 s13, s13, s9
	s_lshl_b64 s[14:15], s[12:13], 1
	s_delay_alu instid0(SALU_CYCLE_1)
	s_add_u32 s14, s6, s14
	s_addc_u32 s15, s7, s15
	s_add_u32 s1, s12, 1
	global_load_u16 v1, v0, s[14:15]
	s_addc_u32 s14, s13, 0
	s_waitcnt vmcnt(0)
	v_cmp_lt_u16_e32 vcc_lo, 7, v1
	s_and_b32 s15, vcc_lo, exec_lo
	s_cselect_b32 s9, s9, s14
	s_cselect_b32 s8, s8, s1
	;; [unrolled: 1-line block ×4, first 2 shown]
	s_delay_alu instid0(SALU_CYCLE_1) | instskip(NEXT) | instid1(VALU_DEP_1)
	v_cmp_lt_i64_e64 s1, s[8:9], s[10:11]
	s_and_b32 vcc_lo, exec_lo, s1
	s_cbranch_vccnz .LBB128_23
.LBB128_24:
	v_dual_mov_b32 v0, 0 :: v_dual_mov_b32 v1, s8
	v_mov_b32_e32 v2, s9
	s_mov_b32 vcc_lo, s0
	global_store_b64 v0, v[1:2], s[2:3] offset:56
	s_cbranch_vccz .LBB128_26
; %bb.25:
	v_mov_b32_e32 v1, v0
	s_mov_b64 s[0:1], 0
	global_store_b64 v0, v[0:1], s[2:3] offset:64
	s_cbranch_execz .LBB128_27
	s_branch .LBB128_31
.LBB128_26:
                                        ; implicit-def: $sgpr0_sgpr1
.LBB128_27:
	v_mov_b32_e32 v0, 0
	s_mov_b64 s[0:1], 0
	s_mov_b64 s[8:9], s[4:5]
	.p2align	6
.LBB128_28:                             ; =>This Inner Loop Header: Depth=1
	s_delay_alu instid0(SALU_CYCLE_1) | instskip(SKIP_1) | instid1(SALU_CYCLE_1)
	s_sub_u32 s10, s8, s0
	s_subb_u32 s11, s9, s1
	s_lshr_b32 s12, s11, 31
	s_delay_alu instid0(SALU_CYCLE_1) | instskip(SKIP_1) | instid1(SALU_CYCLE_1)
	s_add_u32 s10, s10, s12
	s_addc_u32 s11, s11, 0
	s_ashr_i64 s[10:11], s[10:11], 1
	s_delay_alu instid0(SALU_CYCLE_1) | instskip(SKIP_1) | instid1(SALU_CYCLE_1)
	s_add_u32 s10, s10, s0
	s_addc_u32 s11, s11, s1
	s_lshl_b64 s[12:13], s[10:11], 1
	s_delay_alu instid0(SALU_CYCLE_1)
	s_add_u32 s12, s6, s12
	s_addc_u32 s13, s7, s13
	global_load_u16 v1, v0, s[12:13]
	s_add_u32 s12, s10, 1
	s_addc_u32 s13, s11, 0
	s_waitcnt vmcnt(0)
	v_cmp_lt_u16_e32 vcc_lo, 8, v1
	s_and_b32 s14, vcc_lo, exec_lo
	s_cselect_b32 s1, s1, s13
	s_cselect_b32 s0, s0, s12
	;; [unrolled: 1-line block ×4, first 2 shown]
	s_delay_alu instid0(SALU_CYCLE_1) | instskip(NEXT) | instid1(VALU_DEP_1)
	v_cmp_lt_i64_e64 s10, s[0:1], s[8:9]
	s_and_b32 vcc_lo, exec_lo, s10
	s_cbranch_vccnz .LBB128_28
; %bb.29:
	v_mov_b32_e32 v2, s1
	v_dual_mov_b32 v0, 0 :: v_dual_mov_b32 v1, s0
	s_mov_b64 s[0:1], 0
	global_store_b64 v0, v[1:2], s[2:3] offset:64
	.p2align	6
.LBB128_30:                             ; =>This Inner Loop Header: Depth=1
	s_sub_u32 s8, s4, s0
	s_subb_u32 s9, s5, s1
	s_delay_alu instid0(SALU_CYCLE_1) | instskip(NEXT) | instid1(SALU_CYCLE_1)
	s_lshr_b32 s10, s9, 31
	s_add_u32 s8, s8, s10
	s_addc_u32 s9, s9, 0
	s_delay_alu instid0(SALU_CYCLE_1) | instskip(NEXT) | instid1(SALU_CYCLE_1)
	s_ashr_i64 s[8:9], s[8:9], 1
	s_add_u32 s8, s8, s0
	s_addc_u32 s9, s9, s1
	s_delay_alu instid0(SALU_CYCLE_1) | instskip(NEXT) | instid1(SALU_CYCLE_1)
	s_lshl_b64 s[10:11], s[8:9], 1
	s_add_u32 s10, s6, s10
	s_addc_u32 s11, s7, s11
	global_load_u16 v1, v0, s[10:11]
	s_add_u32 s10, s8, 1
	s_addc_u32 s11, s9, 0
	s_waitcnt vmcnt(0)
	v_cmp_lt_u16_e32 vcc_lo, 9, v1
	s_and_b32 s12, vcc_lo, exec_lo
	s_cselect_b32 s1, s1, s11
	s_cselect_b32 s0, s0, s10
	s_cselect_b32 s5, s9, s5
	s_cselect_b32 s4, s8, s4
	s_delay_alu instid0(SALU_CYCLE_1) | instskip(NEXT) | instid1(VALU_DEP_1)
	v_cmp_ge_i64_e64 s8, s[0:1], s[4:5]
	s_and_b32 vcc_lo, exec_lo, s8
	s_cbranch_vccz .LBB128_30
.LBB128_31:
	v_mov_b32_e32 v0, s0
	v_dual_mov_b32 v2, 0 :: v_dual_mov_b32 v1, s1
	global_store_b64 v2, v[0:1], s[2:3] offset:72
	s_nop 0
	s_sendmsg sendmsg(MSG_DEALLOC_VGPRS)
	s_endpgm
	.section	.rodata,"a",@progbits
	.p2align	6, 0x0
	.amdhsa_kernel _Z18upper_bound_kernelItEvmPT_Pl
		.amdhsa_group_segment_fixed_size 0
		.amdhsa_private_segment_fixed_size 0
		.amdhsa_kernarg_size 24
		.amdhsa_user_sgpr_count 15
		.amdhsa_user_sgpr_dispatch_ptr 0
		.amdhsa_user_sgpr_queue_ptr 0
		.amdhsa_user_sgpr_kernarg_segment_ptr 1
		.amdhsa_user_sgpr_dispatch_id 0
		.amdhsa_user_sgpr_private_segment_size 0
		.amdhsa_wavefront_size32 1
		.amdhsa_uses_dynamic_stack 0
		.amdhsa_enable_private_segment 0
		.amdhsa_system_sgpr_workgroup_id_x 1
		.amdhsa_system_sgpr_workgroup_id_y 0
		.amdhsa_system_sgpr_workgroup_id_z 0
		.amdhsa_system_sgpr_workgroup_info 0
		.amdhsa_system_vgpr_workitem_id 0
		.amdhsa_next_free_vgpr 3
		.amdhsa_next_free_sgpr 17
		.amdhsa_reserve_vcc 1
		.amdhsa_float_round_mode_32 0
		.amdhsa_float_round_mode_16_64 0
		.amdhsa_float_denorm_mode_32 3
		.amdhsa_float_denorm_mode_16_64 3
		.amdhsa_dx10_clamp 1
		.amdhsa_ieee_mode 1
		.amdhsa_fp16_overflow 0
		.amdhsa_workgroup_processor_mode 1
		.amdhsa_memory_ordered 1
		.amdhsa_forward_progress 0
		.amdhsa_shared_vgpr_count 0
		.amdhsa_exception_fp_ieee_invalid_op 0
		.amdhsa_exception_fp_denorm_src 0
		.amdhsa_exception_fp_ieee_div_zero 0
		.amdhsa_exception_fp_ieee_overflow 0
		.amdhsa_exception_fp_ieee_underflow 0
		.amdhsa_exception_fp_ieee_inexact 0
		.amdhsa_exception_int_div_zero 0
	.end_amdhsa_kernel
	.section	.text._Z18upper_bound_kernelItEvmPT_Pl,"axG",@progbits,_Z18upper_bound_kernelItEvmPT_Pl,comdat
.Lfunc_end128:
	.size	_Z18upper_bound_kernelItEvmPT_Pl, .Lfunc_end128-_Z18upper_bound_kernelItEvmPT_Pl
                                        ; -- End function
	.section	.AMDGPU.csdata,"",@progbits
; Kernel info:
; codeLenInByte = 1696
; NumSgprs: 19
; NumVgprs: 3
; ScratchSize: 0
; MemoryBound: 0
; FloatMode: 240
; IeeeMode: 1
; LDSByteSize: 0 bytes/workgroup (compile time only)
; SGPRBlocks: 2
; VGPRBlocks: 0
; NumSGPRsForWavesPerEU: 19
; NumVGPRsForWavesPerEU: 3
; Occupancy: 16
; WaveLimiterHint : 0
; COMPUTE_PGM_RSRC2:SCRATCH_EN: 0
; COMPUTE_PGM_RSRC2:USER_SGPR: 15
; COMPUTE_PGM_RSRC2:TRAP_HANDLER: 0
; COMPUTE_PGM_RSRC2:TGID_X_EN: 1
; COMPUTE_PGM_RSRC2:TGID_Y_EN: 0
; COMPUTE_PGM_RSRC2:TGID_Z_EN: 0
; COMPUTE_PGM_RSRC2:TIDIG_COMP_CNT: 0
	.section	.text._ZN7rocprim17ROCPRIM_400000_NS6detail17trampoline_kernelINS0_14default_configENS1_27upper_bound_config_selectorItlEEZNS1_14transform_implILb0ES3_S5_N6thrust23THRUST_200600_302600_NS17counting_iteratorItNS8_11use_defaultESA_SA_EEPlZNS1_13binary_searchIS3_S5_PtSB_SC_NS1_21upper_bound_search_opENS8_6detail16wrapped_functionINS0_4lessIvEEbEEEE10hipError_tPvRmT1_T2_T3_mmT4_T5_P12ihipStream_tbEUlRKtE_EESL_SP_SQ_mSR_SU_bEUlT_E_NS1_11comp_targetILNS1_3genE0ELNS1_11target_archE4294967295ELNS1_3gpuE0ELNS1_3repE0EEENS1_30default_config_static_selectorELNS0_4arch9wavefront6targetE0EEEvSO_,"axG",@progbits,_ZN7rocprim17ROCPRIM_400000_NS6detail17trampoline_kernelINS0_14default_configENS1_27upper_bound_config_selectorItlEEZNS1_14transform_implILb0ES3_S5_N6thrust23THRUST_200600_302600_NS17counting_iteratorItNS8_11use_defaultESA_SA_EEPlZNS1_13binary_searchIS3_S5_PtSB_SC_NS1_21upper_bound_search_opENS8_6detail16wrapped_functionINS0_4lessIvEEbEEEE10hipError_tPvRmT1_T2_T3_mmT4_T5_P12ihipStream_tbEUlRKtE_EESL_SP_SQ_mSR_SU_bEUlT_E_NS1_11comp_targetILNS1_3genE0ELNS1_11target_archE4294967295ELNS1_3gpuE0ELNS1_3repE0EEENS1_30default_config_static_selectorELNS0_4arch9wavefront6targetE0EEEvSO_,comdat
	.protected	_ZN7rocprim17ROCPRIM_400000_NS6detail17trampoline_kernelINS0_14default_configENS1_27upper_bound_config_selectorItlEEZNS1_14transform_implILb0ES3_S5_N6thrust23THRUST_200600_302600_NS17counting_iteratorItNS8_11use_defaultESA_SA_EEPlZNS1_13binary_searchIS3_S5_PtSB_SC_NS1_21upper_bound_search_opENS8_6detail16wrapped_functionINS0_4lessIvEEbEEEE10hipError_tPvRmT1_T2_T3_mmT4_T5_P12ihipStream_tbEUlRKtE_EESL_SP_SQ_mSR_SU_bEUlT_E_NS1_11comp_targetILNS1_3genE0ELNS1_11target_archE4294967295ELNS1_3gpuE0ELNS1_3repE0EEENS1_30default_config_static_selectorELNS0_4arch9wavefront6targetE0EEEvSO_ ; -- Begin function _ZN7rocprim17ROCPRIM_400000_NS6detail17trampoline_kernelINS0_14default_configENS1_27upper_bound_config_selectorItlEEZNS1_14transform_implILb0ES3_S5_N6thrust23THRUST_200600_302600_NS17counting_iteratorItNS8_11use_defaultESA_SA_EEPlZNS1_13binary_searchIS3_S5_PtSB_SC_NS1_21upper_bound_search_opENS8_6detail16wrapped_functionINS0_4lessIvEEbEEEE10hipError_tPvRmT1_T2_T3_mmT4_T5_P12ihipStream_tbEUlRKtE_EESL_SP_SQ_mSR_SU_bEUlT_E_NS1_11comp_targetILNS1_3genE0ELNS1_11target_archE4294967295ELNS1_3gpuE0ELNS1_3repE0EEENS1_30default_config_static_selectorELNS0_4arch9wavefront6targetE0EEEvSO_
	.globl	_ZN7rocprim17ROCPRIM_400000_NS6detail17trampoline_kernelINS0_14default_configENS1_27upper_bound_config_selectorItlEEZNS1_14transform_implILb0ES3_S5_N6thrust23THRUST_200600_302600_NS17counting_iteratorItNS8_11use_defaultESA_SA_EEPlZNS1_13binary_searchIS3_S5_PtSB_SC_NS1_21upper_bound_search_opENS8_6detail16wrapped_functionINS0_4lessIvEEbEEEE10hipError_tPvRmT1_T2_T3_mmT4_T5_P12ihipStream_tbEUlRKtE_EESL_SP_SQ_mSR_SU_bEUlT_E_NS1_11comp_targetILNS1_3genE0ELNS1_11target_archE4294967295ELNS1_3gpuE0ELNS1_3repE0EEENS1_30default_config_static_selectorELNS0_4arch9wavefront6targetE0EEEvSO_
	.p2align	8
	.type	_ZN7rocprim17ROCPRIM_400000_NS6detail17trampoline_kernelINS0_14default_configENS1_27upper_bound_config_selectorItlEEZNS1_14transform_implILb0ES3_S5_N6thrust23THRUST_200600_302600_NS17counting_iteratorItNS8_11use_defaultESA_SA_EEPlZNS1_13binary_searchIS3_S5_PtSB_SC_NS1_21upper_bound_search_opENS8_6detail16wrapped_functionINS0_4lessIvEEbEEEE10hipError_tPvRmT1_T2_T3_mmT4_T5_P12ihipStream_tbEUlRKtE_EESL_SP_SQ_mSR_SU_bEUlT_E_NS1_11comp_targetILNS1_3genE0ELNS1_11target_archE4294967295ELNS1_3gpuE0ELNS1_3repE0EEENS1_30default_config_static_selectorELNS0_4arch9wavefront6targetE0EEEvSO_,@function
_ZN7rocprim17ROCPRIM_400000_NS6detail17trampoline_kernelINS0_14default_configENS1_27upper_bound_config_selectorItlEEZNS1_14transform_implILb0ES3_S5_N6thrust23THRUST_200600_302600_NS17counting_iteratorItNS8_11use_defaultESA_SA_EEPlZNS1_13binary_searchIS3_S5_PtSB_SC_NS1_21upper_bound_search_opENS8_6detail16wrapped_functionINS0_4lessIvEEbEEEE10hipError_tPvRmT1_T2_T3_mmT4_T5_P12ihipStream_tbEUlRKtE_EESL_SP_SQ_mSR_SU_bEUlT_E_NS1_11comp_targetILNS1_3genE0ELNS1_11target_archE4294967295ELNS1_3gpuE0ELNS1_3repE0EEENS1_30default_config_static_selectorELNS0_4arch9wavefront6targetE0EEEvSO_: ; @_ZN7rocprim17ROCPRIM_400000_NS6detail17trampoline_kernelINS0_14default_configENS1_27upper_bound_config_selectorItlEEZNS1_14transform_implILb0ES3_S5_N6thrust23THRUST_200600_302600_NS17counting_iteratorItNS8_11use_defaultESA_SA_EEPlZNS1_13binary_searchIS3_S5_PtSB_SC_NS1_21upper_bound_search_opENS8_6detail16wrapped_functionINS0_4lessIvEEbEEEE10hipError_tPvRmT1_T2_T3_mmT4_T5_P12ihipStream_tbEUlRKtE_EESL_SP_SQ_mSR_SU_bEUlT_E_NS1_11comp_targetILNS1_3genE0ELNS1_11target_archE4294967295ELNS1_3gpuE0ELNS1_3repE0EEENS1_30default_config_static_selectorELNS0_4arch9wavefront6targetE0EEEvSO_
; %bb.0:
	.section	.rodata,"a",@progbits
	.p2align	6, 0x0
	.amdhsa_kernel _ZN7rocprim17ROCPRIM_400000_NS6detail17trampoline_kernelINS0_14default_configENS1_27upper_bound_config_selectorItlEEZNS1_14transform_implILb0ES3_S5_N6thrust23THRUST_200600_302600_NS17counting_iteratorItNS8_11use_defaultESA_SA_EEPlZNS1_13binary_searchIS3_S5_PtSB_SC_NS1_21upper_bound_search_opENS8_6detail16wrapped_functionINS0_4lessIvEEbEEEE10hipError_tPvRmT1_T2_T3_mmT4_T5_P12ihipStream_tbEUlRKtE_EESL_SP_SQ_mSR_SU_bEUlT_E_NS1_11comp_targetILNS1_3genE0ELNS1_11target_archE4294967295ELNS1_3gpuE0ELNS1_3repE0EEENS1_30default_config_static_selectorELNS0_4arch9wavefront6targetE0EEEvSO_
		.amdhsa_group_segment_fixed_size 0
		.amdhsa_private_segment_fixed_size 0
		.amdhsa_kernarg_size 56
		.amdhsa_user_sgpr_count 15
		.amdhsa_user_sgpr_dispatch_ptr 0
		.amdhsa_user_sgpr_queue_ptr 0
		.amdhsa_user_sgpr_kernarg_segment_ptr 1
		.amdhsa_user_sgpr_dispatch_id 0
		.amdhsa_user_sgpr_private_segment_size 0
		.amdhsa_wavefront_size32 1
		.amdhsa_uses_dynamic_stack 0
		.amdhsa_enable_private_segment 0
		.amdhsa_system_sgpr_workgroup_id_x 1
		.amdhsa_system_sgpr_workgroup_id_y 0
		.amdhsa_system_sgpr_workgroup_id_z 0
		.amdhsa_system_sgpr_workgroup_info 0
		.amdhsa_system_vgpr_workitem_id 0
		.amdhsa_next_free_vgpr 1
		.amdhsa_next_free_sgpr 1
		.amdhsa_reserve_vcc 0
		.amdhsa_float_round_mode_32 0
		.amdhsa_float_round_mode_16_64 0
		.amdhsa_float_denorm_mode_32 3
		.amdhsa_float_denorm_mode_16_64 3
		.amdhsa_dx10_clamp 1
		.amdhsa_ieee_mode 1
		.amdhsa_fp16_overflow 0
		.amdhsa_workgroup_processor_mode 1
		.amdhsa_memory_ordered 1
		.amdhsa_forward_progress 0
		.amdhsa_shared_vgpr_count 0
		.amdhsa_exception_fp_ieee_invalid_op 0
		.amdhsa_exception_fp_denorm_src 0
		.amdhsa_exception_fp_ieee_div_zero 0
		.amdhsa_exception_fp_ieee_overflow 0
		.amdhsa_exception_fp_ieee_underflow 0
		.amdhsa_exception_fp_ieee_inexact 0
		.amdhsa_exception_int_div_zero 0
	.end_amdhsa_kernel
	.section	.text._ZN7rocprim17ROCPRIM_400000_NS6detail17trampoline_kernelINS0_14default_configENS1_27upper_bound_config_selectorItlEEZNS1_14transform_implILb0ES3_S5_N6thrust23THRUST_200600_302600_NS17counting_iteratorItNS8_11use_defaultESA_SA_EEPlZNS1_13binary_searchIS3_S5_PtSB_SC_NS1_21upper_bound_search_opENS8_6detail16wrapped_functionINS0_4lessIvEEbEEEE10hipError_tPvRmT1_T2_T3_mmT4_T5_P12ihipStream_tbEUlRKtE_EESL_SP_SQ_mSR_SU_bEUlT_E_NS1_11comp_targetILNS1_3genE0ELNS1_11target_archE4294967295ELNS1_3gpuE0ELNS1_3repE0EEENS1_30default_config_static_selectorELNS0_4arch9wavefront6targetE0EEEvSO_,"axG",@progbits,_ZN7rocprim17ROCPRIM_400000_NS6detail17trampoline_kernelINS0_14default_configENS1_27upper_bound_config_selectorItlEEZNS1_14transform_implILb0ES3_S5_N6thrust23THRUST_200600_302600_NS17counting_iteratorItNS8_11use_defaultESA_SA_EEPlZNS1_13binary_searchIS3_S5_PtSB_SC_NS1_21upper_bound_search_opENS8_6detail16wrapped_functionINS0_4lessIvEEbEEEE10hipError_tPvRmT1_T2_T3_mmT4_T5_P12ihipStream_tbEUlRKtE_EESL_SP_SQ_mSR_SU_bEUlT_E_NS1_11comp_targetILNS1_3genE0ELNS1_11target_archE4294967295ELNS1_3gpuE0ELNS1_3repE0EEENS1_30default_config_static_selectorELNS0_4arch9wavefront6targetE0EEEvSO_,comdat
.Lfunc_end129:
	.size	_ZN7rocprim17ROCPRIM_400000_NS6detail17trampoline_kernelINS0_14default_configENS1_27upper_bound_config_selectorItlEEZNS1_14transform_implILb0ES3_S5_N6thrust23THRUST_200600_302600_NS17counting_iteratorItNS8_11use_defaultESA_SA_EEPlZNS1_13binary_searchIS3_S5_PtSB_SC_NS1_21upper_bound_search_opENS8_6detail16wrapped_functionINS0_4lessIvEEbEEEE10hipError_tPvRmT1_T2_T3_mmT4_T5_P12ihipStream_tbEUlRKtE_EESL_SP_SQ_mSR_SU_bEUlT_E_NS1_11comp_targetILNS1_3genE0ELNS1_11target_archE4294967295ELNS1_3gpuE0ELNS1_3repE0EEENS1_30default_config_static_selectorELNS0_4arch9wavefront6targetE0EEEvSO_, .Lfunc_end129-_ZN7rocprim17ROCPRIM_400000_NS6detail17trampoline_kernelINS0_14default_configENS1_27upper_bound_config_selectorItlEEZNS1_14transform_implILb0ES3_S5_N6thrust23THRUST_200600_302600_NS17counting_iteratorItNS8_11use_defaultESA_SA_EEPlZNS1_13binary_searchIS3_S5_PtSB_SC_NS1_21upper_bound_search_opENS8_6detail16wrapped_functionINS0_4lessIvEEbEEEE10hipError_tPvRmT1_T2_T3_mmT4_T5_P12ihipStream_tbEUlRKtE_EESL_SP_SQ_mSR_SU_bEUlT_E_NS1_11comp_targetILNS1_3genE0ELNS1_11target_archE4294967295ELNS1_3gpuE0ELNS1_3repE0EEENS1_30default_config_static_selectorELNS0_4arch9wavefront6targetE0EEEvSO_
                                        ; -- End function
	.section	.AMDGPU.csdata,"",@progbits
; Kernel info:
; codeLenInByte = 0
; NumSgprs: 0
; NumVgprs: 0
; ScratchSize: 0
; MemoryBound: 0
; FloatMode: 240
; IeeeMode: 1
; LDSByteSize: 0 bytes/workgroup (compile time only)
; SGPRBlocks: 0
; VGPRBlocks: 0
; NumSGPRsForWavesPerEU: 1
; NumVGPRsForWavesPerEU: 1
; Occupancy: 16
; WaveLimiterHint : 0
; COMPUTE_PGM_RSRC2:SCRATCH_EN: 0
; COMPUTE_PGM_RSRC2:USER_SGPR: 15
; COMPUTE_PGM_RSRC2:TRAP_HANDLER: 0
; COMPUTE_PGM_RSRC2:TGID_X_EN: 1
; COMPUTE_PGM_RSRC2:TGID_Y_EN: 0
; COMPUTE_PGM_RSRC2:TGID_Z_EN: 0
; COMPUTE_PGM_RSRC2:TIDIG_COMP_CNT: 0
	.section	.text._ZN7rocprim17ROCPRIM_400000_NS6detail17trampoline_kernelINS0_14default_configENS1_27upper_bound_config_selectorItlEEZNS1_14transform_implILb0ES3_S5_N6thrust23THRUST_200600_302600_NS17counting_iteratorItNS8_11use_defaultESA_SA_EEPlZNS1_13binary_searchIS3_S5_PtSB_SC_NS1_21upper_bound_search_opENS8_6detail16wrapped_functionINS0_4lessIvEEbEEEE10hipError_tPvRmT1_T2_T3_mmT4_T5_P12ihipStream_tbEUlRKtE_EESL_SP_SQ_mSR_SU_bEUlT_E_NS1_11comp_targetILNS1_3genE5ELNS1_11target_archE942ELNS1_3gpuE9ELNS1_3repE0EEENS1_30default_config_static_selectorELNS0_4arch9wavefront6targetE0EEEvSO_,"axG",@progbits,_ZN7rocprim17ROCPRIM_400000_NS6detail17trampoline_kernelINS0_14default_configENS1_27upper_bound_config_selectorItlEEZNS1_14transform_implILb0ES3_S5_N6thrust23THRUST_200600_302600_NS17counting_iteratorItNS8_11use_defaultESA_SA_EEPlZNS1_13binary_searchIS3_S5_PtSB_SC_NS1_21upper_bound_search_opENS8_6detail16wrapped_functionINS0_4lessIvEEbEEEE10hipError_tPvRmT1_T2_T3_mmT4_T5_P12ihipStream_tbEUlRKtE_EESL_SP_SQ_mSR_SU_bEUlT_E_NS1_11comp_targetILNS1_3genE5ELNS1_11target_archE942ELNS1_3gpuE9ELNS1_3repE0EEENS1_30default_config_static_selectorELNS0_4arch9wavefront6targetE0EEEvSO_,comdat
	.protected	_ZN7rocprim17ROCPRIM_400000_NS6detail17trampoline_kernelINS0_14default_configENS1_27upper_bound_config_selectorItlEEZNS1_14transform_implILb0ES3_S5_N6thrust23THRUST_200600_302600_NS17counting_iteratorItNS8_11use_defaultESA_SA_EEPlZNS1_13binary_searchIS3_S5_PtSB_SC_NS1_21upper_bound_search_opENS8_6detail16wrapped_functionINS0_4lessIvEEbEEEE10hipError_tPvRmT1_T2_T3_mmT4_T5_P12ihipStream_tbEUlRKtE_EESL_SP_SQ_mSR_SU_bEUlT_E_NS1_11comp_targetILNS1_3genE5ELNS1_11target_archE942ELNS1_3gpuE9ELNS1_3repE0EEENS1_30default_config_static_selectorELNS0_4arch9wavefront6targetE0EEEvSO_ ; -- Begin function _ZN7rocprim17ROCPRIM_400000_NS6detail17trampoline_kernelINS0_14default_configENS1_27upper_bound_config_selectorItlEEZNS1_14transform_implILb0ES3_S5_N6thrust23THRUST_200600_302600_NS17counting_iteratorItNS8_11use_defaultESA_SA_EEPlZNS1_13binary_searchIS3_S5_PtSB_SC_NS1_21upper_bound_search_opENS8_6detail16wrapped_functionINS0_4lessIvEEbEEEE10hipError_tPvRmT1_T2_T3_mmT4_T5_P12ihipStream_tbEUlRKtE_EESL_SP_SQ_mSR_SU_bEUlT_E_NS1_11comp_targetILNS1_3genE5ELNS1_11target_archE942ELNS1_3gpuE9ELNS1_3repE0EEENS1_30default_config_static_selectorELNS0_4arch9wavefront6targetE0EEEvSO_
	.globl	_ZN7rocprim17ROCPRIM_400000_NS6detail17trampoline_kernelINS0_14default_configENS1_27upper_bound_config_selectorItlEEZNS1_14transform_implILb0ES3_S5_N6thrust23THRUST_200600_302600_NS17counting_iteratorItNS8_11use_defaultESA_SA_EEPlZNS1_13binary_searchIS3_S5_PtSB_SC_NS1_21upper_bound_search_opENS8_6detail16wrapped_functionINS0_4lessIvEEbEEEE10hipError_tPvRmT1_T2_T3_mmT4_T5_P12ihipStream_tbEUlRKtE_EESL_SP_SQ_mSR_SU_bEUlT_E_NS1_11comp_targetILNS1_3genE5ELNS1_11target_archE942ELNS1_3gpuE9ELNS1_3repE0EEENS1_30default_config_static_selectorELNS0_4arch9wavefront6targetE0EEEvSO_
	.p2align	8
	.type	_ZN7rocprim17ROCPRIM_400000_NS6detail17trampoline_kernelINS0_14default_configENS1_27upper_bound_config_selectorItlEEZNS1_14transform_implILb0ES3_S5_N6thrust23THRUST_200600_302600_NS17counting_iteratorItNS8_11use_defaultESA_SA_EEPlZNS1_13binary_searchIS3_S5_PtSB_SC_NS1_21upper_bound_search_opENS8_6detail16wrapped_functionINS0_4lessIvEEbEEEE10hipError_tPvRmT1_T2_T3_mmT4_T5_P12ihipStream_tbEUlRKtE_EESL_SP_SQ_mSR_SU_bEUlT_E_NS1_11comp_targetILNS1_3genE5ELNS1_11target_archE942ELNS1_3gpuE9ELNS1_3repE0EEENS1_30default_config_static_selectorELNS0_4arch9wavefront6targetE0EEEvSO_,@function
_ZN7rocprim17ROCPRIM_400000_NS6detail17trampoline_kernelINS0_14default_configENS1_27upper_bound_config_selectorItlEEZNS1_14transform_implILb0ES3_S5_N6thrust23THRUST_200600_302600_NS17counting_iteratorItNS8_11use_defaultESA_SA_EEPlZNS1_13binary_searchIS3_S5_PtSB_SC_NS1_21upper_bound_search_opENS8_6detail16wrapped_functionINS0_4lessIvEEbEEEE10hipError_tPvRmT1_T2_T3_mmT4_T5_P12ihipStream_tbEUlRKtE_EESL_SP_SQ_mSR_SU_bEUlT_E_NS1_11comp_targetILNS1_3genE5ELNS1_11target_archE942ELNS1_3gpuE9ELNS1_3repE0EEENS1_30default_config_static_selectorELNS0_4arch9wavefront6targetE0EEEvSO_: ; @_ZN7rocprim17ROCPRIM_400000_NS6detail17trampoline_kernelINS0_14default_configENS1_27upper_bound_config_selectorItlEEZNS1_14transform_implILb0ES3_S5_N6thrust23THRUST_200600_302600_NS17counting_iteratorItNS8_11use_defaultESA_SA_EEPlZNS1_13binary_searchIS3_S5_PtSB_SC_NS1_21upper_bound_search_opENS8_6detail16wrapped_functionINS0_4lessIvEEbEEEE10hipError_tPvRmT1_T2_T3_mmT4_T5_P12ihipStream_tbEUlRKtE_EESL_SP_SQ_mSR_SU_bEUlT_E_NS1_11comp_targetILNS1_3genE5ELNS1_11target_archE942ELNS1_3gpuE9ELNS1_3repE0EEENS1_30default_config_static_selectorELNS0_4arch9wavefront6targetE0EEEvSO_
; %bb.0:
	.section	.rodata,"a",@progbits
	.p2align	6, 0x0
	.amdhsa_kernel _ZN7rocprim17ROCPRIM_400000_NS6detail17trampoline_kernelINS0_14default_configENS1_27upper_bound_config_selectorItlEEZNS1_14transform_implILb0ES3_S5_N6thrust23THRUST_200600_302600_NS17counting_iteratorItNS8_11use_defaultESA_SA_EEPlZNS1_13binary_searchIS3_S5_PtSB_SC_NS1_21upper_bound_search_opENS8_6detail16wrapped_functionINS0_4lessIvEEbEEEE10hipError_tPvRmT1_T2_T3_mmT4_T5_P12ihipStream_tbEUlRKtE_EESL_SP_SQ_mSR_SU_bEUlT_E_NS1_11comp_targetILNS1_3genE5ELNS1_11target_archE942ELNS1_3gpuE9ELNS1_3repE0EEENS1_30default_config_static_selectorELNS0_4arch9wavefront6targetE0EEEvSO_
		.amdhsa_group_segment_fixed_size 0
		.amdhsa_private_segment_fixed_size 0
		.amdhsa_kernarg_size 56
		.amdhsa_user_sgpr_count 15
		.amdhsa_user_sgpr_dispatch_ptr 0
		.amdhsa_user_sgpr_queue_ptr 0
		.amdhsa_user_sgpr_kernarg_segment_ptr 1
		.amdhsa_user_sgpr_dispatch_id 0
		.amdhsa_user_sgpr_private_segment_size 0
		.amdhsa_wavefront_size32 1
		.amdhsa_uses_dynamic_stack 0
		.amdhsa_enable_private_segment 0
		.amdhsa_system_sgpr_workgroup_id_x 1
		.amdhsa_system_sgpr_workgroup_id_y 0
		.amdhsa_system_sgpr_workgroup_id_z 0
		.amdhsa_system_sgpr_workgroup_info 0
		.amdhsa_system_vgpr_workitem_id 0
		.amdhsa_next_free_vgpr 1
		.amdhsa_next_free_sgpr 1
		.amdhsa_reserve_vcc 0
		.amdhsa_float_round_mode_32 0
		.amdhsa_float_round_mode_16_64 0
		.amdhsa_float_denorm_mode_32 3
		.amdhsa_float_denorm_mode_16_64 3
		.amdhsa_dx10_clamp 1
		.amdhsa_ieee_mode 1
		.amdhsa_fp16_overflow 0
		.amdhsa_workgroup_processor_mode 1
		.amdhsa_memory_ordered 1
		.amdhsa_forward_progress 0
		.amdhsa_shared_vgpr_count 0
		.amdhsa_exception_fp_ieee_invalid_op 0
		.amdhsa_exception_fp_denorm_src 0
		.amdhsa_exception_fp_ieee_div_zero 0
		.amdhsa_exception_fp_ieee_overflow 0
		.amdhsa_exception_fp_ieee_underflow 0
		.amdhsa_exception_fp_ieee_inexact 0
		.amdhsa_exception_int_div_zero 0
	.end_amdhsa_kernel
	.section	.text._ZN7rocprim17ROCPRIM_400000_NS6detail17trampoline_kernelINS0_14default_configENS1_27upper_bound_config_selectorItlEEZNS1_14transform_implILb0ES3_S5_N6thrust23THRUST_200600_302600_NS17counting_iteratorItNS8_11use_defaultESA_SA_EEPlZNS1_13binary_searchIS3_S5_PtSB_SC_NS1_21upper_bound_search_opENS8_6detail16wrapped_functionINS0_4lessIvEEbEEEE10hipError_tPvRmT1_T2_T3_mmT4_T5_P12ihipStream_tbEUlRKtE_EESL_SP_SQ_mSR_SU_bEUlT_E_NS1_11comp_targetILNS1_3genE5ELNS1_11target_archE942ELNS1_3gpuE9ELNS1_3repE0EEENS1_30default_config_static_selectorELNS0_4arch9wavefront6targetE0EEEvSO_,"axG",@progbits,_ZN7rocprim17ROCPRIM_400000_NS6detail17trampoline_kernelINS0_14default_configENS1_27upper_bound_config_selectorItlEEZNS1_14transform_implILb0ES3_S5_N6thrust23THRUST_200600_302600_NS17counting_iteratorItNS8_11use_defaultESA_SA_EEPlZNS1_13binary_searchIS3_S5_PtSB_SC_NS1_21upper_bound_search_opENS8_6detail16wrapped_functionINS0_4lessIvEEbEEEE10hipError_tPvRmT1_T2_T3_mmT4_T5_P12ihipStream_tbEUlRKtE_EESL_SP_SQ_mSR_SU_bEUlT_E_NS1_11comp_targetILNS1_3genE5ELNS1_11target_archE942ELNS1_3gpuE9ELNS1_3repE0EEENS1_30default_config_static_selectorELNS0_4arch9wavefront6targetE0EEEvSO_,comdat
.Lfunc_end130:
	.size	_ZN7rocprim17ROCPRIM_400000_NS6detail17trampoline_kernelINS0_14default_configENS1_27upper_bound_config_selectorItlEEZNS1_14transform_implILb0ES3_S5_N6thrust23THRUST_200600_302600_NS17counting_iteratorItNS8_11use_defaultESA_SA_EEPlZNS1_13binary_searchIS3_S5_PtSB_SC_NS1_21upper_bound_search_opENS8_6detail16wrapped_functionINS0_4lessIvEEbEEEE10hipError_tPvRmT1_T2_T3_mmT4_T5_P12ihipStream_tbEUlRKtE_EESL_SP_SQ_mSR_SU_bEUlT_E_NS1_11comp_targetILNS1_3genE5ELNS1_11target_archE942ELNS1_3gpuE9ELNS1_3repE0EEENS1_30default_config_static_selectorELNS0_4arch9wavefront6targetE0EEEvSO_, .Lfunc_end130-_ZN7rocprim17ROCPRIM_400000_NS6detail17trampoline_kernelINS0_14default_configENS1_27upper_bound_config_selectorItlEEZNS1_14transform_implILb0ES3_S5_N6thrust23THRUST_200600_302600_NS17counting_iteratorItNS8_11use_defaultESA_SA_EEPlZNS1_13binary_searchIS3_S5_PtSB_SC_NS1_21upper_bound_search_opENS8_6detail16wrapped_functionINS0_4lessIvEEbEEEE10hipError_tPvRmT1_T2_T3_mmT4_T5_P12ihipStream_tbEUlRKtE_EESL_SP_SQ_mSR_SU_bEUlT_E_NS1_11comp_targetILNS1_3genE5ELNS1_11target_archE942ELNS1_3gpuE9ELNS1_3repE0EEENS1_30default_config_static_selectorELNS0_4arch9wavefront6targetE0EEEvSO_
                                        ; -- End function
	.section	.AMDGPU.csdata,"",@progbits
; Kernel info:
; codeLenInByte = 0
; NumSgprs: 0
; NumVgprs: 0
; ScratchSize: 0
; MemoryBound: 0
; FloatMode: 240
; IeeeMode: 1
; LDSByteSize: 0 bytes/workgroup (compile time only)
; SGPRBlocks: 0
; VGPRBlocks: 0
; NumSGPRsForWavesPerEU: 1
; NumVGPRsForWavesPerEU: 1
; Occupancy: 16
; WaveLimiterHint : 0
; COMPUTE_PGM_RSRC2:SCRATCH_EN: 0
; COMPUTE_PGM_RSRC2:USER_SGPR: 15
; COMPUTE_PGM_RSRC2:TRAP_HANDLER: 0
; COMPUTE_PGM_RSRC2:TGID_X_EN: 1
; COMPUTE_PGM_RSRC2:TGID_Y_EN: 0
; COMPUTE_PGM_RSRC2:TGID_Z_EN: 0
; COMPUTE_PGM_RSRC2:TIDIG_COMP_CNT: 0
	.section	.text._ZN7rocprim17ROCPRIM_400000_NS6detail17trampoline_kernelINS0_14default_configENS1_27upper_bound_config_selectorItlEEZNS1_14transform_implILb0ES3_S5_N6thrust23THRUST_200600_302600_NS17counting_iteratorItNS8_11use_defaultESA_SA_EEPlZNS1_13binary_searchIS3_S5_PtSB_SC_NS1_21upper_bound_search_opENS8_6detail16wrapped_functionINS0_4lessIvEEbEEEE10hipError_tPvRmT1_T2_T3_mmT4_T5_P12ihipStream_tbEUlRKtE_EESL_SP_SQ_mSR_SU_bEUlT_E_NS1_11comp_targetILNS1_3genE4ELNS1_11target_archE910ELNS1_3gpuE8ELNS1_3repE0EEENS1_30default_config_static_selectorELNS0_4arch9wavefront6targetE0EEEvSO_,"axG",@progbits,_ZN7rocprim17ROCPRIM_400000_NS6detail17trampoline_kernelINS0_14default_configENS1_27upper_bound_config_selectorItlEEZNS1_14transform_implILb0ES3_S5_N6thrust23THRUST_200600_302600_NS17counting_iteratorItNS8_11use_defaultESA_SA_EEPlZNS1_13binary_searchIS3_S5_PtSB_SC_NS1_21upper_bound_search_opENS8_6detail16wrapped_functionINS0_4lessIvEEbEEEE10hipError_tPvRmT1_T2_T3_mmT4_T5_P12ihipStream_tbEUlRKtE_EESL_SP_SQ_mSR_SU_bEUlT_E_NS1_11comp_targetILNS1_3genE4ELNS1_11target_archE910ELNS1_3gpuE8ELNS1_3repE0EEENS1_30default_config_static_selectorELNS0_4arch9wavefront6targetE0EEEvSO_,comdat
	.protected	_ZN7rocprim17ROCPRIM_400000_NS6detail17trampoline_kernelINS0_14default_configENS1_27upper_bound_config_selectorItlEEZNS1_14transform_implILb0ES3_S5_N6thrust23THRUST_200600_302600_NS17counting_iteratorItNS8_11use_defaultESA_SA_EEPlZNS1_13binary_searchIS3_S5_PtSB_SC_NS1_21upper_bound_search_opENS8_6detail16wrapped_functionINS0_4lessIvEEbEEEE10hipError_tPvRmT1_T2_T3_mmT4_T5_P12ihipStream_tbEUlRKtE_EESL_SP_SQ_mSR_SU_bEUlT_E_NS1_11comp_targetILNS1_3genE4ELNS1_11target_archE910ELNS1_3gpuE8ELNS1_3repE0EEENS1_30default_config_static_selectorELNS0_4arch9wavefront6targetE0EEEvSO_ ; -- Begin function _ZN7rocprim17ROCPRIM_400000_NS6detail17trampoline_kernelINS0_14default_configENS1_27upper_bound_config_selectorItlEEZNS1_14transform_implILb0ES3_S5_N6thrust23THRUST_200600_302600_NS17counting_iteratorItNS8_11use_defaultESA_SA_EEPlZNS1_13binary_searchIS3_S5_PtSB_SC_NS1_21upper_bound_search_opENS8_6detail16wrapped_functionINS0_4lessIvEEbEEEE10hipError_tPvRmT1_T2_T3_mmT4_T5_P12ihipStream_tbEUlRKtE_EESL_SP_SQ_mSR_SU_bEUlT_E_NS1_11comp_targetILNS1_3genE4ELNS1_11target_archE910ELNS1_3gpuE8ELNS1_3repE0EEENS1_30default_config_static_selectorELNS0_4arch9wavefront6targetE0EEEvSO_
	.globl	_ZN7rocprim17ROCPRIM_400000_NS6detail17trampoline_kernelINS0_14default_configENS1_27upper_bound_config_selectorItlEEZNS1_14transform_implILb0ES3_S5_N6thrust23THRUST_200600_302600_NS17counting_iteratorItNS8_11use_defaultESA_SA_EEPlZNS1_13binary_searchIS3_S5_PtSB_SC_NS1_21upper_bound_search_opENS8_6detail16wrapped_functionINS0_4lessIvEEbEEEE10hipError_tPvRmT1_T2_T3_mmT4_T5_P12ihipStream_tbEUlRKtE_EESL_SP_SQ_mSR_SU_bEUlT_E_NS1_11comp_targetILNS1_3genE4ELNS1_11target_archE910ELNS1_3gpuE8ELNS1_3repE0EEENS1_30default_config_static_selectorELNS0_4arch9wavefront6targetE0EEEvSO_
	.p2align	8
	.type	_ZN7rocprim17ROCPRIM_400000_NS6detail17trampoline_kernelINS0_14default_configENS1_27upper_bound_config_selectorItlEEZNS1_14transform_implILb0ES3_S5_N6thrust23THRUST_200600_302600_NS17counting_iteratorItNS8_11use_defaultESA_SA_EEPlZNS1_13binary_searchIS3_S5_PtSB_SC_NS1_21upper_bound_search_opENS8_6detail16wrapped_functionINS0_4lessIvEEbEEEE10hipError_tPvRmT1_T2_T3_mmT4_T5_P12ihipStream_tbEUlRKtE_EESL_SP_SQ_mSR_SU_bEUlT_E_NS1_11comp_targetILNS1_3genE4ELNS1_11target_archE910ELNS1_3gpuE8ELNS1_3repE0EEENS1_30default_config_static_selectorELNS0_4arch9wavefront6targetE0EEEvSO_,@function
_ZN7rocprim17ROCPRIM_400000_NS6detail17trampoline_kernelINS0_14default_configENS1_27upper_bound_config_selectorItlEEZNS1_14transform_implILb0ES3_S5_N6thrust23THRUST_200600_302600_NS17counting_iteratorItNS8_11use_defaultESA_SA_EEPlZNS1_13binary_searchIS3_S5_PtSB_SC_NS1_21upper_bound_search_opENS8_6detail16wrapped_functionINS0_4lessIvEEbEEEE10hipError_tPvRmT1_T2_T3_mmT4_T5_P12ihipStream_tbEUlRKtE_EESL_SP_SQ_mSR_SU_bEUlT_E_NS1_11comp_targetILNS1_3genE4ELNS1_11target_archE910ELNS1_3gpuE8ELNS1_3repE0EEENS1_30default_config_static_selectorELNS0_4arch9wavefront6targetE0EEEvSO_: ; @_ZN7rocprim17ROCPRIM_400000_NS6detail17trampoline_kernelINS0_14default_configENS1_27upper_bound_config_selectorItlEEZNS1_14transform_implILb0ES3_S5_N6thrust23THRUST_200600_302600_NS17counting_iteratorItNS8_11use_defaultESA_SA_EEPlZNS1_13binary_searchIS3_S5_PtSB_SC_NS1_21upper_bound_search_opENS8_6detail16wrapped_functionINS0_4lessIvEEbEEEE10hipError_tPvRmT1_T2_T3_mmT4_T5_P12ihipStream_tbEUlRKtE_EESL_SP_SQ_mSR_SU_bEUlT_E_NS1_11comp_targetILNS1_3genE4ELNS1_11target_archE910ELNS1_3gpuE8ELNS1_3repE0EEENS1_30default_config_static_selectorELNS0_4arch9wavefront6targetE0EEEvSO_
; %bb.0:
	.section	.rodata,"a",@progbits
	.p2align	6, 0x0
	.amdhsa_kernel _ZN7rocprim17ROCPRIM_400000_NS6detail17trampoline_kernelINS0_14default_configENS1_27upper_bound_config_selectorItlEEZNS1_14transform_implILb0ES3_S5_N6thrust23THRUST_200600_302600_NS17counting_iteratorItNS8_11use_defaultESA_SA_EEPlZNS1_13binary_searchIS3_S5_PtSB_SC_NS1_21upper_bound_search_opENS8_6detail16wrapped_functionINS0_4lessIvEEbEEEE10hipError_tPvRmT1_T2_T3_mmT4_T5_P12ihipStream_tbEUlRKtE_EESL_SP_SQ_mSR_SU_bEUlT_E_NS1_11comp_targetILNS1_3genE4ELNS1_11target_archE910ELNS1_3gpuE8ELNS1_3repE0EEENS1_30default_config_static_selectorELNS0_4arch9wavefront6targetE0EEEvSO_
		.amdhsa_group_segment_fixed_size 0
		.amdhsa_private_segment_fixed_size 0
		.amdhsa_kernarg_size 56
		.amdhsa_user_sgpr_count 15
		.amdhsa_user_sgpr_dispatch_ptr 0
		.amdhsa_user_sgpr_queue_ptr 0
		.amdhsa_user_sgpr_kernarg_segment_ptr 1
		.amdhsa_user_sgpr_dispatch_id 0
		.amdhsa_user_sgpr_private_segment_size 0
		.amdhsa_wavefront_size32 1
		.amdhsa_uses_dynamic_stack 0
		.amdhsa_enable_private_segment 0
		.amdhsa_system_sgpr_workgroup_id_x 1
		.amdhsa_system_sgpr_workgroup_id_y 0
		.amdhsa_system_sgpr_workgroup_id_z 0
		.amdhsa_system_sgpr_workgroup_info 0
		.amdhsa_system_vgpr_workitem_id 0
		.amdhsa_next_free_vgpr 1
		.amdhsa_next_free_sgpr 1
		.amdhsa_reserve_vcc 0
		.amdhsa_float_round_mode_32 0
		.amdhsa_float_round_mode_16_64 0
		.amdhsa_float_denorm_mode_32 3
		.amdhsa_float_denorm_mode_16_64 3
		.amdhsa_dx10_clamp 1
		.amdhsa_ieee_mode 1
		.amdhsa_fp16_overflow 0
		.amdhsa_workgroup_processor_mode 1
		.amdhsa_memory_ordered 1
		.amdhsa_forward_progress 0
		.amdhsa_shared_vgpr_count 0
		.amdhsa_exception_fp_ieee_invalid_op 0
		.amdhsa_exception_fp_denorm_src 0
		.amdhsa_exception_fp_ieee_div_zero 0
		.amdhsa_exception_fp_ieee_overflow 0
		.amdhsa_exception_fp_ieee_underflow 0
		.amdhsa_exception_fp_ieee_inexact 0
		.amdhsa_exception_int_div_zero 0
	.end_amdhsa_kernel
	.section	.text._ZN7rocprim17ROCPRIM_400000_NS6detail17trampoline_kernelINS0_14default_configENS1_27upper_bound_config_selectorItlEEZNS1_14transform_implILb0ES3_S5_N6thrust23THRUST_200600_302600_NS17counting_iteratorItNS8_11use_defaultESA_SA_EEPlZNS1_13binary_searchIS3_S5_PtSB_SC_NS1_21upper_bound_search_opENS8_6detail16wrapped_functionINS0_4lessIvEEbEEEE10hipError_tPvRmT1_T2_T3_mmT4_T5_P12ihipStream_tbEUlRKtE_EESL_SP_SQ_mSR_SU_bEUlT_E_NS1_11comp_targetILNS1_3genE4ELNS1_11target_archE910ELNS1_3gpuE8ELNS1_3repE0EEENS1_30default_config_static_selectorELNS0_4arch9wavefront6targetE0EEEvSO_,"axG",@progbits,_ZN7rocprim17ROCPRIM_400000_NS6detail17trampoline_kernelINS0_14default_configENS1_27upper_bound_config_selectorItlEEZNS1_14transform_implILb0ES3_S5_N6thrust23THRUST_200600_302600_NS17counting_iteratorItNS8_11use_defaultESA_SA_EEPlZNS1_13binary_searchIS3_S5_PtSB_SC_NS1_21upper_bound_search_opENS8_6detail16wrapped_functionINS0_4lessIvEEbEEEE10hipError_tPvRmT1_T2_T3_mmT4_T5_P12ihipStream_tbEUlRKtE_EESL_SP_SQ_mSR_SU_bEUlT_E_NS1_11comp_targetILNS1_3genE4ELNS1_11target_archE910ELNS1_3gpuE8ELNS1_3repE0EEENS1_30default_config_static_selectorELNS0_4arch9wavefront6targetE0EEEvSO_,comdat
.Lfunc_end131:
	.size	_ZN7rocprim17ROCPRIM_400000_NS6detail17trampoline_kernelINS0_14default_configENS1_27upper_bound_config_selectorItlEEZNS1_14transform_implILb0ES3_S5_N6thrust23THRUST_200600_302600_NS17counting_iteratorItNS8_11use_defaultESA_SA_EEPlZNS1_13binary_searchIS3_S5_PtSB_SC_NS1_21upper_bound_search_opENS8_6detail16wrapped_functionINS0_4lessIvEEbEEEE10hipError_tPvRmT1_T2_T3_mmT4_T5_P12ihipStream_tbEUlRKtE_EESL_SP_SQ_mSR_SU_bEUlT_E_NS1_11comp_targetILNS1_3genE4ELNS1_11target_archE910ELNS1_3gpuE8ELNS1_3repE0EEENS1_30default_config_static_selectorELNS0_4arch9wavefront6targetE0EEEvSO_, .Lfunc_end131-_ZN7rocprim17ROCPRIM_400000_NS6detail17trampoline_kernelINS0_14default_configENS1_27upper_bound_config_selectorItlEEZNS1_14transform_implILb0ES3_S5_N6thrust23THRUST_200600_302600_NS17counting_iteratorItNS8_11use_defaultESA_SA_EEPlZNS1_13binary_searchIS3_S5_PtSB_SC_NS1_21upper_bound_search_opENS8_6detail16wrapped_functionINS0_4lessIvEEbEEEE10hipError_tPvRmT1_T2_T3_mmT4_T5_P12ihipStream_tbEUlRKtE_EESL_SP_SQ_mSR_SU_bEUlT_E_NS1_11comp_targetILNS1_3genE4ELNS1_11target_archE910ELNS1_3gpuE8ELNS1_3repE0EEENS1_30default_config_static_selectorELNS0_4arch9wavefront6targetE0EEEvSO_
                                        ; -- End function
	.section	.AMDGPU.csdata,"",@progbits
; Kernel info:
; codeLenInByte = 0
; NumSgprs: 0
; NumVgprs: 0
; ScratchSize: 0
; MemoryBound: 0
; FloatMode: 240
; IeeeMode: 1
; LDSByteSize: 0 bytes/workgroup (compile time only)
; SGPRBlocks: 0
; VGPRBlocks: 0
; NumSGPRsForWavesPerEU: 1
; NumVGPRsForWavesPerEU: 1
; Occupancy: 16
; WaveLimiterHint : 0
; COMPUTE_PGM_RSRC2:SCRATCH_EN: 0
; COMPUTE_PGM_RSRC2:USER_SGPR: 15
; COMPUTE_PGM_RSRC2:TRAP_HANDLER: 0
; COMPUTE_PGM_RSRC2:TGID_X_EN: 1
; COMPUTE_PGM_RSRC2:TGID_Y_EN: 0
; COMPUTE_PGM_RSRC2:TGID_Z_EN: 0
; COMPUTE_PGM_RSRC2:TIDIG_COMP_CNT: 0
	.section	.text._ZN7rocprim17ROCPRIM_400000_NS6detail17trampoline_kernelINS0_14default_configENS1_27upper_bound_config_selectorItlEEZNS1_14transform_implILb0ES3_S5_N6thrust23THRUST_200600_302600_NS17counting_iteratorItNS8_11use_defaultESA_SA_EEPlZNS1_13binary_searchIS3_S5_PtSB_SC_NS1_21upper_bound_search_opENS8_6detail16wrapped_functionINS0_4lessIvEEbEEEE10hipError_tPvRmT1_T2_T3_mmT4_T5_P12ihipStream_tbEUlRKtE_EESL_SP_SQ_mSR_SU_bEUlT_E_NS1_11comp_targetILNS1_3genE3ELNS1_11target_archE908ELNS1_3gpuE7ELNS1_3repE0EEENS1_30default_config_static_selectorELNS0_4arch9wavefront6targetE0EEEvSO_,"axG",@progbits,_ZN7rocprim17ROCPRIM_400000_NS6detail17trampoline_kernelINS0_14default_configENS1_27upper_bound_config_selectorItlEEZNS1_14transform_implILb0ES3_S5_N6thrust23THRUST_200600_302600_NS17counting_iteratorItNS8_11use_defaultESA_SA_EEPlZNS1_13binary_searchIS3_S5_PtSB_SC_NS1_21upper_bound_search_opENS8_6detail16wrapped_functionINS0_4lessIvEEbEEEE10hipError_tPvRmT1_T2_T3_mmT4_T5_P12ihipStream_tbEUlRKtE_EESL_SP_SQ_mSR_SU_bEUlT_E_NS1_11comp_targetILNS1_3genE3ELNS1_11target_archE908ELNS1_3gpuE7ELNS1_3repE0EEENS1_30default_config_static_selectorELNS0_4arch9wavefront6targetE0EEEvSO_,comdat
	.protected	_ZN7rocprim17ROCPRIM_400000_NS6detail17trampoline_kernelINS0_14default_configENS1_27upper_bound_config_selectorItlEEZNS1_14transform_implILb0ES3_S5_N6thrust23THRUST_200600_302600_NS17counting_iteratorItNS8_11use_defaultESA_SA_EEPlZNS1_13binary_searchIS3_S5_PtSB_SC_NS1_21upper_bound_search_opENS8_6detail16wrapped_functionINS0_4lessIvEEbEEEE10hipError_tPvRmT1_T2_T3_mmT4_T5_P12ihipStream_tbEUlRKtE_EESL_SP_SQ_mSR_SU_bEUlT_E_NS1_11comp_targetILNS1_3genE3ELNS1_11target_archE908ELNS1_3gpuE7ELNS1_3repE0EEENS1_30default_config_static_selectorELNS0_4arch9wavefront6targetE0EEEvSO_ ; -- Begin function _ZN7rocprim17ROCPRIM_400000_NS6detail17trampoline_kernelINS0_14default_configENS1_27upper_bound_config_selectorItlEEZNS1_14transform_implILb0ES3_S5_N6thrust23THRUST_200600_302600_NS17counting_iteratorItNS8_11use_defaultESA_SA_EEPlZNS1_13binary_searchIS3_S5_PtSB_SC_NS1_21upper_bound_search_opENS8_6detail16wrapped_functionINS0_4lessIvEEbEEEE10hipError_tPvRmT1_T2_T3_mmT4_T5_P12ihipStream_tbEUlRKtE_EESL_SP_SQ_mSR_SU_bEUlT_E_NS1_11comp_targetILNS1_3genE3ELNS1_11target_archE908ELNS1_3gpuE7ELNS1_3repE0EEENS1_30default_config_static_selectorELNS0_4arch9wavefront6targetE0EEEvSO_
	.globl	_ZN7rocprim17ROCPRIM_400000_NS6detail17trampoline_kernelINS0_14default_configENS1_27upper_bound_config_selectorItlEEZNS1_14transform_implILb0ES3_S5_N6thrust23THRUST_200600_302600_NS17counting_iteratorItNS8_11use_defaultESA_SA_EEPlZNS1_13binary_searchIS3_S5_PtSB_SC_NS1_21upper_bound_search_opENS8_6detail16wrapped_functionINS0_4lessIvEEbEEEE10hipError_tPvRmT1_T2_T3_mmT4_T5_P12ihipStream_tbEUlRKtE_EESL_SP_SQ_mSR_SU_bEUlT_E_NS1_11comp_targetILNS1_3genE3ELNS1_11target_archE908ELNS1_3gpuE7ELNS1_3repE0EEENS1_30default_config_static_selectorELNS0_4arch9wavefront6targetE0EEEvSO_
	.p2align	8
	.type	_ZN7rocprim17ROCPRIM_400000_NS6detail17trampoline_kernelINS0_14default_configENS1_27upper_bound_config_selectorItlEEZNS1_14transform_implILb0ES3_S5_N6thrust23THRUST_200600_302600_NS17counting_iteratorItNS8_11use_defaultESA_SA_EEPlZNS1_13binary_searchIS3_S5_PtSB_SC_NS1_21upper_bound_search_opENS8_6detail16wrapped_functionINS0_4lessIvEEbEEEE10hipError_tPvRmT1_T2_T3_mmT4_T5_P12ihipStream_tbEUlRKtE_EESL_SP_SQ_mSR_SU_bEUlT_E_NS1_11comp_targetILNS1_3genE3ELNS1_11target_archE908ELNS1_3gpuE7ELNS1_3repE0EEENS1_30default_config_static_selectorELNS0_4arch9wavefront6targetE0EEEvSO_,@function
_ZN7rocprim17ROCPRIM_400000_NS6detail17trampoline_kernelINS0_14default_configENS1_27upper_bound_config_selectorItlEEZNS1_14transform_implILb0ES3_S5_N6thrust23THRUST_200600_302600_NS17counting_iteratorItNS8_11use_defaultESA_SA_EEPlZNS1_13binary_searchIS3_S5_PtSB_SC_NS1_21upper_bound_search_opENS8_6detail16wrapped_functionINS0_4lessIvEEbEEEE10hipError_tPvRmT1_T2_T3_mmT4_T5_P12ihipStream_tbEUlRKtE_EESL_SP_SQ_mSR_SU_bEUlT_E_NS1_11comp_targetILNS1_3genE3ELNS1_11target_archE908ELNS1_3gpuE7ELNS1_3repE0EEENS1_30default_config_static_selectorELNS0_4arch9wavefront6targetE0EEEvSO_: ; @_ZN7rocprim17ROCPRIM_400000_NS6detail17trampoline_kernelINS0_14default_configENS1_27upper_bound_config_selectorItlEEZNS1_14transform_implILb0ES3_S5_N6thrust23THRUST_200600_302600_NS17counting_iteratorItNS8_11use_defaultESA_SA_EEPlZNS1_13binary_searchIS3_S5_PtSB_SC_NS1_21upper_bound_search_opENS8_6detail16wrapped_functionINS0_4lessIvEEbEEEE10hipError_tPvRmT1_T2_T3_mmT4_T5_P12ihipStream_tbEUlRKtE_EESL_SP_SQ_mSR_SU_bEUlT_E_NS1_11comp_targetILNS1_3genE3ELNS1_11target_archE908ELNS1_3gpuE7ELNS1_3repE0EEENS1_30default_config_static_selectorELNS0_4arch9wavefront6targetE0EEEvSO_
; %bb.0:
	.section	.rodata,"a",@progbits
	.p2align	6, 0x0
	.amdhsa_kernel _ZN7rocprim17ROCPRIM_400000_NS6detail17trampoline_kernelINS0_14default_configENS1_27upper_bound_config_selectorItlEEZNS1_14transform_implILb0ES3_S5_N6thrust23THRUST_200600_302600_NS17counting_iteratorItNS8_11use_defaultESA_SA_EEPlZNS1_13binary_searchIS3_S5_PtSB_SC_NS1_21upper_bound_search_opENS8_6detail16wrapped_functionINS0_4lessIvEEbEEEE10hipError_tPvRmT1_T2_T3_mmT4_T5_P12ihipStream_tbEUlRKtE_EESL_SP_SQ_mSR_SU_bEUlT_E_NS1_11comp_targetILNS1_3genE3ELNS1_11target_archE908ELNS1_3gpuE7ELNS1_3repE0EEENS1_30default_config_static_selectorELNS0_4arch9wavefront6targetE0EEEvSO_
		.amdhsa_group_segment_fixed_size 0
		.amdhsa_private_segment_fixed_size 0
		.amdhsa_kernarg_size 56
		.amdhsa_user_sgpr_count 15
		.amdhsa_user_sgpr_dispatch_ptr 0
		.amdhsa_user_sgpr_queue_ptr 0
		.amdhsa_user_sgpr_kernarg_segment_ptr 1
		.amdhsa_user_sgpr_dispatch_id 0
		.amdhsa_user_sgpr_private_segment_size 0
		.amdhsa_wavefront_size32 1
		.amdhsa_uses_dynamic_stack 0
		.amdhsa_enable_private_segment 0
		.amdhsa_system_sgpr_workgroup_id_x 1
		.amdhsa_system_sgpr_workgroup_id_y 0
		.amdhsa_system_sgpr_workgroup_id_z 0
		.amdhsa_system_sgpr_workgroup_info 0
		.amdhsa_system_vgpr_workitem_id 0
		.amdhsa_next_free_vgpr 1
		.amdhsa_next_free_sgpr 1
		.amdhsa_reserve_vcc 0
		.amdhsa_float_round_mode_32 0
		.amdhsa_float_round_mode_16_64 0
		.amdhsa_float_denorm_mode_32 3
		.amdhsa_float_denorm_mode_16_64 3
		.amdhsa_dx10_clamp 1
		.amdhsa_ieee_mode 1
		.amdhsa_fp16_overflow 0
		.amdhsa_workgroup_processor_mode 1
		.amdhsa_memory_ordered 1
		.amdhsa_forward_progress 0
		.amdhsa_shared_vgpr_count 0
		.amdhsa_exception_fp_ieee_invalid_op 0
		.amdhsa_exception_fp_denorm_src 0
		.amdhsa_exception_fp_ieee_div_zero 0
		.amdhsa_exception_fp_ieee_overflow 0
		.amdhsa_exception_fp_ieee_underflow 0
		.amdhsa_exception_fp_ieee_inexact 0
		.amdhsa_exception_int_div_zero 0
	.end_amdhsa_kernel
	.section	.text._ZN7rocprim17ROCPRIM_400000_NS6detail17trampoline_kernelINS0_14default_configENS1_27upper_bound_config_selectorItlEEZNS1_14transform_implILb0ES3_S5_N6thrust23THRUST_200600_302600_NS17counting_iteratorItNS8_11use_defaultESA_SA_EEPlZNS1_13binary_searchIS3_S5_PtSB_SC_NS1_21upper_bound_search_opENS8_6detail16wrapped_functionINS0_4lessIvEEbEEEE10hipError_tPvRmT1_T2_T3_mmT4_T5_P12ihipStream_tbEUlRKtE_EESL_SP_SQ_mSR_SU_bEUlT_E_NS1_11comp_targetILNS1_3genE3ELNS1_11target_archE908ELNS1_3gpuE7ELNS1_3repE0EEENS1_30default_config_static_selectorELNS0_4arch9wavefront6targetE0EEEvSO_,"axG",@progbits,_ZN7rocprim17ROCPRIM_400000_NS6detail17trampoline_kernelINS0_14default_configENS1_27upper_bound_config_selectorItlEEZNS1_14transform_implILb0ES3_S5_N6thrust23THRUST_200600_302600_NS17counting_iteratorItNS8_11use_defaultESA_SA_EEPlZNS1_13binary_searchIS3_S5_PtSB_SC_NS1_21upper_bound_search_opENS8_6detail16wrapped_functionINS0_4lessIvEEbEEEE10hipError_tPvRmT1_T2_T3_mmT4_T5_P12ihipStream_tbEUlRKtE_EESL_SP_SQ_mSR_SU_bEUlT_E_NS1_11comp_targetILNS1_3genE3ELNS1_11target_archE908ELNS1_3gpuE7ELNS1_3repE0EEENS1_30default_config_static_selectorELNS0_4arch9wavefront6targetE0EEEvSO_,comdat
.Lfunc_end132:
	.size	_ZN7rocprim17ROCPRIM_400000_NS6detail17trampoline_kernelINS0_14default_configENS1_27upper_bound_config_selectorItlEEZNS1_14transform_implILb0ES3_S5_N6thrust23THRUST_200600_302600_NS17counting_iteratorItNS8_11use_defaultESA_SA_EEPlZNS1_13binary_searchIS3_S5_PtSB_SC_NS1_21upper_bound_search_opENS8_6detail16wrapped_functionINS0_4lessIvEEbEEEE10hipError_tPvRmT1_T2_T3_mmT4_T5_P12ihipStream_tbEUlRKtE_EESL_SP_SQ_mSR_SU_bEUlT_E_NS1_11comp_targetILNS1_3genE3ELNS1_11target_archE908ELNS1_3gpuE7ELNS1_3repE0EEENS1_30default_config_static_selectorELNS0_4arch9wavefront6targetE0EEEvSO_, .Lfunc_end132-_ZN7rocprim17ROCPRIM_400000_NS6detail17trampoline_kernelINS0_14default_configENS1_27upper_bound_config_selectorItlEEZNS1_14transform_implILb0ES3_S5_N6thrust23THRUST_200600_302600_NS17counting_iteratorItNS8_11use_defaultESA_SA_EEPlZNS1_13binary_searchIS3_S5_PtSB_SC_NS1_21upper_bound_search_opENS8_6detail16wrapped_functionINS0_4lessIvEEbEEEE10hipError_tPvRmT1_T2_T3_mmT4_T5_P12ihipStream_tbEUlRKtE_EESL_SP_SQ_mSR_SU_bEUlT_E_NS1_11comp_targetILNS1_3genE3ELNS1_11target_archE908ELNS1_3gpuE7ELNS1_3repE0EEENS1_30default_config_static_selectorELNS0_4arch9wavefront6targetE0EEEvSO_
                                        ; -- End function
	.section	.AMDGPU.csdata,"",@progbits
; Kernel info:
; codeLenInByte = 0
; NumSgprs: 0
; NumVgprs: 0
; ScratchSize: 0
; MemoryBound: 0
; FloatMode: 240
; IeeeMode: 1
; LDSByteSize: 0 bytes/workgroup (compile time only)
; SGPRBlocks: 0
; VGPRBlocks: 0
; NumSGPRsForWavesPerEU: 1
; NumVGPRsForWavesPerEU: 1
; Occupancy: 16
; WaveLimiterHint : 0
; COMPUTE_PGM_RSRC2:SCRATCH_EN: 0
; COMPUTE_PGM_RSRC2:USER_SGPR: 15
; COMPUTE_PGM_RSRC2:TRAP_HANDLER: 0
; COMPUTE_PGM_RSRC2:TGID_X_EN: 1
; COMPUTE_PGM_RSRC2:TGID_Y_EN: 0
; COMPUTE_PGM_RSRC2:TGID_Z_EN: 0
; COMPUTE_PGM_RSRC2:TIDIG_COMP_CNT: 0
	.section	.text._ZN7rocprim17ROCPRIM_400000_NS6detail17trampoline_kernelINS0_14default_configENS1_27upper_bound_config_selectorItlEEZNS1_14transform_implILb0ES3_S5_N6thrust23THRUST_200600_302600_NS17counting_iteratorItNS8_11use_defaultESA_SA_EEPlZNS1_13binary_searchIS3_S5_PtSB_SC_NS1_21upper_bound_search_opENS8_6detail16wrapped_functionINS0_4lessIvEEbEEEE10hipError_tPvRmT1_T2_T3_mmT4_T5_P12ihipStream_tbEUlRKtE_EESL_SP_SQ_mSR_SU_bEUlT_E_NS1_11comp_targetILNS1_3genE2ELNS1_11target_archE906ELNS1_3gpuE6ELNS1_3repE0EEENS1_30default_config_static_selectorELNS0_4arch9wavefront6targetE0EEEvSO_,"axG",@progbits,_ZN7rocprim17ROCPRIM_400000_NS6detail17trampoline_kernelINS0_14default_configENS1_27upper_bound_config_selectorItlEEZNS1_14transform_implILb0ES3_S5_N6thrust23THRUST_200600_302600_NS17counting_iteratorItNS8_11use_defaultESA_SA_EEPlZNS1_13binary_searchIS3_S5_PtSB_SC_NS1_21upper_bound_search_opENS8_6detail16wrapped_functionINS0_4lessIvEEbEEEE10hipError_tPvRmT1_T2_T3_mmT4_T5_P12ihipStream_tbEUlRKtE_EESL_SP_SQ_mSR_SU_bEUlT_E_NS1_11comp_targetILNS1_3genE2ELNS1_11target_archE906ELNS1_3gpuE6ELNS1_3repE0EEENS1_30default_config_static_selectorELNS0_4arch9wavefront6targetE0EEEvSO_,comdat
	.protected	_ZN7rocprim17ROCPRIM_400000_NS6detail17trampoline_kernelINS0_14default_configENS1_27upper_bound_config_selectorItlEEZNS1_14transform_implILb0ES3_S5_N6thrust23THRUST_200600_302600_NS17counting_iteratorItNS8_11use_defaultESA_SA_EEPlZNS1_13binary_searchIS3_S5_PtSB_SC_NS1_21upper_bound_search_opENS8_6detail16wrapped_functionINS0_4lessIvEEbEEEE10hipError_tPvRmT1_T2_T3_mmT4_T5_P12ihipStream_tbEUlRKtE_EESL_SP_SQ_mSR_SU_bEUlT_E_NS1_11comp_targetILNS1_3genE2ELNS1_11target_archE906ELNS1_3gpuE6ELNS1_3repE0EEENS1_30default_config_static_selectorELNS0_4arch9wavefront6targetE0EEEvSO_ ; -- Begin function _ZN7rocprim17ROCPRIM_400000_NS6detail17trampoline_kernelINS0_14default_configENS1_27upper_bound_config_selectorItlEEZNS1_14transform_implILb0ES3_S5_N6thrust23THRUST_200600_302600_NS17counting_iteratorItNS8_11use_defaultESA_SA_EEPlZNS1_13binary_searchIS3_S5_PtSB_SC_NS1_21upper_bound_search_opENS8_6detail16wrapped_functionINS0_4lessIvEEbEEEE10hipError_tPvRmT1_T2_T3_mmT4_T5_P12ihipStream_tbEUlRKtE_EESL_SP_SQ_mSR_SU_bEUlT_E_NS1_11comp_targetILNS1_3genE2ELNS1_11target_archE906ELNS1_3gpuE6ELNS1_3repE0EEENS1_30default_config_static_selectorELNS0_4arch9wavefront6targetE0EEEvSO_
	.globl	_ZN7rocprim17ROCPRIM_400000_NS6detail17trampoline_kernelINS0_14default_configENS1_27upper_bound_config_selectorItlEEZNS1_14transform_implILb0ES3_S5_N6thrust23THRUST_200600_302600_NS17counting_iteratorItNS8_11use_defaultESA_SA_EEPlZNS1_13binary_searchIS3_S5_PtSB_SC_NS1_21upper_bound_search_opENS8_6detail16wrapped_functionINS0_4lessIvEEbEEEE10hipError_tPvRmT1_T2_T3_mmT4_T5_P12ihipStream_tbEUlRKtE_EESL_SP_SQ_mSR_SU_bEUlT_E_NS1_11comp_targetILNS1_3genE2ELNS1_11target_archE906ELNS1_3gpuE6ELNS1_3repE0EEENS1_30default_config_static_selectorELNS0_4arch9wavefront6targetE0EEEvSO_
	.p2align	8
	.type	_ZN7rocprim17ROCPRIM_400000_NS6detail17trampoline_kernelINS0_14default_configENS1_27upper_bound_config_selectorItlEEZNS1_14transform_implILb0ES3_S5_N6thrust23THRUST_200600_302600_NS17counting_iteratorItNS8_11use_defaultESA_SA_EEPlZNS1_13binary_searchIS3_S5_PtSB_SC_NS1_21upper_bound_search_opENS8_6detail16wrapped_functionINS0_4lessIvEEbEEEE10hipError_tPvRmT1_T2_T3_mmT4_T5_P12ihipStream_tbEUlRKtE_EESL_SP_SQ_mSR_SU_bEUlT_E_NS1_11comp_targetILNS1_3genE2ELNS1_11target_archE906ELNS1_3gpuE6ELNS1_3repE0EEENS1_30default_config_static_selectorELNS0_4arch9wavefront6targetE0EEEvSO_,@function
_ZN7rocprim17ROCPRIM_400000_NS6detail17trampoline_kernelINS0_14default_configENS1_27upper_bound_config_selectorItlEEZNS1_14transform_implILb0ES3_S5_N6thrust23THRUST_200600_302600_NS17counting_iteratorItNS8_11use_defaultESA_SA_EEPlZNS1_13binary_searchIS3_S5_PtSB_SC_NS1_21upper_bound_search_opENS8_6detail16wrapped_functionINS0_4lessIvEEbEEEE10hipError_tPvRmT1_T2_T3_mmT4_T5_P12ihipStream_tbEUlRKtE_EESL_SP_SQ_mSR_SU_bEUlT_E_NS1_11comp_targetILNS1_3genE2ELNS1_11target_archE906ELNS1_3gpuE6ELNS1_3repE0EEENS1_30default_config_static_selectorELNS0_4arch9wavefront6targetE0EEEvSO_: ; @_ZN7rocprim17ROCPRIM_400000_NS6detail17trampoline_kernelINS0_14default_configENS1_27upper_bound_config_selectorItlEEZNS1_14transform_implILb0ES3_S5_N6thrust23THRUST_200600_302600_NS17counting_iteratorItNS8_11use_defaultESA_SA_EEPlZNS1_13binary_searchIS3_S5_PtSB_SC_NS1_21upper_bound_search_opENS8_6detail16wrapped_functionINS0_4lessIvEEbEEEE10hipError_tPvRmT1_T2_T3_mmT4_T5_P12ihipStream_tbEUlRKtE_EESL_SP_SQ_mSR_SU_bEUlT_E_NS1_11comp_targetILNS1_3genE2ELNS1_11target_archE906ELNS1_3gpuE6ELNS1_3repE0EEENS1_30default_config_static_selectorELNS0_4arch9wavefront6targetE0EEEvSO_
; %bb.0:
	.section	.rodata,"a",@progbits
	.p2align	6, 0x0
	.amdhsa_kernel _ZN7rocprim17ROCPRIM_400000_NS6detail17trampoline_kernelINS0_14default_configENS1_27upper_bound_config_selectorItlEEZNS1_14transform_implILb0ES3_S5_N6thrust23THRUST_200600_302600_NS17counting_iteratorItNS8_11use_defaultESA_SA_EEPlZNS1_13binary_searchIS3_S5_PtSB_SC_NS1_21upper_bound_search_opENS8_6detail16wrapped_functionINS0_4lessIvEEbEEEE10hipError_tPvRmT1_T2_T3_mmT4_T5_P12ihipStream_tbEUlRKtE_EESL_SP_SQ_mSR_SU_bEUlT_E_NS1_11comp_targetILNS1_3genE2ELNS1_11target_archE906ELNS1_3gpuE6ELNS1_3repE0EEENS1_30default_config_static_selectorELNS0_4arch9wavefront6targetE0EEEvSO_
		.amdhsa_group_segment_fixed_size 0
		.amdhsa_private_segment_fixed_size 0
		.amdhsa_kernarg_size 56
		.amdhsa_user_sgpr_count 15
		.amdhsa_user_sgpr_dispatch_ptr 0
		.amdhsa_user_sgpr_queue_ptr 0
		.amdhsa_user_sgpr_kernarg_segment_ptr 1
		.amdhsa_user_sgpr_dispatch_id 0
		.amdhsa_user_sgpr_private_segment_size 0
		.amdhsa_wavefront_size32 1
		.amdhsa_uses_dynamic_stack 0
		.amdhsa_enable_private_segment 0
		.amdhsa_system_sgpr_workgroup_id_x 1
		.amdhsa_system_sgpr_workgroup_id_y 0
		.amdhsa_system_sgpr_workgroup_id_z 0
		.amdhsa_system_sgpr_workgroup_info 0
		.amdhsa_system_vgpr_workitem_id 0
		.amdhsa_next_free_vgpr 1
		.amdhsa_next_free_sgpr 1
		.amdhsa_reserve_vcc 0
		.amdhsa_float_round_mode_32 0
		.amdhsa_float_round_mode_16_64 0
		.amdhsa_float_denorm_mode_32 3
		.amdhsa_float_denorm_mode_16_64 3
		.amdhsa_dx10_clamp 1
		.amdhsa_ieee_mode 1
		.amdhsa_fp16_overflow 0
		.amdhsa_workgroup_processor_mode 1
		.amdhsa_memory_ordered 1
		.amdhsa_forward_progress 0
		.amdhsa_shared_vgpr_count 0
		.amdhsa_exception_fp_ieee_invalid_op 0
		.amdhsa_exception_fp_denorm_src 0
		.amdhsa_exception_fp_ieee_div_zero 0
		.amdhsa_exception_fp_ieee_overflow 0
		.amdhsa_exception_fp_ieee_underflow 0
		.amdhsa_exception_fp_ieee_inexact 0
		.amdhsa_exception_int_div_zero 0
	.end_amdhsa_kernel
	.section	.text._ZN7rocprim17ROCPRIM_400000_NS6detail17trampoline_kernelINS0_14default_configENS1_27upper_bound_config_selectorItlEEZNS1_14transform_implILb0ES3_S5_N6thrust23THRUST_200600_302600_NS17counting_iteratorItNS8_11use_defaultESA_SA_EEPlZNS1_13binary_searchIS3_S5_PtSB_SC_NS1_21upper_bound_search_opENS8_6detail16wrapped_functionINS0_4lessIvEEbEEEE10hipError_tPvRmT1_T2_T3_mmT4_T5_P12ihipStream_tbEUlRKtE_EESL_SP_SQ_mSR_SU_bEUlT_E_NS1_11comp_targetILNS1_3genE2ELNS1_11target_archE906ELNS1_3gpuE6ELNS1_3repE0EEENS1_30default_config_static_selectorELNS0_4arch9wavefront6targetE0EEEvSO_,"axG",@progbits,_ZN7rocprim17ROCPRIM_400000_NS6detail17trampoline_kernelINS0_14default_configENS1_27upper_bound_config_selectorItlEEZNS1_14transform_implILb0ES3_S5_N6thrust23THRUST_200600_302600_NS17counting_iteratorItNS8_11use_defaultESA_SA_EEPlZNS1_13binary_searchIS3_S5_PtSB_SC_NS1_21upper_bound_search_opENS8_6detail16wrapped_functionINS0_4lessIvEEbEEEE10hipError_tPvRmT1_T2_T3_mmT4_T5_P12ihipStream_tbEUlRKtE_EESL_SP_SQ_mSR_SU_bEUlT_E_NS1_11comp_targetILNS1_3genE2ELNS1_11target_archE906ELNS1_3gpuE6ELNS1_3repE0EEENS1_30default_config_static_selectorELNS0_4arch9wavefront6targetE0EEEvSO_,comdat
.Lfunc_end133:
	.size	_ZN7rocprim17ROCPRIM_400000_NS6detail17trampoline_kernelINS0_14default_configENS1_27upper_bound_config_selectorItlEEZNS1_14transform_implILb0ES3_S5_N6thrust23THRUST_200600_302600_NS17counting_iteratorItNS8_11use_defaultESA_SA_EEPlZNS1_13binary_searchIS3_S5_PtSB_SC_NS1_21upper_bound_search_opENS8_6detail16wrapped_functionINS0_4lessIvEEbEEEE10hipError_tPvRmT1_T2_T3_mmT4_T5_P12ihipStream_tbEUlRKtE_EESL_SP_SQ_mSR_SU_bEUlT_E_NS1_11comp_targetILNS1_3genE2ELNS1_11target_archE906ELNS1_3gpuE6ELNS1_3repE0EEENS1_30default_config_static_selectorELNS0_4arch9wavefront6targetE0EEEvSO_, .Lfunc_end133-_ZN7rocprim17ROCPRIM_400000_NS6detail17trampoline_kernelINS0_14default_configENS1_27upper_bound_config_selectorItlEEZNS1_14transform_implILb0ES3_S5_N6thrust23THRUST_200600_302600_NS17counting_iteratorItNS8_11use_defaultESA_SA_EEPlZNS1_13binary_searchIS3_S5_PtSB_SC_NS1_21upper_bound_search_opENS8_6detail16wrapped_functionINS0_4lessIvEEbEEEE10hipError_tPvRmT1_T2_T3_mmT4_T5_P12ihipStream_tbEUlRKtE_EESL_SP_SQ_mSR_SU_bEUlT_E_NS1_11comp_targetILNS1_3genE2ELNS1_11target_archE906ELNS1_3gpuE6ELNS1_3repE0EEENS1_30default_config_static_selectorELNS0_4arch9wavefront6targetE0EEEvSO_
                                        ; -- End function
	.section	.AMDGPU.csdata,"",@progbits
; Kernel info:
; codeLenInByte = 0
; NumSgprs: 0
; NumVgprs: 0
; ScratchSize: 0
; MemoryBound: 0
; FloatMode: 240
; IeeeMode: 1
; LDSByteSize: 0 bytes/workgroup (compile time only)
; SGPRBlocks: 0
; VGPRBlocks: 0
; NumSGPRsForWavesPerEU: 1
; NumVGPRsForWavesPerEU: 1
; Occupancy: 16
; WaveLimiterHint : 0
; COMPUTE_PGM_RSRC2:SCRATCH_EN: 0
; COMPUTE_PGM_RSRC2:USER_SGPR: 15
; COMPUTE_PGM_RSRC2:TRAP_HANDLER: 0
; COMPUTE_PGM_RSRC2:TGID_X_EN: 1
; COMPUTE_PGM_RSRC2:TGID_Y_EN: 0
; COMPUTE_PGM_RSRC2:TGID_Z_EN: 0
; COMPUTE_PGM_RSRC2:TIDIG_COMP_CNT: 0
	.section	.text._ZN7rocprim17ROCPRIM_400000_NS6detail17trampoline_kernelINS0_14default_configENS1_27upper_bound_config_selectorItlEEZNS1_14transform_implILb0ES3_S5_N6thrust23THRUST_200600_302600_NS17counting_iteratorItNS8_11use_defaultESA_SA_EEPlZNS1_13binary_searchIS3_S5_PtSB_SC_NS1_21upper_bound_search_opENS8_6detail16wrapped_functionINS0_4lessIvEEbEEEE10hipError_tPvRmT1_T2_T3_mmT4_T5_P12ihipStream_tbEUlRKtE_EESL_SP_SQ_mSR_SU_bEUlT_E_NS1_11comp_targetILNS1_3genE10ELNS1_11target_archE1201ELNS1_3gpuE5ELNS1_3repE0EEENS1_30default_config_static_selectorELNS0_4arch9wavefront6targetE0EEEvSO_,"axG",@progbits,_ZN7rocprim17ROCPRIM_400000_NS6detail17trampoline_kernelINS0_14default_configENS1_27upper_bound_config_selectorItlEEZNS1_14transform_implILb0ES3_S5_N6thrust23THRUST_200600_302600_NS17counting_iteratorItNS8_11use_defaultESA_SA_EEPlZNS1_13binary_searchIS3_S5_PtSB_SC_NS1_21upper_bound_search_opENS8_6detail16wrapped_functionINS0_4lessIvEEbEEEE10hipError_tPvRmT1_T2_T3_mmT4_T5_P12ihipStream_tbEUlRKtE_EESL_SP_SQ_mSR_SU_bEUlT_E_NS1_11comp_targetILNS1_3genE10ELNS1_11target_archE1201ELNS1_3gpuE5ELNS1_3repE0EEENS1_30default_config_static_selectorELNS0_4arch9wavefront6targetE0EEEvSO_,comdat
	.protected	_ZN7rocprim17ROCPRIM_400000_NS6detail17trampoline_kernelINS0_14default_configENS1_27upper_bound_config_selectorItlEEZNS1_14transform_implILb0ES3_S5_N6thrust23THRUST_200600_302600_NS17counting_iteratorItNS8_11use_defaultESA_SA_EEPlZNS1_13binary_searchIS3_S5_PtSB_SC_NS1_21upper_bound_search_opENS8_6detail16wrapped_functionINS0_4lessIvEEbEEEE10hipError_tPvRmT1_T2_T3_mmT4_T5_P12ihipStream_tbEUlRKtE_EESL_SP_SQ_mSR_SU_bEUlT_E_NS1_11comp_targetILNS1_3genE10ELNS1_11target_archE1201ELNS1_3gpuE5ELNS1_3repE0EEENS1_30default_config_static_selectorELNS0_4arch9wavefront6targetE0EEEvSO_ ; -- Begin function _ZN7rocprim17ROCPRIM_400000_NS6detail17trampoline_kernelINS0_14default_configENS1_27upper_bound_config_selectorItlEEZNS1_14transform_implILb0ES3_S5_N6thrust23THRUST_200600_302600_NS17counting_iteratorItNS8_11use_defaultESA_SA_EEPlZNS1_13binary_searchIS3_S5_PtSB_SC_NS1_21upper_bound_search_opENS8_6detail16wrapped_functionINS0_4lessIvEEbEEEE10hipError_tPvRmT1_T2_T3_mmT4_T5_P12ihipStream_tbEUlRKtE_EESL_SP_SQ_mSR_SU_bEUlT_E_NS1_11comp_targetILNS1_3genE10ELNS1_11target_archE1201ELNS1_3gpuE5ELNS1_3repE0EEENS1_30default_config_static_selectorELNS0_4arch9wavefront6targetE0EEEvSO_
	.globl	_ZN7rocprim17ROCPRIM_400000_NS6detail17trampoline_kernelINS0_14default_configENS1_27upper_bound_config_selectorItlEEZNS1_14transform_implILb0ES3_S5_N6thrust23THRUST_200600_302600_NS17counting_iteratorItNS8_11use_defaultESA_SA_EEPlZNS1_13binary_searchIS3_S5_PtSB_SC_NS1_21upper_bound_search_opENS8_6detail16wrapped_functionINS0_4lessIvEEbEEEE10hipError_tPvRmT1_T2_T3_mmT4_T5_P12ihipStream_tbEUlRKtE_EESL_SP_SQ_mSR_SU_bEUlT_E_NS1_11comp_targetILNS1_3genE10ELNS1_11target_archE1201ELNS1_3gpuE5ELNS1_3repE0EEENS1_30default_config_static_selectorELNS0_4arch9wavefront6targetE0EEEvSO_
	.p2align	8
	.type	_ZN7rocprim17ROCPRIM_400000_NS6detail17trampoline_kernelINS0_14default_configENS1_27upper_bound_config_selectorItlEEZNS1_14transform_implILb0ES3_S5_N6thrust23THRUST_200600_302600_NS17counting_iteratorItNS8_11use_defaultESA_SA_EEPlZNS1_13binary_searchIS3_S5_PtSB_SC_NS1_21upper_bound_search_opENS8_6detail16wrapped_functionINS0_4lessIvEEbEEEE10hipError_tPvRmT1_T2_T3_mmT4_T5_P12ihipStream_tbEUlRKtE_EESL_SP_SQ_mSR_SU_bEUlT_E_NS1_11comp_targetILNS1_3genE10ELNS1_11target_archE1201ELNS1_3gpuE5ELNS1_3repE0EEENS1_30default_config_static_selectorELNS0_4arch9wavefront6targetE0EEEvSO_,@function
_ZN7rocprim17ROCPRIM_400000_NS6detail17trampoline_kernelINS0_14default_configENS1_27upper_bound_config_selectorItlEEZNS1_14transform_implILb0ES3_S5_N6thrust23THRUST_200600_302600_NS17counting_iteratorItNS8_11use_defaultESA_SA_EEPlZNS1_13binary_searchIS3_S5_PtSB_SC_NS1_21upper_bound_search_opENS8_6detail16wrapped_functionINS0_4lessIvEEbEEEE10hipError_tPvRmT1_T2_T3_mmT4_T5_P12ihipStream_tbEUlRKtE_EESL_SP_SQ_mSR_SU_bEUlT_E_NS1_11comp_targetILNS1_3genE10ELNS1_11target_archE1201ELNS1_3gpuE5ELNS1_3repE0EEENS1_30default_config_static_selectorELNS0_4arch9wavefront6targetE0EEEvSO_: ; @_ZN7rocprim17ROCPRIM_400000_NS6detail17trampoline_kernelINS0_14default_configENS1_27upper_bound_config_selectorItlEEZNS1_14transform_implILb0ES3_S5_N6thrust23THRUST_200600_302600_NS17counting_iteratorItNS8_11use_defaultESA_SA_EEPlZNS1_13binary_searchIS3_S5_PtSB_SC_NS1_21upper_bound_search_opENS8_6detail16wrapped_functionINS0_4lessIvEEbEEEE10hipError_tPvRmT1_T2_T3_mmT4_T5_P12ihipStream_tbEUlRKtE_EESL_SP_SQ_mSR_SU_bEUlT_E_NS1_11comp_targetILNS1_3genE10ELNS1_11target_archE1201ELNS1_3gpuE5ELNS1_3repE0EEENS1_30default_config_static_selectorELNS0_4arch9wavefront6targetE0EEEvSO_
; %bb.0:
	.section	.rodata,"a",@progbits
	.p2align	6, 0x0
	.amdhsa_kernel _ZN7rocprim17ROCPRIM_400000_NS6detail17trampoline_kernelINS0_14default_configENS1_27upper_bound_config_selectorItlEEZNS1_14transform_implILb0ES3_S5_N6thrust23THRUST_200600_302600_NS17counting_iteratorItNS8_11use_defaultESA_SA_EEPlZNS1_13binary_searchIS3_S5_PtSB_SC_NS1_21upper_bound_search_opENS8_6detail16wrapped_functionINS0_4lessIvEEbEEEE10hipError_tPvRmT1_T2_T3_mmT4_T5_P12ihipStream_tbEUlRKtE_EESL_SP_SQ_mSR_SU_bEUlT_E_NS1_11comp_targetILNS1_3genE10ELNS1_11target_archE1201ELNS1_3gpuE5ELNS1_3repE0EEENS1_30default_config_static_selectorELNS0_4arch9wavefront6targetE0EEEvSO_
		.amdhsa_group_segment_fixed_size 0
		.amdhsa_private_segment_fixed_size 0
		.amdhsa_kernarg_size 56
		.amdhsa_user_sgpr_count 15
		.amdhsa_user_sgpr_dispatch_ptr 0
		.amdhsa_user_sgpr_queue_ptr 0
		.amdhsa_user_sgpr_kernarg_segment_ptr 1
		.amdhsa_user_sgpr_dispatch_id 0
		.amdhsa_user_sgpr_private_segment_size 0
		.amdhsa_wavefront_size32 1
		.amdhsa_uses_dynamic_stack 0
		.amdhsa_enable_private_segment 0
		.amdhsa_system_sgpr_workgroup_id_x 1
		.amdhsa_system_sgpr_workgroup_id_y 0
		.amdhsa_system_sgpr_workgroup_id_z 0
		.amdhsa_system_sgpr_workgroup_info 0
		.amdhsa_system_vgpr_workitem_id 0
		.amdhsa_next_free_vgpr 1
		.amdhsa_next_free_sgpr 1
		.amdhsa_reserve_vcc 0
		.amdhsa_float_round_mode_32 0
		.amdhsa_float_round_mode_16_64 0
		.amdhsa_float_denorm_mode_32 3
		.amdhsa_float_denorm_mode_16_64 3
		.amdhsa_dx10_clamp 1
		.amdhsa_ieee_mode 1
		.amdhsa_fp16_overflow 0
		.amdhsa_workgroup_processor_mode 1
		.amdhsa_memory_ordered 1
		.amdhsa_forward_progress 0
		.amdhsa_shared_vgpr_count 0
		.amdhsa_exception_fp_ieee_invalid_op 0
		.amdhsa_exception_fp_denorm_src 0
		.amdhsa_exception_fp_ieee_div_zero 0
		.amdhsa_exception_fp_ieee_overflow 0
		.amdhsa_exception_fp_ieee_underflow 0
		.amdhsa_exception_fp_ieee_inexact 0
		.amdhsa_exception_int_div_zero 0
	.end_amdhsa_kernel
	.section	.text._ZN7rocprim17ROCPRIM_400000_NS6detail17trampoline_kernelINS0_14default_configENS1_27upper_bound_config_selectorItlEEZNS1_14transform_implILb0ES3_S5_N6thrust23THRUST_200600_302600_NS17counting_iteratorItNS8_11use_defaultESA_SA_EEPlZNS1_13binary_searchIS3_S5_PtSB_SC_NS1_21upper_bound_search_opENS8_6detail16wrapped_functionINS0_4lessIvEEbEEEE10hipError_tPvRmT1_T2_T3_mmT4_T5_P12ihipStream_tbEUlRKtE_EESL_SP_SQ_mSR_SU_bEUlT_E_NS1_11comp_targetILNS1_3genE10ELNS1_11target_archE1201ELNS1_3gpuE5ELNS1_3repE0EEENS1_30default_config_static_selectorELNS0_4arch9wavefront6targetE0EEEvSO_,"axG",@progbits,_ZN7rocprim17ROCPRIM_400000_NS6detail17trampoline_kernelINS0_14default_configENS1_27upper_bound_config_selectorItlEEZNS1_14transform_implILb0ES3_S5_N6thrust23THRUST_200600_302600_NS17counting_iteratorItNS8_11use_defaultESA_SA_EEPlZNS1_13binary_searchIS3_S5_PtSB_SC_NS1_21upper_bound_search_opENS8_6detail16wrapped_functionINS0_4lessIvEEbEEEE10hipError_tPvRmT1_T2_T3_mmT4_T5_P12ihipStream_tbEUlRKtE_EESL_SP_SQ_mSR_SU_bEUlT_E_NS1_11comp_targetILNS1_3genE10ELNS1_11target_archE1201ELNS1_3gpuE5ELNS1_3repE0EEENS1_30default_config_static_selectorELNS0_4arch9wavefront6targetE0EEEvSO_,comdat
.Lfunc_end134:
	.size	_ZN7rocprim17ROCPRIM_400000_NS6detail17trampoline_kernelINS0_14default_configENS1_27upper_bound_config_selectorItlEEZNS1_14transform_implILb0ES3_S5_N6thrust23THRUST_200600_302600_NS17counting_iteratorItNS8_11use_defaultESA_SA_EEPlZNS1_13binary_searchIS3_S5_PtSB_SC_NS1_21upper_bound_search_opENS8_6detail16wrapped_functionINS0_4lessIvEEbEEEE10hipError_tPvRmT1_T2_T3_mmT4_T5_P12ihipStream_tbEUlRKtE_EESL_SP_SQ_mSR_SU_bEUlT_E_NS1_11comp_targetILNS1_3genE10ELNS1_11target_archE1201ELNS1_3gpuE5ELNS1_3repE0EEENS1_30default_config_static_selectorELNS0_4arch9wavefront6targetE0EEEvSO_, .Lfunc_end134-_ZN7rocprim17ROCPRIM_400000_NS6detail17trampoline_kernelINS0_14default_configENS1_27upper_bound_config_selectorItlEEZNS1_14transform_implILb0ES3_S5_N6thrust23THRUST_200600_302600_NS17counting_iteratorItNS8_11use_defaultESA_SA_EEPlZNS1_13binary_searchIS3_S5_PtSB_SC_NS1_21upper_bound_search_opENS8_6detail16wrapped_functionINS0_4lessIvEEbEEEE10hipError_tPvRmT1_T2_T3_mmT4_T5_P12ihipStream_tbEUlRKtE_EESL_SP_SQ_mSR_SU_bEUlT_E_NS1_11comp_targetILNS1_3genE10ELNS1_11target_archE1201ELNS1_3gpuE5ELNS1_3repE0EEENS1_30default_config_static_selectorELNS0_4arch9wavefront6targetE0EEEvSO_
                                        ; -- End function
	.section	.AMDGPU.csdata,"",@progbits
; Kernel info:
; codeLenInByte = 0
; NumSgprs: 0
; NumVgprs: 0
; ScratchSize: 0
; MemoryBound: 0
; FloatMode: 240
; IeeeMode: 1
; LDSByteSize: 0 bytes/workgroup (compile time only)
; SGPRBlocks: 0
; VGPRBlocks: 0
; NumSGPRsForWavesPerEU: 1
; NumVGPRsForWavesPerEU: 1
; Occupancy: 16
; WaveLimiterHint : 0
; COMPUTE_PGM_RSRC2:SCRATCH_EN: 0
; COMPUTE_PGM_RSRC2:USER_SGPR: 15
; COMPUTE_PGM_RSRC2:TRAP_HANDLER: 0
; COMPUTE_PGM_RSRC2:TGID_X_EN: 1
; COMPUTE_PGM_RSRC2:TGID_Y_EN: 0
; COMPUTE_PGM_RSRC2:TGID_Z_EN: 0
; COMPUTE_PGM_RSRC2:TIDIG_COMP_CNT: 0
	.section	.text._ZN7rocprim17ROCPRIM_400000_NS6detail17trampoline_kernelINS0_14default_configENS1_27upper_bound_config_selectorItlEEZNS1_14transform_implILb0ES3_S5_N6thrust23THRUST_200600_302600_NS17counting_iteratorItNS8_11use_defaultESA_SA_EEPlZNS1_13binary_searchIS3_S5_PtSB_SC_NS1_21upper_bound_search_opENS8_6detail16wrapped_functionINS0_4lessIvEEbEEEE10hipError_tPvRmT1_T2_T3_mmT4_T5_P12ihipStream_tbEUlRKtE_EESL_SP_SQ_mSR_SU_bEUlT_E_NS1_11comp_targetILNS1_3genE10ELNS1_11target_archE1200ELNS1_3gpuE4ELNS1_3repE0EEENS1_30default_config_static_selectorELNS0_4arch9wavefront6targetE0EEEvSO_,"axG",@progbits,_ZN7rocprim17ROCPRIM_400000_NS6detail17trampoline_kernelINS0_14default_configENS1_27upper_bound_config_selectorItlEEZNS1_14transform_implILb0ES3_S5_N6thrust23THRUST_200600_302600_NS17counting_iteratorItNS8_11use_defaultESA_SA_EEPlZNS1_13binary_searchIS3_S5_PtSB_SC_NS1_21upper_bound_search_opENS8_6detail16wrapped_functionINS0_4lessIvEEbEEEE10hipError_tPvRmT1_T2_T3_mmT4_T5_P12ihipStream_tbEUlRKtE_EESL_SP_SQ_mSR_SU_bEUlT_E_NS1_11comp_targetILNS1_3genE10ELNS1_11target_archE1200ELNS1_3gpuE4ELNS1_3repE0EEENS1_30default_config_static_selectorELNS0_4arch9wavefront6targetE0EEEvSO_,comdat
	.protected	_ZN7rocprim17ROCPRIM_400000_NS6detail17trampoline_kernelINS0_14default_configENS1_27upper_bound_config_selectorItlEEZNS1_14transform_implILb0ES3_S5_N6thrust23THRUST_200600_302600_NS17counting_iteratorItNS8_11use_defaultESA_SA_EEPlZNS1_13binary_searchIS3_S5_PtSB_SC_NS1_21upper_bound_search_opENS8_6detail16wrapped_functionINS0_4lessIvEEbEEEE10hipError_tPvRmT1_T2_T3_mmT4_T5_P12ihipStream_tbEUlRKtE_EESL_SP_SQ_mSR_SU_bEUlT_E_NS1_11comp_targetILNS1_3genE10ELNS1_11target_archE1200ELNS1_3gpuE4ELNS1_3repE0EEENS1_30default_config_static_selectorELNS0_4arch9wavefront6targetE0EEEvSO_ ; -- Begin function _ZN7rocprim17ROCPRIM_400000_NS6detail17trampoline_kernelINS0_14default_configENS1_27upper_bound_config_selectorItlEEZNS1_14transform_implILb0ES3_S5_N6thrust23THRUST_200600_302600_NS17counting_iteratorItNS8_11use_defaultESA_SA_EEPlZNS1_13binary_searchIS3_S5_PtSB_SC_NS1_21upper_bound_search_opENS8_6detail16wrapped_functionINS0_4lessIvEEbEEEE10hipError_tPvRmT1_T2_T3_mmT4_T5_P12ihipStream_tbEUlRKtE_EESL_SP_SQ_mSR_SU_bEUlT_E_NS1_11comp_targetILNS1_3genE10ELNS1_11target_archE1200ELNS1_3gpuE4ELNS1_3repE0EEENS1_30default_config_static_selectorELNS0_4arch9wavefront6targetE0EEEvSO_
	.globl	_ZN7rocprim17ROCPRIM_400000_NS6detail17trampoline_kernelINS0_14default_configENS1_27upper_bound_config_selectorItlEEZNS1_14transform_implILb0ES3_S5_N6thrust23THRUST_200600_302600_NS17counting_iteratorItNS8_11use_defaultESA_SA_EEPlZNS1_13binary_searchIS3_S5_PtSB_SC_NS1_21upper_bound_search_opENS8_6detail16wrapped_functionINS0_4lessIvEEbEEEE10hipError_tPvRmT1_T2_T3_mmT4_T5_P12ihipStream_tbEUlRKtE_EESL_SP_SQ_mSR_SU_bEUlT_E_NS1_11comp_targetILNS1_3genE10ELNS1_11target_archE1200ELNS1_3gpuE4ELNS1_3repE0EEENS1_30default_config_static_selectorELNS0_4arch9wavefront6targetE0EEEvSO_
	.p2align	8
	.type	_ZN7rocprim17ROCPRIM_400000_NS6detail17trampoline_kernelINS0_14default_configENS1_27upper_bound_config_selectorItlEEZNS1_14transform_implILb0ES3_S5_N6thrust23THRUST_200600_302600_NS17counting_iteratorItNS8_11use_defaultESA_SA_EEPlZNS1_13binary_searchIS3_S5_PtSB_SC_NS1_21upper_bound_search_opENS8_6detail16wrapped_functionINS0_4lessIvEEbEEEE10hipError_tPvRmT1_T2_T3_mmT4_T5_P12ihipStream_tbEUlRKtE_EESL_SP_SQ_mSR_SU_bEUlT_E_NS1_11comp_targetILNS1_3genE10ELNS1_11target_archE1200ELNS1_3gpuE4ELNS1_3repE0EEENS1_30default_config_static_selectorELNS0_4arch9wavefront6targetE0EEEvSO_,@function
_ZN7rocprim17ROCPRIM_400000_NS6detail17trampoline_kernelINS0_14default_configENS1_27upper_bound_config_selectorItlEEZNS1_14transform_implILb0ES3_S5_N6thrust23THRUST_200600_302600_NS17counting_iteratorItNS8_11use_defaultESA_SA_EEPlZNS1_13binary_searchIS3_S5_PtSB_SC_NS1_21upper_bound_search_opENS8_6detail16wrapped_functionINS0_4lessIvEEbEEEE10hipError_tPvRmT1_T2_T3_mmT4_T5_P12ihipStream_tbEUlRKtE_EESL_SP_SQ_mSR_SU_bEUlT_E_NS1_11comp_targetILNS1_3genE10ELNS1_11target_archE1200ELNS1_3gpuE4ELNS1_3repE0EEENS1_30default_config_static_selectorELNS0_4arch9wavefront6targetE0EEEvSO_: ; @_ZN7rocprim17ROCPRIM_400000_NS6detail17trampoline_kernelINS0_14default_configENS1_27upper_bound_config_selectorItlEEZNS1_14transform_implILb0ES3_S5_N6thrust23THRUST_200600_302600_NS17counting_iteratorItNS8_11use_defaultESA_SA_EEPlZNS1_13binary_searchIS3_S5_PtSB_SC_NS1_21upper_bound_search_opENS8_6detail16wrapped_functionINS0_4lessIvEEbEEEE10hipError_tPvRmT1_T2_T3_mmT4_T5_P12ihipStream_tbEUlRKtE_EESL_SP_SQ_mSR_SU_bEUlT_E_NS1_11comp_targetILNS1_3genE10ELNS1_11target_archE1200ELNS1_3gpuE4ELNS1_3repE0EEENS1_30default_config_static_selectorELNS0_4arch9wavefront6targetE0EEEvSO_
; %bb.0:
	.section	.rodata,"a",@progbits
	.p2align	6, 0x0
	.amdhsa_kernel _ZN7rocprim17ROCPRIM_400000_NS6detail17trampoline_kernelINS0_14default_configENS1_27upper_bound_config_selectorItlEEZNS1_14transform_implILb0ES3_S5_N6thrust23THRUST_200600_302600_NS17counting_iteratorItNS8_11use_defaultESA_SA_EEPlZNS1_13binary_searchIS3_S5_PtSB_SC_NS1_21upper_bound_search_opENS8_6detail16wrapped_functionINS0_4lessIvEEbEEEE10hipError_tPvRmT1_T2_T3_mmT4_T5_P12ihipStream_tbEUlRKtE_EESL_SP_SQ_mSR_SU_bEUlT_E_NS1_11comp_targetILNS1_3genE10ELNS1_11target_archE1200ELNS1_3gpuE4ELNS1_3repE0EEENS1_30default_config_static_selectorELNS0_4arch9wavefront6targetE0EEEvSO_
		.amdhsa_group_segment_fixed_size 0
		.amdhsa_private_segment_fixed_size 0
		.amdhsa_kernarg_size 56
		.amdhsa_user_sgpr_count 15
		.amdhsa_user_sgpr_dispatch_ptr 0
		.amdhsa_user_sgpr_queue_ptr 0
		.amdhsa_user_sgpr_kernarg_segment_ptr 1
		.amdhsa_user_sgpr_dispatch_id 0
		.amdhsa_user_sgpr_private_segment_size 0
		.amdhsa_wavefront_size32 1
		.amdhsa_uses_dynamic_stack 0
		.amdhsa_enable_private_segment 0
		.amdhsa_system_sgpr_workgroup_id_x 1
		.amdhsa_system_sgpr_workgroup_id_y 0
		.amdhsa_system_sgpr_workgroup_id_z 0
		.amdhsa_system_sgpr_workgroup_info 0
		.amdhsa_system_vgpr_workitem_id 0
		.amdhsa_next_free_vgpr 1
		.amdhsa_next_free_sgpr 1
		.amdhsa_reserve_vcc 0
		.amdhsa_float_round_mode_32 0
		.amdhsa_float_round_mode_16_64 0
		.amdhsa_float_denorm_mode_32 3
		.amdhsa_float_denorm_mode_16_64 3
		.amdhsa_dx10_clamp 1
		.amdhsa_ieee_mode 1
		.amdhsa_fp16_overflow 0
		.amdhsa_workgroup_processor_mode 1
		.amdhsa_memory_ordered 1
		.amdhsa_forward_progress 0
		.amdhsa_shared_vgpr_count 0
		.amdhsa_exception_fp_ieee_invalid_op 0
		.amdhsa_exception_fp_denorm_src 0
		.amdhsa_exception_fp_ieee_div_zero 0
		.amdhsa_exception_fp_ieee_overflow 0
		.amdhsa_exception_fp_ieee_underflow 0
		.amdhsa_exception_fp_ieee_inexact 0
		.amdhsa_exception_int_div_zero 0
	.end_amdhsa_kernel
	.section	.text._ZN7rocprim17ROCPRIM_400000_NS6detail17trampoline_kernelINS0_14default_configENS1_27upper_bound_config_selectorItlEEZNS1_14transform_implILb0ES3_S5_N6thrust23THRUST_200600_302600_NS17counting_iteratorItNS8_11use_defaultESA_SA_EEPlZNS1_13binary_searchIS3_S5_PtSB_SC_NS1_21upper_bound_search_opENS8_6detail16wrapped_functionINS0_4lessIvEEbEEEE10hipError_tPvRmT1_T2_T3_mmT4_T5_P12ihipStream_tbEUlRKtE_EESL_SP_SQ_mSR_SU_bEUlT_E_NS1_11comp_targetILNS1_3genE10ELNS1_11target_archE1200ELNS1_3gpuE4ELNS1_3repE0EEENS1_30default_config_static_selectorELNS0_4arch9wavefront6targetE0EEEvSO_,"axG",@progbits,_ZN7rocprim17ROCPRIM_400000_NS6detail17trampoline_kernelINS0_14default_configENS1_27upper_bound_config_selectorItlEEZNS1_14transform_implILb0ES3_S5_N6thrust23THRUST_200600_302600_NS17counting_iteratorItNS8_11use_defaultESA_SA_EEPlZNS1_13binary_searchIS3_S5_PtSB_SC_NS1_21upper_bound_search_opENS8_6detail16wrapped_functionINS0_4lessIvEEbEEEE10hipError_tPvRmT1_T2_T3_mmT4_T5_P12ihipStream_tbEUlRKtE_EESL_SP_SQ_mSR_SU_bEUlT_E_NS1_11comp_targetILNS1_3genE10ELNS1_11target_archE1200ELNS1_3gpuE4ELNS1_3repE0EEENS1_30default_config_static_selectorELNS0_4arch9wavefront6targetE0EEEvSO_,comdat
.Lfunc_end135:
	.size	_ZN7rocprim17ROCPRIM_400000_NS6detail17trampoline_kernelINS0_14default_configENS1_27upper_bound_config_selectorItlEEZNS1_14transform_implILb0ES3_S5_N6thrust23THRUST_200600_302600_NS17counting_iteratorItNS8_11use_defaultESA_SA_EEPlZNS1_13binary_searchIS3_S5_PtSB_SC_NS1_21upper_bound_search_opENS8_6detail16wrapped_functionINS0_4lessIvEEbEEEE10hipError_tPvRmT1_T2_T3_mmT4_T5_P12ihipStream_tbEUlRKtE_EESL_SP_SQ_mSR_SU_bEUlT_E_NS1_11comp_targetILNS1_3genE10ELNS1_11target_archE1200ELNS1_3gpuE4ELNS1_3repE0EEENS1_30default_config_static_selectorELNS0_4arch9wavefront6targetE0EEEvSO_, .Lfunc_end135-_ZN7rocprim17ROCPRIM_400000_NS6detail17trampoline_kernelINS0_14default_configENS1_27upper_bound_config_selectorItlEEZNS1_14transform_implILb0ES3_S5_N6thrust23THRUST_200600_302600_NS17counting_iteratorItNS8_11use_defaultESA_SA_EEPlZNS1_13binary_searchIS3_S5_PtSB_SC_NS1_21upper_bound_search_opENS8_6detail16wrapped_functionINS0_4lessIvEEbEEEE10hipError_tPvRmT1_T2_T3_mmT4_T5_P12ihipStream_tbEUlRKtE_EESL_SP_SQ_mSR_SU_bEUlT_E_NS1_11comp_targetILNS1_3genE10ELNS1_11target_archE1200ELNS1_3gpuE4ELNS1_3repE0EEENS1_30default_config_static_selectorELNS0_4arch9wavefront6targetE0EEEvSO_
                                        ; -- End function
	.section	.AMDGPU.csdata,"",@progbits
; Kernel info:
; codeLenInByte = 0
; NumSgprs: 0
; NumVgprs: 0
; ScratchSize: 0
; MemoryBound: 0
; FloatMode: 240
; IeeeMode: 1
; LDSByteSize: 0 bytes/workgroup (compile time only)
; SGPRBlocks: 0
; VGPRBlocks: 0
; NumSGPRsForWavesPerEU: 1
; NumVGPRsForWavesPerEU: 1
; Occupancy: 16
; WaveLimiterHint : 0
; COMPUTE_PGM_RSRC2:SCRATCH_EN: 0
; COMPUTE_PGM_RSRC2:USER_SGPR: 15
; COMPUTE_PGM_RSRC2:TRAP_HANDLER: 0
; COMPUTE_PGM_RSRC2:TGID_X_EN: 1
; COMPUTE_PGM_RSRC2:TGID_Y_EN: 0
; COMPUTE_PGM_RSRC2:TGID_Z_EN: 0
; COMPUTE_PGM_RSRC2:TIDIG_COMP_CNT: 0
	.section	.text._ZN7rocprim17ROCPRIM_400000_NS6detail17trampoline_kernelINS0_14default_configENS1_27upper_bound_config_selectorItlEEZNS1_14transform_implILb0ES3_S5_N6thrust23THRUST_200600_302600_NS17counting_iteratorItNS8_11use_defaultESA_SA_EEPlZNS1_13binary_searchIS3_S5_PtSB_SC_NS1_21upper_bound_search_opENS8_6detail16wrapped_functionINS0_4lessIvEEbEEEE10hipError_tPvRmT1_T2_T3_mmT4_T5_P12ihipStream_tbEUlRKtE_EESL_SP_SQ_mSR_SU_bEUlT_E_NS1_11comp_targetILNS1_3genE9ELNS1_11target_archE1100ELNS1_3gpuE3ELNS1_3repE0EEENS1_30default_config_static_selectorELNS0_4arch9wavefront6targetE0EEEvSO_,"axG",@progbits,_ZN7rocprim17ROCPRIM_400000_NS6detail17trampoline_kernelINS0_14default_configENS1_27upper_bound_config_selectorItlEEZNS1_14transform_implILb0ES3_S5_N6thrust23THRUST_200600_302600_NS17counting_iteratorItNS8_11use_defaultESA_SA_EEPlZNS1_13binary_searchIS3_S5_PtSB_SC_NS1_21upper_bound_search_opENS8_6detail16wrapped_functionINS0_4lessIvEEbEEEE10hipError_tPvRmT1_T2_T3_mmT4_T5_P12ihipStream_tbEUlRKtE_EESL_SP_SQ_mSR_SU_bEUlT_E_NS1_11comp_targetILNS1_3genE9ELNS1_11target_archE1100ELNS1_3gpuE3ELNS1_3repE0EEENS1_30default_config_static_selectorELNS0_4arch9wavefront6targetE0EEEvSO_,comdat
	.protected	_ZN7rocprim17ROCPRIM_400000_NS6detail17trampoline_kernelINS0_14default_configENS1_27upper_bound_config_selectorItlEEZNS1_14transform_implILb0ES3_S5_N6thrust23THRUST_200600_302600_NS17counting_iteratorItNS8_11use_defaultESA_SA_EEPlZNS1_13binary_searchIS3_S5_PtSB_SC_NS1_21upper_bound_search_opENS8_6detail16wrapped_functionINS0_4lessIvEEbEEEE10hipError_tPvRmT1_T2_T3_mmT4_T5_P12ihipStream_tbEUlRKtE_EESL_SP_SQ_mSR_SU_bEUlT_E_NS1_11comp_targetILNS1_3genE9ELNS1_11target_archE1100ELNS1_3gpuE3ELNS1_3repE0EEENS1_30default_config_static_selectorELNS0_4arch9wavefront6targetE0EEEvSO_ ; -- Begin function _ZN7rocprim17ROCPRIM_400000_NS6detail17trampoline_kernelINS0_14default_configENS1_27upper_bound_config_selectorItlEEZNS1_14transform_implILb0ES3_S5_N6thrust23THRUST_200600_302600_NS17counting_iteratorItNS8_11use_defaultESA_SA_EEPlZNS1_13binary_searchIS3_S5_PtSB_SC_NS1_21upper_bound_search_opENS8_6detail16wrapped_functionINS0_4lessIvEEbEEEE10hipError_tPvRmT1_T2_T3_mmT4_T5_P12ihipStream_tbEUlRKtE_EESL_SP_SQ_mSR_SU_bEUlT_E_NS1_11comp_targetILNS1_3genE9ELNS1_11target_archE1100ELNS1_3gpuE3ELNS1_3repE0EEENS1_30default_config_static_selectorELNS0_4arch9wavefront6targetE0EEEvSO_
	.globl	_ZN7rocprim17ROCPRIM_400000_NS6detail17trampoline_kernelINS0_14default_configENS1_27upper_bound_config_selectorItlEEZNS1_14transform_implILb0ES3_S5_N6thrust23THRUST_200600_302600_NS17counting_iteratorItNS8_11use_defaultESA_SA_EEPlZNS1_13binary_searchIS3_S5_PtSB_SC_NS1_21upper_bound_search_opENS8_6detail16wrapped_functionINS0_4lessIvEEbEEEE10hipError_tPvRmT1_T2_T3_mmT4_T5_P12ihipStream_tbEUlRKtE_EESL_SP_SQ_mSR_SU_bEUlT_E_NS1_11comp_targetILNS1_3genE9ELNS1_11target_archE1100ELNS1_3gpuE3ELNS1_3repE0EEENS1_30default_config_static_selectorELNS0_4arch9wavefront6targetE0EEEvSO_
	.p2align	8
	.type	_ZN7rocprim17ROCPRIM_400000_NS6detail17trampoline_kernelINS0_14default_configENS1_27upper_bound_config_selectorItlEEZNS1_14transform_implILb0ES3_S5_N6thrust23THRUST_200600_302600_NS17counting_iteratorItNS8_11use_defaultESA_SA_EEPlZNS1_13binary_searchIS3_S5_PtSB_SC_NS1_21upper_bound_search_opENS8_6detail16wrapped_functionINS0_4lessIvEEbEEEE10hipError_tPvRmT1_T2_T3_mmT4_T5_P12ihipStream_tbEUlRKtE_EESL_SP_SQ_mSR_SU_bEUlT_E_NS1_11comp_targetILNS1_3genE9ELNS1_11target_archE1100ELNS1_3gpuE3ELNS1_3repE0EEENS1_30default_config_static_selectorELNS0_4arch9wavefront6targetE0EEEvSO_,@function
_ZN7rocprim17ROCPRIM_400000_NS6detail17trampoline_kernelINS0_14default_configENS1_27upper_bound_config_selectorItlEEZNS1_14transform_implILb0ES3_S5_N6thrust23THRUST_200600_302600_NS17counting_iteratorItNS8_11use_defaultESA_SA_EEPlZNS1_13binary_searchIS3_S5_PtSB_SC_NS1_21upper_bound_search_opENS8_6detail16wrapped_functionINS0_4lessIvEEbEEEE10hipError_tPvRmT1_T2_T3_mmT4_T5_P12ihipStream_tbEUlRKtE_EESL_SP_SQ_mSR_SU_bEUlT_E_NS1_11comp_targetILNS1_3genE9ELNS1_11target_archE1100ELNS1_3gpuE3ELNS1_3repE0EEENS1_30default_config_static_selectorELNS0_4arch9wavefront6targetE0EEEvSO_: ; @_ZN7rocprim17ROCPRIM_400000_NS6detail17trampoline_kernelINS0_14default_configENS1_27upper_bound_config_selectorItlEEZNS1_14transform_implILb0ES3_S5_N6thrust23THRUST_200600_302600_NS17counting_iteratorItNS8_11use_defaultESA_SA_EEPlZNS1_13binary_searchIS3_S5_PtSB_SC_NS1_21upper_bound_search_opENS8_6detail16wrapped_functionINS0_4lessIvEEbEEEE10hipError_tPvRmT1_T2_T3_mmT4_T5_P12ihipStream_tbEUlRKtE_EESL_SP_SQ_mSR_SU_bEUlT_E_NS1_11comp_targetILNS1_3genE9ELNS1_11target_archE1100ELNS1_3gpuE3ELNS1_3repE0EEENS1_30default_config_static_selectorELNS0_4arch9wavefront6targetE0EEEvSO_
; %bb.0:
	s_clause 0x4
	s_load_b64 s[2:3], s[0:1], 0x8
	s_load_b32 s6, s[0:1], 0x0
	s_load_b128 s[16:19], s[0:1], 0x18
	s_load_b32 s7, s[0:1], 0x38
	s_load_b64 s[20:21], s[0:1], 0x28
	s_waitcnt lgkmcnt(0)
	s_lshl_b64 s[4:5], s[2:3], 3
	s_add_i32 s2, s6, s2
	s_add_u32 s22, s16, s4
	s_addc_u32 s23, s17, s5
	s_add_i32 s7, s7, -1
	s_lshl_b32 s16, s15, 10
	s_mov_b32 s17, 0
	s_cmp_lg_u32 s15, s7
	s_mov_b32 s3, -1
	s_cbranch_scc0 .LBB136_51
; %bb.1:
	v_or_b32_e32 v3, s16, v0
	v_mov_b32_e32 v1, 0
	v_mov_b32_e32 v2, 0
	s_cmp_lg_u64 s[20:21], 0
	s_cselect_b32 s3, -1, 0
	v_add_nc_u16 v33, s2, v3
	s_cmp_eq_u64 s[20:21], 0
	s_cbranch_scc1 .LBB136_5
; %bb.2:
	v_mov_b32_e32 v1, 0
	v_dual_mov_b32 v2, 0 :: v_dual_mov_b32 v3, s20
	v_mov_b32_e32 v4, s21
	s_mov_b32 s4, 0
	.p2align	6
.LBB136_3:                              ; =>This Inner Loop Header: Depth=1
	s_delay_alu instid0(VALU_DEP_2) | instskip(NEXT) | instid1(VALU_DEP_2)
	v_sub_co_u32 v5, vcc_lo, v3, v1
	v_sub_co_ci_u32_e32 v6, vcc_lo, v4, v2, vcc_lo
	s_delay_alu instid0(VALU_DEP_1) | instskip(SKIP_1) | instid1(VALU_DEP_2)
	v_lshrrev_b64 v[7:8], 1, v[5:6]
	v_lshrrev_b64 v[5:6], 6, v[5:6]
	v_add_co_u32 v7, vcc_lo, v7, v1
	s_delay_alu instid0(VALU_DEP_3) | instskip(NEXT) | instid1(VALU_DEP_2)
	v_add_co_ci_u32_e32 v8, vcc_lo, v8, v2, vcc_lo
	v_add_co_u32 v5, vcc_lo, v7, v5
	s_delay_alu instid0(VALU_DEP_2) | instskip(NEXT) | instid1(VALU_DEP_1)
	v_add_co_ci_u32_e32 v6, vcc_lo, v8, v6, vcc_lo
	v_lshlrev_b64 v[7:8], 1, v[5:6]
	s_delay_alu instid0(VALU_DEP_1) | instskip(NEXT) | instid1(VALU_DEP_2)
	v_add_co_u32 v7, vcc_lo, s18, v7
	v_add_co_ci_u32_e32 v8, vcc_lo, s19, v8, vcc_lo
	global_load_u16 v7, v[7:8], off
	v_add_co_u32 v8, vcc_lo, v5, 1
	v_add_co_ci_u32_e32 v9, vcc_lo, 0, v6, vcc_lo
	s_waitcnt vmcnt(0)
	v_cmp_gt_u16_e32 vcc_lo, v7, v33
	v_dual_cndmask_b32 v4, v4, v6 :: v_dual_cndmask_b32 v3, v3, v5
	s_delay_alu instid0(VALU_DEP_3) | instskip(NEXT) | instid1(VALU_DEP_1)
	v_dual_cndmask_b32 v2, v9, v2 :: v_dual_cndmask_b32 v1, v8, v1
	v_cmp_ge_u64_e32 vcc_lo, v[1:2], v[3:4]
	s_or_b32 s4, vcc_lo, s4
	s_delay_alu instid0(SALU_CYCLE_1)
	s_and_not1_b32 exec_lo, exec_lo, s4
	s_cbranch_execnz .LBB136_3
; %bb.4:
	s_or_b32 exec_lo, exec_lo, s4
.LBB136_5:
	v_cndmask_b32_e64 v34, 0, 1, s3
	s_and_not1_b32 vcc_lo, exec_lo, s3
	s_cbranch_vccnz .LBB136_52
; %bb.6:
	v_mov_b32_e32 v3, 0
	v_dual_mov_b32 v4, 0 :: v_dual_mov_b32 v5, s20
	v_add_nc_u16 v7, v33, 64
	v_mov_b32_e32 v6, s21
	s_mov_b32 s3, 0
	.p2align	6
.LBB136_7:                              ; =>This Inner Loop Header: Depth=1
	s_delay_alu instid0(VALU_DEP_3) | instskip(NEXT) | instid1(VALU_DEP_2)
	v_sub_co_u32 v8, vcc_lo, v5, v3
	v_sub_co_ci_u32_e32 v9, vcc_lo, v6, v4, vcc_lo
	s_delay_alu instid0(VALU_DEP_1) | instskip(SKIP_1) | instid1(VALU_DEP_2)
	v_lshrrev_b64 v[10:11], 1, v[8:9]
	v_lshrrev_b64 v[8:9], 6, v[8:9]
	v_add_co_u32 v10, vcc_lo, v10, v3
	s_delay_alu instid0(VALU_DEP_3) | instskip(NEXT) | instid1(VALU_DEP_2)
	v_add_co_ci_u32_e32 v11, vcc_lo, v11, v4, vcc_lo
	v_add_co_u32 v8, vcc_lo, v10, v8
	s_delay_alu instid0(VALU_DEP_2) | instskip(NEXT) | instid1(VALU_DEP_1)
	v_add_co_ci_u32_e32 v9, vcc_lo, v11, v9, vcc_lo
	v_lshlrev_b64 v[10:11], 1, v[8:9]
	s_delay_alu instid0(VALU_DEP_1) | instskip(NEXT) | instid1(VALU_DEP_2)
	v_add_co_u32 v10, vcc_lo, s18, v10
	v_add_co_ci_u32_e32 v11, vcc_lo, s19, v11, vcc_lo
	global_load_u16 v10, v[10:11], off
	v_add_co_u32 v11, vcc_lo, v8, 1
	v_add_co_ci_u32_e32 v12, vcc_lo, 0, v9, vcc_lo
	s_waitcnt vmcnt(0)
	v_cmp_gt_u16_e32 vcc_lo, v10, v7
	v_dual_cndmask_b32 v6, v6, v9 :: v_dual_cndmask_b32 v5, v5, v8
	s_delay_alu instid0(VALU_DEP_3) | instskip(NEXT) | instid1(VALU_DEP_1)
	v_dual_cndmask_b32 v4, v12, v4 :: v_dual_cndmask_b32 v3, v11, v3
	v_cmp_ge_u64_e32 vcc_lo, v[3:4], v[5:6]
	s_or_b32 s3, vcc_lo, s3
	s_delay_alu instid0(SALU_CYCLE_1)
	s_and_not1_b32 exec_lo, exec_lo, s3
	s_cbranch_execnz .LBB136_7
; %bb.8:
	s_or_b32 exec_lo, exec_lo, s3
	v_cmp_ne_u32_e32 vcc_lo, 1, v34
	s_cbranch_vccnz .LBB136_53
.LBB136_9:
	v_mov_b32_e32 v5, 0
	v_dual_mov_b32 v6, 0 :: v_dual_mov_b32 v7, s20
	v_add_nc_u16 v9, v33, 0x80
	v_mov_b32_e32 v8, s21
	s_mov_b32 s3, 0
	.p2align	6
.LBB136_10:                             ; =>This Inner Loop Header: Depth=1
	s_delay_alu instid0(VALU_DEP_3) | instskip(NEXT) | instid1(VALU_DEP_2)
	v_sub_co_u32 v10, vcc_lo, v7, v5
	v_sub_co_ci_u32_e32 v11, vcc_lo, v8, v6, vcc_lo
	s_delay_alu instid0(VALU_DEP_1) | instskip(SKIP_1) | instid1(VALU_DEP_2)
	v_lshrrev_b64 v[12:13], 1, v[10:11]
	v_lshrrev_b64 v[10:11], 6, v[10:11]
	v_add_co_u32 v12, vcc_lo, v12, v5
	s_delay_alu instid0(VALU_DEP_3) | instskip(NEXT) | instid1(VALU_DEP_2)
	v_add_co_ci_u32_e32 v13, vcc_lo, v13, v6, vcc_lo
	v_add_co_u32 v10, vcc_lo, v12, v10
	s_delay_alu instid0(VALU_DEP_2) | instskip(NEXT) | instid1(VALU_DEP_1)
	v_add_co_ci_u32_e32 v11, vcc_lo, v13, v11, vcc_lo
	v_lshlrev_b64 v[12:13], 1, v[10:11]
	s_delay_alu instid0(VALU_DEP_1) | instskip(NEXT) | instid1(VALU_DEP_2)
	v_add_co_u32 v12, vcc_lo, s18, v12
	v_add_co_ci_u32_e32 v13, vcc_lo, s19, v13, vcc_lo
	global_load_u16 v12, v[12:13], off
	v_add_co_u32 v13, vcc_lo, v10, 1
	v_add_co_ci_u32_e32 v14, vcc_lo, 0, v11, vcc_lo
	s_waitcnt vmcnt(0)
	v_cmp_gt_u16_e32 vcc_lo, v12, v9
	v_dual_cndmask_b32 v8, v8, v11 :: v_dual_cndmask_b32 v7, v7, v10
	s_delay_alu instid0(VALU_DEP_3) | instskip(NEXT) | instid1(VALU_DEP_1)
	v_dual_cndmask_b32 v6, v14, v6 :: v_dual_cndmask_b32 v5, v13, v5
	v_cmp_ge_u64_e32 vcc_lo, v[5:6], v[7:8]
	s_or_b32 s3, vcc_lo, s3
	s_delay_alu instid0(SALU_CYCLE_1)
	s_and_not1_b32 exec_lo, exec_lo, s3
	s_cbranch_execnz .LBB136_10
; %bb.11:
	s_or_b32 exec_lo, exec_lo, s3
	v_cmp_ne_u32_e32 vcc_lo, 1, v34
	s_cbranch_vccnz .LBB136_54
.LBB136_12:
	v_mov_b32_e32 v7, 0
	v_dual_mov_b32 v8, 0 :: v_dual_mov_b32 v9, s20
	v_add_nc_u16 v11, v33, 0xc0
	v_mov_b32_e32 v10, s21
	s_mov_b32 s3, 0
	.p2align	6
.LBB136_13:                             ; =>This Inner Loop Header: Depth=1
	s_delay_alu instid0(VALU_DEP_3) | instskip(NEXT) | instid1(VALU_DEP_2)
	v_sub_co_u32 v12, vcc_lo, v9, v7
	v_sub_co_ci_u32_e32 v13, vcc_lo, v10, v8, vcc_lo
	s_delay_alu instid0(VALU_DEP_1) | instskip(SKIP_1) | instid1(VALU_DEP_2)
	v_lshrrev_b64 v[14:15], 1, v[12:13]
	v_lshrrev_b64 v[12:13], 6, v[12:13]
	v_add_co_u32 v14, vcc_lo, v14, v7
	s_delay_alu instid0(VALU_DEP_3) | instskip(NEXT) | instid1(VALU_DEP_2)
	v_add_co_ci_u32_e32 v15, vcc_lo, v15, v8, vcc_lo
	v_add_co_u32 v12, vcc_lo, v14, v12
	s_delay_alu instid0(VALU_DEP_2) | instskip(NEXT) | instid1(VALU_DEP_1)
	v_add_co_ci_u32_e32 v13, vcc_lo, v15, v13, vcc_lo
	v_lshlrev_b64 v[14:15], 1, v[12:13]
	s_delay_alu instid0(VALU_DEP_1) | instskip(NEXT) | instid1(VALU_DEP_2)
	v_add_co_u32 v14, vcc_lo, s18, v14
	v_add_co_ci_u32_e32 v15, vcc_lo, s19, v15, vcc_lo
	global_load_u16 v14, v[14:15], off
	v_add_co_u32 v15, vcc_lo, v12, 1
	v_add_co_ci_u32_e32 v16, vcc_lo, 0, v13, vcc_lo
	s_waitcnt vmcnt(0)
	v_cmp_gt_u16_e32 vcc_lo, v14, v11
	v_dual_cndmask_b32 v10, v10, v13 :: v_dual_cndmask_b32 v9, v9, v12
	s_delay_alu instid0(VALU_DEP_3) | instskip(NEXT) | instid1(VALU_DEP_1)
	v_dual_cndmask_b32 v8, v16, v8 :: v_dual_cndmask_b32 v7, v15, v7
	v_cmp_ge_u64_e32 vcc_lo, v[7:8], v[9:10]
	s_or_b32 s3, vcc_lo, s3
	s_delay_alu instid0(SALU_CYCLE_1)
	s_and_not1_b32 exec_lo, exec_lo, s3
	s_cbranch_execnz .LBB136_13
; %bb.14:
	s_or_b32 exec_lo, exec_lo, s3
	v_cmp_ne_u32_e32 vcc_lo, 1, v34
	s_cbranch_vccnz .LBB136_55
.LBB136_15:
	v_mov_b32_e32 v9, 0
	v_dual_mov_b32 v10, 0 :: v_dual_mov_b32 v11, s20
	v_add_nc_u16 v13, v33, 0x100
	v_mov_b32_e32 v12, s21
	s_mov_b32 s3, 0
	.p2align	6
.LBB136_16:                             ; =>This Inner Loop Header: Depth=1
	s_delay_alu instid0(VALU_DEP_3) | instskip(NEXT) | instid1(VALU_DEP_2)
	v_sub_co_u32 v14, vcc_lo, v11, v9
	v_sub_co_ci_u32_e32 v15, vcc_lo, v12, v10, vcc_lo
	s_delay_alu instid0(VALU_DEP_1) | instskip(SKIP_1) | instid1(VALU_DEP_2)
	v_lshrrev_b64 v[16:17], 1, v[14:15]
	v_lshrrev_b64 v[14:15], 6, v[14:15]
	v_add_co_u32 v16, vcc_lo, v16, v9
	s_delay_alu instid0(VALU_DEP_3) | instskip(NEXT) | instid1(VALU_DEP_2)
	v_add_co_ci_u32_e32 v17, vcc_lo, v17, v10, vcc_lo
	v_add_co_u32 v14, vcc_lo, v16, v14
	s_delay_alu instid0(VALU_DEP_2) | instskip(NEXT) | instid1(VALU_DEP_1)
	v_add_co_ci_u32_e32 v15, vcc_lo, v17, v15, vcc_lo
	v_lshlrev_b64 v[16:17], 1, v[14:15]
	s_delay_alu instid0(VALU_DEP_1) | instskip(NEXT) | instid1(VALU_DEP_2)
	v_add_co_u32 v16, vcc_lo, s18, v16
	v_add_co_ci_u32_e32 v17, vcc_lo, s19, v17, vcc_lo
	global_load_u16 v16, v[16:17], off
	v_add_co_u32 v17, vcc_lo, v14, 1
	v_add_co_ci_u32_e32 v18, vcc_lo, 0, v15, vcc_lo
	s_waitcnt vmcnt(0)
	v_cmp_gt_u16_e32 vcc_lo, v16, v13
	v_dual_cndmask_b32 v12, v12, v15 :: v_dual_cndmask_b32 v11, v11, v14
	s_delay_alu instid0(VALU_DEP_3) | instskip(NEXT) | instid1(VALU_DEP_1)
	v_dual_cndmask_b32 v10, v18, v10 :: v_dual_cndmask_b32 v9, v17, v9
	v_cmp_ge_u64_e32 vcc_lo, v[9:10], v[11:12]
	s_or_b32 s3, vcc_lo, s3
	s_delay_alu instid0(SALU_CYCLE_1)
	s_and_not1_b32 exec_lo, exec_lo, s3
	s_cbranch_execnz .LBB136_16
; %bb.17:
	s_or_b32 exec_lo, exec_lo, s3
	v_cmp_ne_u32_e32 vcc_lo, 1, v34
	s_cbranch_vccnz .LBB136_56
.LBB136_18:
	v_mov_b32_e32 v11, 0
	v_dual_mov_b32 v12, 0 :: v_dual_mov_b32 v13, s20
	v_add_nc_u16 v15, v33, 0x140
	v_mov_b32_e32 v14, s21
	s_mov_b32 s3, 0
	.p2align	6
.LBB136_19:                             ; =>This Inner Loop Header: Depth=1
	s_delay_alu instid0(VALU_DEP_3) | instskip(NEXT) | instid1(VALU_DEP_2)
	v_sub_co_u32 v16, vcc_lo, v13, v11
	v_sub_co_ci_u32_e32 v17, vcc_lo, v14, v12, vcc_lo
	s_delay_alu instid0(VALU_DEP_1) | instskip(SKIP_1) | instid1(VALU_DEP_2)
	v_lshrrev_b64 v[18:19], 1, v[16:17]
	v_lshrrev_b64 v[16:17], 6, v[16:17]
	v_add_co_u32 v18, vcc_lo, v18, v11
	s_delay_alu instid0(VALU_DEP_3) | instskip(NEXT) | instid1(VALU_DEP_2)
	v_add_co_ci_u32_e32 v19, vcc_lo, v19, v12, vcc_lo
	v_add_co_u32 v16, vcc_lo, v18, v16
	s_delay_alu instid0(VALU_DEP_2) | instskip(NEXT) | instid1(VALU_DEP_1)
	v_add_co_ci_u32_e32 v17, vcc_lo, v19, v17, vcc_lo
	v_lshlrev_b64 v[18:19], 1, v[16:17]
	s_delay_alu instid0(VALU_DEP_1) | instskip(NEXT) | instid1(VALU_DEP_2)
	v_add_co_u32 v18, vcc_lo, s18, v18
	v_add_co_ci_u32_e32 v19, vcc_lo, s19, v19, vcc_lo
	global_load_u16 v18, v[18:19], off
	v_add_co_u32 v19, vcc_lo, v16, 1
	v_add_co_ci_u32_e32 v20, vcc_lo, 0, v17, vcc_lo
	s_waitcnt vmcnt(0)
	v_cmp_gt_u16_e32 vcc_lo, v18, v15
	v_dual_cndmask_b32 v14, v14, v17 :: v_dual_cndmask_b32 v13, v13, v16
	s_delay_alu instid0(VALU_DEP_3) | instskip(NEXT) | instid1(VALU_DEP_1)
	v_dual_cndmask_b32 v12, v20, v12 :: v_dual_cndmask_b32 v11, v19, v11
	v_cmp_ge_u64_e32 vcc_lo, v[11:12], v[13:14]
	s_or_b32 s3, vcc_lo, s3
	s_delay_alu instid0(SALU_CYCLE_1)
	s_and_not1_b32 exec_lo, exec_lo, s3
	s_cbranch_execnz .LBB136_19
; %bb.20:
	s_or_b32 exec_lo, exec_lo, s3
	v_cmp_ne_u32_e32 vcc_lo, 1, v34
	s_cbranch_vccnz .LBB136_57
.LBB136_21:
	v_mov_b32_e32 v13, 0
	v_dual_mov_b32 v14, 0 :: v_dual_mov_b32 v15, s20
	v_add_nc_u16 v17, v33, 0x180
	v_mov_b32_e32 v16, s21
	s_mov_b32 s3, 0
	.p2align	6
.LBB136_22:                             ; =>This Inner Loop Header: Depth=1
	s_delay_alu instid0(VALU_DEP_3) | instskip(NEXT) | instid1(VALU_DEP_2)
	v_sub_co_u32 v18, vcc_lo, v15, v13
	v_sub_co_ci_u32_e32 v19, vcc_lo, v16, v14, vcc_lo
	s_delay_alu instid0(VALU_DEP_1) | instskip(SKIP_1) | instid1(VALU_DEP_2)
	v_lshrrev_b64 v[20:21], 1, v[18:19]
	v_lshrrev_b64 v[18:19], 6, v[18:19]
	v_add_co_u32 v20, vcc_lo, v20, v13
	s_delay_alu instid0(VALU_DEP_3) | instskip(NEXT) | instid1(VALU_DEP_2)
	v_add_co_ci_u32_e32 v21, vcc_lo, v21, v14, vcc_lo
	v_add_co_u32 v18, vcc_lo, v20, v18
	s_delay_alu instid0(VALU_DEP_2) | instskip(NEXT) | instid1(VALU_DEP_1)
	v_add_co_ci_u32_e32 v19, vcc_lo, v21, v19, vcc_lo
	v_lshlrev_b64 v[20:21], 1, v[18:19]
	s_delay_alu instid0(VALU_DEP_1) | instskip(NEXT) | instid1(VALU_DEP_2)
	v_add_co_u32 v20, vcc_lo, s18, v20
	v_add_co_ci_u32_e32 v21, vcc_lo, s19, v21, vcc_lo
	global_load_u16 v20, v[20:21], off
	v_add_co_u32 v21, vcc_lo, v18, 1
	v_add_co_ci_u32_e32 v22, vcc_lo, 0, v19, vcc_lo
	s_waitcnt vmcnt(0)
	v_cmp_gt_u16_e32 vcc_lo, v20, v17
	v_dual_cndmask_b32 v16, v16, v19 :: v_dual_cndmask_b32 v15, v15, v18
	s_delay_alu instid0(VALU_DEP_3) | instskip(NEXT) | instid1(VALU_DEP_1)
	v_dual_cndmask_b32 v14, v22, v14 :: v_dual_cndmask_b32 v13, v21, v13
	v_cmp_ge_u64_e32 vcc_lo, v[13:14], v[15:16]
	s_or_b32 s3, vcc_lo, s3
	s_delay_alu instid0(SALU_CYCLE_1)
	s_and_not1_b32 exec_lo, exec_lo, s3
	s_cbranch_execnz .LBB136_22
; %bb.23:
	s_or_b32 exec_lo, exec_lo, s3
	v_cmp_ne_u32_e32 vcc_lo, 1, v34
	s_cbranch_vccnz .LBB136_58
.LBB136_24:
	v_mov_b32_e32 v15, 0
	v_dual_mov_b32 v16, 0 :: v_dual_mov_b32 v17, s20
	v_add_nc_u16 v19, v33, 0x1c0
	v_mov_b32_e32 v18, s21
	s_mov_b32 s3, 0
	.p2align	6
.LBB136_25:                             ; =>This Inner Loop Header: Depth=1
	s_delay_alu instid0(VALU_DEP_3) | instskip(NEXT) | instid1(VALU_DEP_2)
	v_sub_co_u32 v20, vcc_lo, v17, v15
	v_sub_co_ci_u32_e32 v21, vcc_lo, v18, v16, vcc_lo
	s_delay_alu instid0(VALU_DEP_1) | instskip(SKIP_1) | instid1(VALU_DEP_2)
	v_lshrrev_b64 v[22:23], 1, v[20:21]
	v_lshrrev_b64 v[20:21], 6, v[20:21]
	v_add_co_u32 v22, vcc_lo, v22, v15
	s_delay_alu instid0(VALU_DEP_3) | instskip(NEXT) | instid1(VALU_DEP_2)
	v_add_co_ci_u32_e32 v23, vcc_lo, v23, v16, vcc_lo
	v_add_co_u32 v20, vcc_lo, v22, v20
	s_delay_alu instid0(VALU_DEP_2) | instskip(NEXT) | instid1(VALU_DEP_1)
	v_add_co_ci_u32_e32 v21, vcc_lo, v23, v21, vcc_lo
	v_lshlrev_b64 v[22:23], 1, v[20:21]
	s_delay_alu instid0(VALU_DEP_1) | instskip(NEXT) | instid1(VALU_DEP_2)
	v_add_co_u32 v22, vcc_lo, s18, v22
	v_add_co_ci_u32_e32 v23, vcc_lo, s19, v23, vcc_lo
	global_load_u16 v22, v[22:23], off
	v_add_co_u32 v23, vcc_lo, v20, 1
	v_add_co_ci_u32_e32 v24, vcc_lo, 0, v21, vcc_lo
	s_waitcnt vmcnt(0)
	v_cmp_gt_u16_e32 vcc_lo, v22, v19
	v_dual_cndmask_b32 v18, v18, v21 :: v_dual_cndmask_b32 v17, v17, v20
	s_delay_alu instid0(VALU_DEP_3) | instskip(NEXT) | instid1(VALU_DEP_1)
	v_dual_cndmask_b32 v16, v24, v16 :: v_dual_cndmask_b32 v15, v23, v15
	v_cmp_ge_u64_e32 vcc_lo, v[15:16], v[17:18]
	s_or_b32 s3, vcc_lo, s3
	s_delay_alu instid0(SALU_CYCLE_1)
	s_and_not1_b32 exec_lo, exec_lo, s3
	s_cbranch_execnz .LBB136_25
; %bb.26:
	s_or_b32 exec_lo, exec_lo, s3
	v_cmp_ne_u32_e32 vcc_lo, 1, v34
	s_cbranch_vccnz .LBB136_59
.LBB136_27:
	v_mov_b32_e32 v17, 0
	v_dual_mov_b32 v18, 0 :: v_dual_mov_b32 v19, s20
	v_add_nc_u16 v21, v33, 0x200
	v_mov_b32_e32 v20, s21
	s_mov_b32 s3, 0
	.p2align	6
.LBB136_28:                             ; =>This Inner Loop Header: Depth=1
	s_delay_alu instid0(VALU_DEP_3) | instskip(NEXT) | instid1(VALU_DEP_2)
	v_sub_co_u32 v22, vcc_lo, v19, v17
	v_sub_co_ci_u32_e32 v23, vcc_lo, v20, v18, vcc_lo
	s_delay_alu instid0(VALU_DEP_1) | instskip(SKIP_1) | instid1(VALU_DEP_2)
	v_lshrrev_b64 v[24:25], 1, v[22:23]
	v_lshrrev_b64 v[22:23], 6, v[22:23]
	v_add_co_u32 v24, vcc_lo, v24, v17
	s_delay_alu instid0(VALU_DEP_3) | instskip(NEXT) | instid1(VALU_DEP_2)
	v_add_co_ci_u32_e32 v25, vcc_lo, v25, v18, vcc_lo
	v_add_co_u32 v22, vcc_lo, v24, v22
	s_delay_alu instid0(VALU_DEP_2) | instskip(NEXT) | instid1(VALU_DEP_1)
	v_add_co_ci_u32_e32 v23, vcc_lo, v25, v23, vcc_lo
	v_lshlrev_b64 v[24:25], 1, v[22:23]
	s_delay_alu instid0(VALU_DEP_1) | instskip(NEXT) | instid1(VALU_DEP_2)
	v_add_co_u32 v24, vcc_lo, s18, v24
	v_add_co_ci_u32_e32 v25, vcc_lo, s19, v25, vcc_lo
	global_load_u16 v24, v[24:25], off
	v_add_co_u32 v25, vcc_lo, v22, 1
	v_add_co_ci_u32_e32 v26, vcc_lo, 0, v23, vcc_lo
	s_waitcnt vmcnt(0)
	v_cmp_gt_u16_e32 vcc_lo, v24, v21
	v_dual_cndmask_b32 v20, v20, v23 :: v_dual_cndmask_b32 v19, v19, v22
	s_delay_alu instid0(VALU_DEP_3) | instskip(NEXT) | instid1(VALU_DEP_1)
	v_dual_cndmask_b32 v18, v26, v18 :: v_dual_cndmask_b32 v17, v25, v17
	v_cmp_ge_u64_e32 vcc_lo, v[17:18], v[19:20]
	s_or_b32 s3, vcc_lo, s3
	s_delay_alu instid0(SALU_CYCLE_1)
	s_and_not1_b32 exec_lo, exec_lo, s3
	s_cbranch_execnz .LBB136_28
; %bb.29:
	s_or_b32 exec_lo, exec_lo, s3
	v_cmp_ne_u32_e32 vcc_lo, 1, v34
	s_cbranch_vccnz .LBB136_60
.LBB136_30:
	v_dual_mov_b32 v19, 0 :: v_dual_mov_b32 v22, s21
	v_add_nc_u16 v23, v33, 0x240
	v_dual_mov_b32 v20, 0 :: v_dual_mov_b32 v21, s20
	s_mov_b32 s3, 0
	.p2align	6
.LBB136_31:                             ; =>This Inner Loop Header: Depth=1
	s_delay_alu instid0(VALU_DEP_1) | instskip(NEXT) | instid1(VALU_DEP_2)
	v_sub_co_u32 v24, vcc_lo, v21, v19
	v_sub_co_ci_u32_e32 v25, vcc_lo, v22, v20, vcc_lo
	s_delay_alu instid0(VALU_DEP_1) | instskip(SKIP_1) | instid1(VALU_DEP_2)
	v_lshrrev_b64 v[26:27], 1, v[24:25]
	v_lshrrev_b64 v[24:25], 6, v[24:25]
	v_add_co_u32 v26, vcc_lo, v26, v19
	s_delay_alu instid0(VALU_DEP_3) | instskip(NEXT) | instid1(VALU_DEP_2)
	v_add_co_ci_u32_e32 v27, vcc_lo, v27, v20, vcc_lo
	v_add_co_u32 v24, vcc_lo, v26, v24
	s_delay_alu instid0(VALU_DEP_2) | instskip(NEXT) | instid1(VALU_DEP_1)
	v_add_co_ci_u32_e32 v25, vcc_lo, v27, v25, vcc_lo
	v_lshlrev_b64 v[26:27], 1, v[24:25]
	s_delay_alu instid0(VALU_DEP_1) | instskip(NEXT) | instid1(VALU_DEP_2)
	v_add_co_u32 v26, vcc_lo, s18, v26
	v_add_co_ci_u32_e32 v27, vcc_lo, s19, v27, vcc_lo
	global_load_u16 v26, v[26:27], off
	v_add_co_u32 v27, vcc_lo, v24, 1
	v_add_co_ci_u32_e32 v28, vcc_lo, 0, v25, vcc_lo
	s_waitcnt vmcnt(0)
	v_cmp_gt_u16_e32 vcc_lo, v26, v23
	v_dual_cndmask_b32 v22, v22, v25 :: v_dual_cndmask_b32 v21, v21, v24
	s_delay_alu instid0(VALU_DEP_3) | instskip(NEXT) | instid1(VALU_DEP_1)
	v_dual_cndmask_b32 v20, v28, v20 :: v_dual_cndmask_b32 v19, v27, v19
	v_cmp_ge_u64_e32 vcc_lo, v[19:20], v[21:22]
	s_or_b32 s3, vcc_lo, s3
	s_delay_alu instid0(SALU_CYCLE_1)
	s_and_not1_b32 exec_lo, exec_lo, s3
	s_cbranch_execnz .LBB136_31
; %bb.32:
	s_or_b32 exec_lo, exec_lo, s3
	v_cmp_ne_u32_e32 vcc_lo, 1, v34
	s_cbranch_vccnz .LBB136_61
.LBB136_33:
	v_dual_mov_b32 v21, 0 :: v_dual_mov_b32 v24, s21
	v_add_nc_u16 v25, v33, 0x280
	v_dual_mov_b32 v22, 0 :: v_dual_mov_b32 v23, s20
	s_mov_b32 s3, 0
	.p2align	6
.LBB136_34:                             ; =>This Inner Loop Header: Depth=1
	s_delay_alu instid0(VALU_DEP_1) | instskip(NEXT) | instid1(VALU_DEP_2)
	v_sub_co_u32 v26, vcc_lo, v23, v21
	v_sub_co_ci_u32_e32 v27, vcc_lo, v24, v22, vcc_lo
	s_delay_alu instid0(VALU_DEP_1) | instskip(SKIP_1) | instid1(VALU_DEP_2)
	v_lshrrev_b64 v[28:29], 1, v[26:27]
	v_lshrrev_b64 v[26:27], 6, v[26:27]
	v_add_co_u32 v28, vcc_lo, v28, v21
	s_delay_alu instid0(VALU_DEP_3) | instskip(NEXT) | instid1(VALU_DEP_2)
	v_add_co_ci_u32_e32 v29, vcc_lo, v29, v22, vcc_lo
	v_add_co_u32 v26, vcc_lo, v28, v26
	s_delay_alu instid0(VALU_DEP_2) | instskip(NEXT) | instid1(VALU_DEP_1)
	v_add_co_ci_u32_e32 v27, vcc_lo, v29, v27, vcc_lo
	v_lshlrev_b64 v[28:29], 1, v[26:27]
	s_delay_alu instid0(VALU_DEP_1) | instskip(NEXT) | instid1(VALU_DEP_2)
	v_add_co_u32 v28, vcc_lo, s18, v28
	v_add_co_ci_u32_e32 v29, vcc_lo, s19, v29, vcc_lo
	global_load_u16 v28, v[28:29], off
	v_add_co_u32 v29, vcc_lo, v26, 1
	v_add_co_ci_u32_e32 v30, vcc_lo, 0, v27, vcc_lo
	s_waitcnt vmcnt(0)
	v_cmp_gt_u16_e32 vcc_lo, v28, v25
	v_dual_cndmask_b32 v24, v24, v27 :: v_dual_cndmask_b32 v23, v23, v26
	s_delay_alu instid0(VALU_DEP_3) | instskip(NEXT) | instid1(VALU_DEP_1)
	v_dual_cndmask_b32 v22, v30, v22 :: v_dual_cndmask_b32 v21, v29, v21
	v_cmp_ge_u64_e32 vcc_lo, v[21:22], v[23:24]
	s_or_b32 s3, vcc_lo, s3
	s_delay_alu instid0(SALU_CYCLE_1)
	s_and_not1_b32 exec_lo, exec_lo, s3
	s_cbranch_execnz .LBB136_34
; %bb.35:
	s_or_b32 exec_lo, exec_lo, s3
	v_cmp_ne_u32_e32 vcc_lo, 1, v34
	s_cbranch_vccnz .LBB136_62
.LBB136_36:
	v_dual_mov_b32 v23, 0 :: v_dual_mov_b32 v26, s21
	v_add_nc_u16 v27, v33, 0x2c0
	v_dual_mov_b32 v24, 0 :: v_dual_mov_b32 v25, s20
	s_mov_b32 s3, 0
	.p2align	6
.LBB136_37:                             ; =>This Inner Loop Header: Depth=1
	s_delay_alu instid0(VALU_DEP_1) | instskip(NEXT) | instid1(VALU_DEP_2)
	v_sub_co_u32 v28, vcc_lo, v25, v23
	v_sub_co_ci_u32_e32 v29, vcc_lo, v26, v24, vcc_lo
	s_delay_alu instid0(VALU_DEP_1) | instskip(SKIP_1) | instid1(VALU_DEP_2)
	v_lshrrev_b64 v[30:31], 1, v[28:29]
	v_lshrrev_b64 v[28:29], 6, v[28:29]
	v_add_co_u32 v30, vcc_lo, v30, v23
	s_delay_alu instid0(VALU_DEP_3) | instskip(NEXT) | instid1(VALU_DEP_2)
	v_add_co_ci_u32_e32 v31, vcc_lo, v31, v24, vcc_lo
	v_add_co_u32 v28, vcc_lo, v30, v28
	s_delay_alu instid0(VALU_DEP_2) | instskip(NEXT) | instid1(VALU_DEP_1)
	v_add_co_ci_u32_e32 v29, vcc_lo, v31, v29, vcc_lo
	v_lshlrev_b64 v[30:31], 1, v[28:29]
	s_delay_alu instid0(VALU_DEP_1) | instskip(NEXT) | instid1(VALU_DEP_2)
	v_add_co_u32 v30, vcc_lo, s18, v30
	v_add_co_ci_u32_e32 v31, vcc_lo, s19, v31, vcc_lo
	global_load_u16 v30, v[30:31], off
	v_add_co_u32 v31, vcc_lo, v28, 1
	v_add_co_ci_u32_e32 v32, vcc_lo, 0, v29, vcc_lo
	s_waitcnt vmcnt(0)
	v_cmp_gt_u16_e32 vcc_lo, v30, v27
	v_dual_cndmask_b32 v26, v26, v29 :: v_dual_cndmask_b32 v25, v25, v28
	s_delay_alu instid0(VALU_DEP_3) | instskip(NEXT) | instid1(VALU_DEP_1)
	v_dual_cndmask_b32 v24, v32, v24 :: v_dual_cndmask_b32 v23, v31, v23
	v_cmp_ge_u64_e32 vcc_lo, v[23:24], v[25:26]
	s_or_b32 s3, vcc_lo, s3
	s_delay_alu instid0(SALU_CYCLE_1)
	s_and_not1_b32 exec_lo, exec_lo, s3
	s_cbranch_execnz .LBB136_37
; %bb.38:
	s_or_b32 exec_lo, exec_lo, s3
	v_cmp_ne_u32_e32 vcc_lo, 1, v34
	s_cbranch_vccnz .LBB136_63
.LBB136_39:
	v_dual_mov_b32 v25, 0 :: v_dual_mov_b32 v28, s21
	v_add_nc_u16 v29, v33, 0x300
	v_dual_mov_b32 v26, 0 :: v_dual_mov_b32 v27, s20
	s_mov_b32 s3, 0
	.p2align	6
.LBB136_40:                             ; =>This Inner Loop Header: Depth=1
	s_delay_alu instid0(VALU_DEP_1) | instskip(NEXT) | instid1(VALU_DEP_2)
	v_sub_co_u32 v30, vcc_lo, v27, v25
	v_sub_co_ci_u32_e32 v31, vcc_lo, v28, v26, vcc_lo
	s_delay_alu instid0(VALU_DEP_1) | instskip(SKIP_1) | instid1(VALU_DEP_2)
	v_lshrrev_b64 v[35:36], 1, v[30:31]
	v_lshrrev_b64 v[30:31], 6, v[30:31]
	v_add_co_u32 v32, vcc_lo, v35, v25
	s_delay_alu instid0(VALU_DEP_3) | instskip(NEXT) | instid1(VALU_DEP_2)
	v_add_co_ci_u32_e32 v35, vcc_lo, v36, v26, vcc_lo
	v_add_co_u32 v30, vcc_lo, v32, v30
	s_delay_alu instid0(VALU_DEP_2) | instskip(NEXT) | instid1(VALU_DEP_1)
	v_add_co_ci_u32_e32 v31, vcc_lo, v35, v31, vcc_lo
	v_lshlrev_b64 v[35:36], 1, v[30:31]
	s_delay_alu instid0(VALU_DEP_1) | instskip(NEXT) | instid1(VALU_DEP_2)
	v_add_co_u32 v35, vcc_lo, s18, v35
	v_add_co_ci_u32_e32 v36, vcc_lo, s19, v36, vcc_lo
	global_load_u16 v32, v[35:36], off
	v_add_co_u32 v35, vcc_lo, v30, 1
	v_add_co_ci_u32_e32 v36, vcc_lo, 0, v31, vcc_lo
	s_waitcnt vmcnt(0)
	v_cmp_gt_u16_e32 vcc_lo, v32, v29
	v_dual_cndmask_b32 v28, v28, v31 :: v_dual_cndmask_b32 v27, v27, v30
	s_delay_alu instid0(VALU_DEP_3) | instskip(NEXT) | instid1(VALU_DEP_1)
	v_dual_cndmask_b32 v26, v36, v26 :: v_dual_cndmask_b32 v25, v35, v25
	v_cmp_ge_u64_e32 vcc_lo, v[25:26], v[27:28]
	s_or_b32 s3, vcc_lo, s3
	s_delay_alu instid0(SALU_CYCLE_1)
	s_and_not1_b32 exec_lo, exec_lo, s3
	s_cbranch_execnz .LBB136_40
; %bb.41:
	s_or_b32 exec_lo, exec_lo, s3
	v_cmp_ne_u32_e32 vcc_lo, 1, v34
	s_cbranch_vccnz .LBB136_64
.LBB136_42:
	v_dual_mov_b32 v27, 0 :: v_dual_mov_b32 v30, s21
	v_add_nc_u16 v31, v33, 0x340
	v_dual_mov_b32 v28, 0 :: v_dual_mov_b32 v29, s20
	s_mov_b32 s3, 0
	.p2align	6
.LBB136_43:                             ; =>This Inner Loop Header: Depth=1
	s_delay_alu instid0(VALU_DEP_1) | instskip(NEXT) | instid1(VALU_DEP_2)
	v_sub_co_u32 v35, vcc_lo, v29, v27
	v_sub_co_ci_u32_e32 v36, vcc_lo, v30, v28, vcc_lo
	s_delay_alu instid0(VALU_DEP_1) | instskip(SKIP_1) | instid1(VALU_DEP_2)
	v_lshrrev_b64 v[37:38], 1, v[35:36]
	v_lshrrev_b64 v[35:36], 6, v[35:36]
	v_add_co_u32 v32, vcc_lo, v37, v27
	s_delay_alu instid0(VALU_DEP_3) | instskip(NEXT) | instid1(VALU_DEP_2)
	v_add_co_ci_u32_e32 v37, vcc_lo, v38, v28, vcc_lo
	v_add_co_u32 v35, vcc_lo, v32, v35
	s_delay_alu instid0(VALU_DEP_2) | instskip(NEXT) | instid1(VALU_DEP_1)
	v_add_co_ci_u32_e32 v36, vcc_lo, v37, v36, vcc_lo
	v_lshlrev_b64 v[37:38], 1, v[35:36]
	s_delay_alu instid0(VALU_DEP_1) | instskip(NEXT) | instid1(VALU_DEP_2)
	v_add_co_u32 v37, vcc_lo, s18, v37
	v_add_co_ci_u32_e32 v38, vcc_lo, s19, v38, vcc_lo
	global_load_u16 v32, v[37:38], off
	v_add_co_u32 v37, vcc_lo, v35, 1
	v_add_co_ci_u32_e32 v38, vcc_lo, 0, v36, vcc_lo
	s_waitcnt vmcnt(0)
	v_cmp_gt_u16_e32 vcc_lo, v32, v31
	v_dual_cndmask_b32 v30, v30, v36 :: v_dual_cndmask_b32 v29, v29, v35
	s_delay_alu instid0(VALU_DEP_3) | instskip(NEXT) | instid1(VALU_DEP_1)
	v_dual_cndmask_b32 v28, v38, v28 :: v_dual_cndmask_b32 v27, v37, v27
	v_cmp_ge_u64_e32 vcc_lo, v[27:28], v[29:30]
	s_or_b32 s3, vcc_lo, s3
	s_delay_alu instid0(SALU_CYCLE_1)
	s_and_not1_b32 exec_lo, exec_lo, s3
	s_cbranch_execnz .LBB136_43
; %bb.44:
	s_or_b32 exec_lo, exec_lo, s3
	v_cmp_ne_u32_e32 vcc_lo, 1, v34
	s_cbranch_vccnz .LBB136_65
.LBB136_45:
	v_dual_mov_b32 v31, 0 :: v_dual_mov_b32 v30, s21
	v_add_nc_u16 v35, v33, 0x380
	v_dual_mov_b32 v32, 0 :: v_dual_mov_b32 v29, s20
	s_mov_b32 s3, 0
	.p2align	6
.LBB136_46:                             ; =>This Inner Loop Header: Depth=1
	s_delay_alu instid0(VALU_DEP_1) | instskip(NEXT) | instid1(VALU_DEP_2)
	v_sub_co_u32 v36, vcc_lo, v29, v31
	v_sub_co_ci_u32_e32 v37, vcc_lo, v30, v32, vcc_lo
	s_delay_alu instid0(VALU_DEP_1) | instskip(SKIP_1) | instid1(VALU_DEP_2)
	v_lshrrev_b64 v[38:39], 1, v[36:37]
	v_lshrrev_b64 v[36:37], 6, v[36:37]
	v_add_co_u32 v38, vcc_lo, v38, v31
	s_delay_alu instid0(VALU_DEP_3) | instskip(NEXT) | instid1(VALU_DEP_2)
	v_add_co_ci_u32_e32 v39, vcc_lo, v39, v32, vcc_lo
	v_add_co_u32 v36, vcc_lo, v38, v36
	s_delay_alu instid0(VALU_DEP_2) | instskip(NEXT) | instid1(VALU_DEP_1)
	v_add_co_ci_u32_e32 v37, vcc_lo, v39, v37, vcc_lo
	v_lshlrev_b64 v[38:39], 1, v[36:37]
	s_delay_alu instid0(VALU_DEP_1) | instskip(NEXT) | instid1(VALU_DEP_2)
	v_add_co_u32 v38, vcc_lo, s18, v38
	v_add_co_ci_u32_e32 v39, vcc_lo, s19, v39, vcc_lo
	global_load_u16 v38, v[38:39], off
	v_add_co_u32 v39, vcc_lo, v36, 1
	v_add_co_ci_u32_e32 v40, vcc_lo, 0, v37, vcc_lo
	s_waitcnt vmcnt(0)
	v_cmp_gt_u16_e32 vcc_lo, v38, v35
	v_dual_cndmask_b32 v30, v30, v37 :: v_dual_cndmask_b32 v29, v29, v36
	s_delay_alu instid0(VALU_DEP_3) | instskip(NEXT) | instid1(VALU_DEP_1)
	v_dual_cndmask_b32 v32, v40, v32 :: v_dual_cndmask_b32 v31, v39, v31
	v_cmp_ge_u64_e32 vcc_lo, v[31:32], v[29:30]
	s_or_b32 s3, vcc_lo, s3
	s_delay_alu instid0(SALU_CYCLE_1)
	s_and_not1_b32 exec_lo, exec_lo, s3
	s_cbranch_execnz .LBB136_46
; %bb.47:
	s_or_b32 exec_lo, exec_lo, s3
	v_cmp_ne_u32_e32 vcc_lo, 1, v34
	s_cbranch_vccnz .LBB136_66
.LBB136_48:
	v_add_nc_u16 v35, v33, 0x3c0
	v_dual_mov_b32 v29, 0 :: v_dual_mov_b32 v34, s21
	v_dual_mov_b32 v30, 0 :: v_dual_mov_b32 v33, s20
	s_mov_b32 s3, 0
	.p2align	6
.LBB136_49:                             ; =>This Inner Loop Header: Depth=1
	s_delay_alu instid0(VALU_DEP_1) | instskip(NEXT) | instid1(VALU_DEP_2)
	v_sub_co_u32 v36, vcc_lo, v33, v29
	v_sub_co_ci_u32_e32 v37, vcc_lo, v34, v30, vcc_lo
	s_delay_alu instid0(VALU_DEP_1) | instskip(SKIP_1) | instid1(VALU_DEP_2)
	v_lshrrev_b64 v[38:39], 1, v[36:37]
	v_lshrrev_b64 v[36:37], 6, v[36:37]
	v_add_co_u32 v38, vcc_lo, v38, v29
	s_delay_alu instid0(VALU_DEP_3) | instskip(NEXT) | instid1(VALU_DEP_2)
	v_add_co_ci_u32_e32 v39, vcc_lo, v39, v30, vcc_lo
	v_add_co_u32 v36, vcc_lo, v38, v36
	s_delay_alu instid0(VALU_DEP_2) | instskip(NEXT) | instid1(VALU_DEP_1)
	v_add_co_ci_u32_e32 v37, vcc_lo, v39, v37, vcc_lo
	v_lshlrev_b64 v[38:39], 1, v[36:37]
	s_delay_alu instid0(VALU_DEP_1) | instskip(NEXT) | instid1(VALU_DEP_2)
	v_add_co_u32 v38, vcc_lo, s18, v38
	v_add_co_ci_u32_e32 v39, vcc_lo, s19, v39, vcc_lo
	global_load_u16 v38, v[38:39], off
	v_add_co_u32 v39, vcc_lo, v36, 1
	v_add_co_ci_u32_e32 v40, vcc_lo, 0, v37, vcc_lo
	s_waitcnt vmcnt(0)
	v_cmp_gt_u16_e32 vcc_lo, v38, v35
	v_dual_cndmask_b32 v34, v34, v37 :: v_dual_cndmask_b32 v33, v33, v36
	s_delay_alu instid0(VALU_DEP_3) | instskip(NEXT) | instid1(VALU_DEP_1)
	v_dual_cndmask_b32 v30, v40, v30 :: v_dual_cndmask_b32 v29, v39, v29
	v_cmp_ge_u64_e32 vcc_lo, v[29:30], v[33:34]
	s_or_b32 s3, vcc_lo, s3
	s_delay_alu instid0(SALU_CYCLE_1)
	s_and_not1_b32 exec_lo, exec_lo, s3
	s_cbranch_execnz .LBB136_49
; %bb.50:
	s_or_b32 exec_lo, exec_lo, s3
	s_branch .LBB136_67
.LBB136_51:
	s_mov_b32 s15, s17
                                        ; implicit-def: $vgpr29_vgpr30
                                        ; implicit-def: $vgpr33_vgpr34
	s_and_b32 vcc_lo, exec_lo, s3
	s_cbranch_vccnz .LBB136_68
	s_branch .LBB136_174
.LBB136_52:
	v_mov_b32_e32 v3, 0
	v_mov_b32_e32 v4, 0
	v_cmp_ne_u32_e32 vcc_lo, 1, v34
	s_cbranch_vccz .LBB136_9
.LBB136_53:
	v_mov_b32_e32 v5, 0
	v_mov_b32_e32 v6, 0
	v_cmp_ne_u32_e32 vcc_lo, 1, v34
	s_cbranch_vccz .LBB136_12
.LBB136_54:
	v_mov_b32_e32 v7, 0
	v_mov_b32_e32 v8, 0
	v_cmp_ne_u32_e32 vcc_lo, 1, v34
	s_cbranch_vccz .LBB136_15
.LBB136_55:
	v_mov_b32_e32 v9, 0
	v_mov_b32_e32 v10, 0
	v_cmp_ne_u32_e32 vcc_lo, 1, v34
	s_cbranch_vccz .LBB136_18
.LBB136_56:
	v_mov_b32_e32 v11, 0
	v_mov_b32_e32 v12, 0
	v_cmp_ne_u32_e32 vcc_lo, 1, v34
	s_cbranch_vccz .LBB136_21
.LBB136_57:
	v_mov_b32_e32 v13, 0
	v_mov_b32_e32 v14, 0
	v_cmp_ne_u32_e32 vcc_lo, 1, v34
	s_cbranch_vccz .LBB136_24
.LBB136_58:
	v_mov_b32_e32 v15, 0
	v_mov_b32_e32 v16, 0
	v_cmp_ne_u32_e32 vcc_lo, 1, v34
	s_cbranch_vccz .LBB136_27
.LBB136_59:
	v_mov_b32_e32 v17, 0
	v_mov_b32_e32 v18, 0
	v_cmp_ne_u32_e32 vcc_lo, 1, v34
	s_cbranch_vccz .LBB136_30
.LBB136_60:
	v_mov_b32_e32 v19, 0
	v_mov_b32_e32 v20, 0
	v_cmp_ne_u32_e32 vcc_lo, 1, v34
	s_cbranch_vccz .LBB136_33
.LBB136_61:
	v_mov_b32_e32 v21, 0
	v_mov_b32_e32 v22, 0
	v_cmp_ne_u32_e32 vcc_lo, 1, v34
	s_cbranch_vccz .LBB136_36
.LBB136_62:
	v_mov_b32_e32 v23, 0
	v_mov_b32_e32 v24, 0
	v_cmp_ne_u32_e32 vcc_lo, 1, v34
	s_cbranch_vccz .LBB136_39
.LBB136_63:
	v_mov_b32_e32 v25, 0
	v_mov_b32_e32 v26, 0
	v_cmp_ne_u32_e32 vcc_lo, 1, v34
	s_cbranch_vccz .LBB136_42
.LBB136_64:
	v_mov_b32_e32 v27, 0
	v_mov_b32_e32 v28, 0
	v_cmp_ne_u32_e32 vcc_lo, 1, v34
	s_cbranch_vccz .LBB136_45
.LBB136_65:
	v_mov_b32_e32 v31, 0
	v_mov_b32_e32 v32, 0
	v_cmp_ne_u32_e32 vcc_lo, 1, v34
	s_cbranch_vccz .LBB136_48
.LBB136_66:
	v_mov_b32_e32 v29, 0
	v_mov_b32_e32 v30, 0
.LBB136_67:
	v_lshlrev_b32_e32 v35, 3, v0
	s_lshl_b64 s[4:5], s[16:17], 3
	s_delay_alu instid0(SALU_CYCLE_1) | instskip(SKIP_1) | instid1(VALU_DEP_1)
	s_add_u32 s4, s22, s4
	s_addc_u32 s5, s23, s5
	v_add_co_u32 v33, s6, s4, v35
	s_delay_alu instid0(VALU_DEP_1)
	v_add_co_ci_u32_e64 v34, null, s5, 0, s6
	s_clause 0x3
	global_store_b64 v35, v[1:2], s[4:5]
	global_store_b64 v35, v[3:4], s[4:5] offset:512
	global_store_b64 v35, v[5:6], s[4:5] offset:1024
	;; [unrolled: 1-line block ×3, first 2 shown]
	v_add_co_u32 v1, vcc_lo, 0x1000, v33
	v_add_co_ci_u32_e32 v2, vcc_lo, 0, v34, vcc_lo
	s_clause 0x7
	global_store_b64 v35, v[9:10], s[4:5] offset:2048
	global_store_b64 v35, v[11:12], s[4:5] offset:2560
	;; [unrolled: 1-line block ×4, first 2 shown]
	global_store_b64 v[1:2], v[17:18], off
	global_store_b64 v[1:2], v[19:20], off offset:512
	global_store_b64 v[1:2], v[21:22], off offset:1024
	;; [unrolled: 1-line block ×3, first 2 shown]
	s_mov_b32 s15, -1
	s_clause 0x2
	global_store_b64 v[1:2], v[25:26], off offset:2048
	global_store_b64 v[1:2], v[27:28], off offset:2560
	;; [unrolled: 1-line block ×3, first 2 shown]
	s_branch .LBB136_174
.LBB136_68:
	s_load_b32 s0, s[0:1], 0x10
	v_or_b32_e32 v1, 64, v0
	s_add_i32 s2, s2, s16
	v_or_b32_e32 v2, 0x80, v0
	v_or_b32_e32 v3, 0xc0, v0
	;; [unrolled: 1-line block ×4, first 2 shown]
	v_add_nc_u16 v5, s2, v0
	v_add_nc_u16 v8, s2, v1
	v_or_b32_e32 v7, 0x180, v0
	v_add_nc_u16 v9, s2, v2
	v_add_nc_u16 v10, s2, v3
	;; [unrolled: 1-line block ×4, first 2 shown]
	v_perm_b32 v8, v8, v5, 0x5040100
	v_and_b32_e32 v13, 0xffff, v9
	v_perm_b32 v9, v10, v9, 0x5040100
	v_or_b32_e32 v10, 0x200, v0
	s_waitcnt lgkmcnt(0)
	s_sub_i32 s14, s0, s16
	s_cmp_lg_u64 s[20:21], 0
	v_cmp_gt_u32_e64 s13, s14, v1
	v_or_b32_e32 v1, 0x1c0, v0
	v_cmp_gt_u32_e64 s12, s14, v2
	v_cmp_gt_u32_e64 s10, s14, v3
	;; [unrolled: 1-line block ×3, first 2 shown]
	v_cndmask_b32_e64 v5, v5, v8, s13
	v_and_b32_e32 v2, 0xffff, v11
	v_perm_b32 v3, v12, v11, 0x5040100
	v_add_nc_u16 v4, s2, v7
	v_add_nc_u16 v8, s2, v1
	v_or_b32_e32 v11, 0x240, v0
	v_cmp_gt_u32_e64 s11, s14, v6
	v_cndmask_b32_e64 v9, v13, v9, s10
	v_cmp_gt_u32_e64 s7, s14, v1
	v_cmp_gt_u32_e64 s9, s14, v7
	v_add_nc_u16 v6, s2, v11
	v_cndmask_b32_e64 v13, v2, v3, s11
	v_and_b32_e32 v2, 0xffff, v4
	v_perm_b32 v3, v8, v4, 0x5040100
	v_add_nc_u16 v4, s2, v10
	v_or_b32_e32 v7, 0x280, v0
	v_cmp_gt_u32_e64 s5, s14, v11
	v_cmp_gt_u32_e64 s6, s14, v10
	v_cndmask_b32_e64 v17, v2, v3, s7
	v_perm_b32 v1, v6, v4, 0x5040100
	v_or_b32_e32 v2, 0x2c0, v0
	v_add_nc_u16 v3, s2, v7
	v_cmp_gt_u32_e64 s3, s14, v7
	v_or_b32_e32 v7, 0x340, v0
	v_cndmask_b32_e64 v21, v4, v1, s5
	v_add_nc_u16 v1, s2, v2
	v_or_b32_e32 v4, 0x300, v0
	v_and_b32_e32 v6, 0xffff, v3
	v_or_b32_e32 v8, 0x380, v0
	v_or_b32_e32 v10, 0x3c0, v0
	v_perm_b32 v1, v1, v3, 0x5040100
	v_cmp_gt_u32_e64 s4, s14, v2
	v_add_nc_u16 v3, s2, v4
	v_add_nc_u16 v11, s2, v7
	;; [unrolled: 1-line block ×3, first 2 shown]
	v_cmp_gt_u32_e64 s1, s14, v7
	v_cndmask_b32_e64 v25, v6, v1, s4
	v_add_nc_u16 v1, s2, v8
	v_and_b32_e32 v6, 0xffff, v3
	v_perm_b32 v3, v11, v3, 0x5040100
	v_cmp_gt_u32_e64 s2, s14, v4
	v_cmp_gt_u32_e64 s15, s14, v10
	v_and_b32_e32 v4, 0xffff, v1
	v_perm_b32 v1, v2, v1, 0x5040100
	v_cndmask_b32_e64 v29, v6, v3, s1
	v_cmp_gt_u32_e64 s0, s14, v8
	v_cmp_gt_u32_e64 s14, s14, v0
	s_cselect_b32 s24, -1, 0
	v_cndmask_b32_e64 v33, v4, v1, s15
                                        ; implicit-def: $vgpr1_vgpr2
	s_delay_alu instid0(VALU_DEP_2)
	s_and_saveexec_b32 s25, s14
	s_cbranch_execz .LBB136_73
; %bb.69:
	v_mov_b32_e32 v1, 0
	v_mov_b32_e32 v2, 0
	s_and_not1_b32 vcc_lo, exec_lo, s24
	s_cbranch_vccnz .LBB136_73
; %bb.70:
	v_dual_mov_b32 v3, s20 :: v_dual_mov_b32 v4, s21
	s_mov_b32 s26, 0
	.p2align	6
.LBB136_71:                             ; =>This Inner Loop Header: Depth=1
	s_delay_alu instid0(VALU_DEP_1) | instskip(NEXT) | instid1(VALU_DEP_2)
	v_sub_co_u32 v6, vcc_lo, v3, v1
	v_sub_co_ci_u32_e32 v7, vcc_lo, v4, v2, vcc_lo
	s_delay_alu instid0(VALU_DEP_1) | instskip(SKIP_1) | instid1(VALU_DEP_2)
	v_lshrrev_b64 v[10:11], 1, v[6:7]
	v_lshrrev_b64 v[6:7], 6, v[6:7]
	v_add_co_u32 v8, vcc_lo, v10, v1
	s_delay_alu instid0(VALU_DEP_3) | instskip(NEXT) | instid1(VALU_DEP_2)
	v_add_co_ci_u32_e32 v10, vcc_lo, v11, v2, vcc_lo
	v_add_co_u32 v6, vcc_lo, v8, v6
	s_delay_alu instid0(VALU_DEP_2) | instskip(NEXT) | instid1(VALU_DEP_1)
	v_add_co_ci_u32_e32 v7, vcc_lo, v10, v7, vcc_lo
	v_lshlrev_b64 v[10:11], 1, v[6:7]
	s_delay_alu instid0(VALU_DEP_1) | instskip(NEXT) | instid1(VALU_DEP_2)
	v_add_co_u32 v10, vcc_lo, s18, v10
	v_add_co_ci_u32_e32 v11, vcc_lo, s19, v11, vcc_lo
	global_load_u16 v8, v[10:11], off
	v_add_co_u32 v10, vcc_lo, v6, 1
	v_add_co_ci_u32_e32 v11, vcc_lo, 0, v7, vcc_lo
	s_waitcnt vmcnt(0)
	v_cmp_gt_u16_e32 vcc_lo, v8, v5
	v_dual_cndmask_b32 v4, v4, v7 :: v_dual_cndmask_b32 v3, v3, v6
	s_delay_alu instid0(VALU_DEP_3) | instskip(NEXT) | instid1(VALU_DEP_1)
	v_dual_cndmask_b32 v2, v11, v2 :: v_dual_cndmask_b32 v1, v10, v1
	v_cmp_ge_u64_e32 vcc_lo, v[1:2], v[3:4]
	s_or_b32 s26, vcc_lo, s26
	s_delay_alu instid0(SALU_CYCLE_1)
	s_and_not1_b32 exec_lo, exec_lo, s26
	s_cbranch_execnz .LBB136_71
; %bb.72:
	s_or_b32 exec_lo, exec_lo, s26
.LBB136_73:
	s_delay_alu instid0(SALU_CYCLE_1)
	s_or_b32 exec_lo, exec_lo, s25
                                        ; implicit-def: $vgpr3_vgpr4
	s_and_saveexec_b32 s25, s13
	s_cbranch_execz .LBB136_78
; %bb.74:
	s_and_not1_b32 vcc_lo, exec_lo, s24
	s_cbranch_vccnz .LBB136_83
; %bb.75:
	v_mov_b32_e32 v3, 0
	v_lshrrev_b32_e32 v7, 16, v5
	v_dual_mov_b32 v4, 0 :: v_dual_mov_b32 v5, s20
	v_mov_b32_e32 v6, s21
	s_mov_b32 s26, 0
	.p2align	6
.LBB136_76:                             ; =>This Inner Loop Header: Depth=1
	s_delay_alu instid0(VALU_DEP_2) | instskip(NEXT) | instid1(VALU_DEP_2)
	v_sub_co_u32 v10, vcc_lo, v5, v3
	v_sub_co_ci_u32_e32 v11, vcc_lo, v6, v4, vcc_lo
	s_delay_alu instid0(VALU_DEP_1) | instskip(SKIP_1) | instid1(VALU_DEP_2)
	v_lshrrev_b64 v[14:15], 1, v[10:11]
	v_lshrrev_b64 v[10:11], 6, v[10:11]
	v_add_co_u32 v8, vcc_lo, v14, v3
	s_delay_alu instid0(VALU_DEP_3) | instskip(NEXT) | instid1(VALU_DEP_2)
	v_add_co_ci_u32_e32 v12, vcc_lo, v15, v4, vcc_lo
	v_add_co_u32 v10, vcc_lo, v8, v10
	s_delay_alu instid0(VALU_DEP_2) | instskip(NEXT) | instid1(VALU_DEP_1)
	v_add_co_ci_u32_e32 v11, vcc_lo, v12, v11, vcc_lo
	v_lshlrev_b64 v[14:15], 1, v[10:11]
	s_delay_alu instid0(VALU_DEP_1) | instskip(NEXT) | instid1(VALU_DEP_2)
	v_add_co_u32 v14, vcc_lo, s18, v14
	v_add_co_ci_u32_e32 v15, vcc_lo, s19, v15, vcc_lo
	v_add_co_u32 v12, vcc_lo, v10, 1
	global_load_u16 v8, v[14:15], off
	v_add_co_ci_u32_e32 v14, vcc_lo, 0, v11, vcc_lo
	s_waitcnt vmcnt(0)
	v_cmp_gt_u16_e32 vcc_lo, v8, v7
	v_dual_cndmask_b32 v6, v6, v11 :: v_dual_cndmask_b32 v5, v5, v10
	s_delay_alu instid0(VALU_DEP_3) | instskip(NEXT) | instid1(VALU_DEP_1)
	v_dual_cndmask_b32 v4, v14, v4 :: v_dual_cndmask_b32 v3, v12, v3
	v_cmp_ge_u64_e32 vcc_lo, v[3:4], v[5:6]
	s_or_b32 s26, vcc_lo, s26
	s_delay_alu instid0(SALU_CYCLE_1)
	s_and_not1_b32 exec_lo, exec_lo, s26
	s_cbranch_execnz .LBB136_76
; %bb.77:
	s_or_b32 exec_lo, exec_lo, s26
.LBB136_78:
	s_delay_alu instid0(SALU_CYCLE_1)
	s_or_b32 exec_lo, exec_lo, s25
                                        ; implicit-def: $vgpr5_vgpr6
	s_and_saveexec_b32 s25, s12
	s_cbranch_execz .LBB136_84
.LBB136_79:
	v_mov_b32_e32 v5, 0
	v_mov_b32_e32 v6, 0
	s_and_not1_b32 vcc_lo, exec_lo, s24
	s_cbranch_vccnz .LBB136_84
; %bb.80:
	v_dual_mov_b32 v7, s20 :: v_dual_mov_b32 v8, s21
	s_mov_b32 s26, 0
	.p2align	6
.LBB136_81:                             ; =>This Inner Loop Header: Depth=1
	s_delay_alu instid0(VALU_DEP_1) | instskip(NEXT) | instid1(VALU_DEP_2)
	v_sub_co_u32 v10, vcc_lo, v7, v5
	v_sub_co_ci_u32_e32 v11, vcc_lo, v8, v6, vcc_lo
	s_delay_alu instid0(VALU_DEP_1) | instskip(SKIP_1) | instid1(VALU_DEP_2)
	v_lshrrev_b64 v[14:15], 1, v[10:11]
	v_lshrrev_b64 v[10:11], 6, v[10:11]
	v_add_co_u32 v12, vcc_lo, v14, v5
	s_delay_alu instid0(VALU_DEP_3) | instskip(NEXT) | instid1(VALU_DEP_2)
	v_add_co_ci_u32_e32 v14, vcc_lo, v15, v6, vcc_lo
	v_add_co_u32 v10, vcc_lo, v12, v10
	s_delay_alu instid0(VALU_DEP_2) | instskip(NEXT) | instid1(VALU_DEP_1)
	v_add_co_ci_u32_e32 v11, vcc_lo, v14, v11, vcc_lo
	v_lshlrev_b64 v[14:15], 1, v[10:11]
	s_delay_alu instid0(VALU_DEP_1) | instskip(NEXT) | instid1(VALU_DEP_2)
	v_add_co_u32 v14, vcc_lo, s18, v14
	v_add_co_ci_u32_e32 v15, vcc_lo, s19, v15, vcc_lo
	global_load_u16 v12, v[14:15], off
	v_add_co_u32 v14, vcc_lo, v10, 1
	v_add_co_ci_u32_e32 v15, vcc_lo, 0, v11, vcc_lo
	s_waitcnt vmcnt(0)
	v_cmp_gt_u16_e32 vcc_lo, v12, v9
	v_dual_cndmask_b32 v8, v8, v11 :: v_dual_cndmask_b32 v7, v7, v10
	s_delay_alu instid0(VALU_DEP_3) | instskip(NEXT) | instid1(VALU_DEP_1)
	v_dual_cndmask_b32 v6, v15, v6 :: v_dual_cndmask_b32 v5, v14, v5
	v_cmp_ge_u64_e32 vcc_lo, v[5:6], v[7:8]
	s_or_b32 s26, vcc_lo, s26
	s_delay_alu instid0(SALU_CYCLE_1)
	s_and_not1_b32 exec_lo, exec_lo, s26
	s_cbranch_execnz .LBB136_81
; %bb.82:
	s_or_b32 exec_lo, exec_lo, s26
	s_branch .LBB136_84
.LBB136_83:
	v_mov_b32_e32 v3, 0
	v_mov_b32_e32 v4, 0
	s_or_b32 exec_lo, exec_lo, s25
                                        ; implicit-def: $vgpr5_vgpr6
	s_and_saveexec_b32 s25, s12
	s_cbranch_execnz .LBB136_79
.LBB136_84:
	s_or_b32 exec_lo, exec_lo, s25
                                        ; implicit-def: $vgpr7_vgpr8
	s_and_saveexec_b32 s25, s10
	s_cbranch_execz .LBB136_89
; %bb.85:
	s_and_not1_b32 vcc_lo, exec_lo, s24
	s_cbranch_vccnz .LBB136_94
; %bb.86:
	v_mov_b32_e32 v7, 0
	v_lshrrev_b32_e32 v11, 16, v9
	v_dual_mov_b32 v8, 0 :: v_dual_mov_b32 v9, s20
	v_mov_b32_e32 v10, s21
	s_mov_b32 s26, 0
	.p2align	6
.LBB136_87:                             ; =>This Inner Loop Header: Depth=1
	s_delay_alu instid0(VALU_DEP_2) | instskip(NEXT) | instid1(VALU_DEP_2)
	v_sub_co_u32 v14, vcc_lo, v9, v7
	v_sub_co_ci_u32_e32 v15, vcc_lo, v10, v8, vcc_lo
	s_delay_alu instid0(VALU_DEP_1) | instskip(SKIP_1) | instid1(VALU_DEP_2)
	v_lshrrev_b64 v[18:19], 1, v[14:15]
	v_lshrrev_b64 v[14:15], 6, v[14:15]
	v_add_co_u32 v12, vcc_lo, v18, v7
	s_delay_alu instid0(VALU_DEP_3) | instskip(NEXT) | instid1(VALU_DEP_2)
	v_add_co_ci_u32_e32 v16, vcc_lo, v19, v8, vcc_lo
	v_add_co_u32 v14, vcc_lo, v12, v14
	s_delay_alu instid0(VALU_DEP_2) | instskip(NEXT) | instid1(VALU_DEP_1)
	v_add_co_ci_u32_e32 v15, vcc_lo, v16, v15, vcc_lo
	v_lshlrev_b64 v[18:19], 1, v[14:15]
	s_delay_alu instid0(VALU_DEP_1) | instskip(NEXT) | instid1(VALU_DEP_2)
	v_add_co_u32 v18, vcc_lo, s18, v18
	v_add_co_ci_u32_e32 v19, vcc_lo, s19, v19, vcc_lo
	v_add_co_u32 v16, vcc_lo, v14, 1
	global_load_u16 v12, v[18:19], off
	v_add_co_ci_u32_e32 v18, vcc_lo, 0, v15, vcc_lo
	s_waitcnt vmcnt(0)
	v_cmp_gt_u16_e32 vcc_lo, v12, v11
	v_dual_cndmask_b32 v10, v10, v15 :: v_dual_cndmask_b32 v9, v9, v14
	s_delay_alu instid0(VALU_DEP_3) | instskip(NEXT) | instid1(VALU_DEP_1)
	v_dual_cndmask_b32 v8, v18, v8 :: v_dual_cndmask_b32 v7, v16, v7
	v_cmp_ge_u64_e32 vcc_lo, v[7:8], v[9:10]
	s_or_b32 s26, vcc_lo, s26
	s_delay_alu instid0(SALU_CYCLE_1)
	s_and_not1_b32 exec_lo, exec_lo, s26
	s_cbranch_execnz .LBB136_87
; %bb.88:
	s_or_b32 exec_lo, exec_lo, s26
.LBB136_89:
	s_delay_alu instid0(SALU_CYCLE_1)
	s_or_b32 exec_lo, exec_lo, s25
                                        ; implicit-def: $vgpr9_vgpr10
	s_and_saveexec_b32 s25, s8
	s_cbranch_execz .LBB136_95
.LBB136_90:
	v_mov_b32_e32 v9, 0
	v_mov_b32_e32 v10, 0
	s_and_not1_b32 vcc_lo, exec_lo, s24
	s_cbranch_vccnz .LBB136_95
; %bb.91:
	v_dual_mov_b32 v11, s20 :: v_dual_mov_b32 v12, s21
	s_mov_b32 s26, 0
	.p2align	6
.LBB136_92:                             ; =>This Inner Loop Header: Depth=1
	s_delay_alu instid0(VALU_DEP_1) | instskip(NEXT) | instid1(VALU_DEP_2)
	v_sub_co_u32 v14, vcc_lo, v11, v9
	v_sub_co_ci_u32_e32 v15, vcc_lo, v12, v10, vcc_lo
	s_delay_alu instid0(VALU_DEP_1) | instskip(SKIP_1) | instid1(VALU_DEP_2)
	v_lshrrev_b64 v[18:19], 1, v[14:15]
	v_lshrrev_b64 v[14:15], 6, v[14:15]
	v_add_co_u32 v16, vcc_lo, v18, v9
	s_delay_alu instid0(VALU_DEP_3) | instskip(NEXT) | instid1(VALU_DEP_2)
	v_add_co_ci_u32_e32 v18, vcc_lo, v19, v10, vcc_lo
	v_add_co_u32 v14, vcc_lo, v16, v14
	s_delay_alu instid0(VALU_DEP_2) | instskip(NEXT) | instid1(VALU_DEP_1)
	v_add_co_ci_u32_e32 v15, vcc_lo, v18, v15, vcc_lo
	v_lshlrev_b64 v[18:19], 1, v[14:15]
	s_delay_alu instid0(VALU_DEP_1) | instskip(NEXT) | instid1(VALU_DEP_2)
	v_add_co_u32 v18, vcc_lo, s18, v18
	v_add_co_ci_u32_e32 v19, vcc_lo, s19, v19, vcc_lo
	global_load_u16 v16, v[18:19], off
	v_add_co_u32 v18, vcc_lo, v14, 1
	v_add_co_ci_u32_e32 v19, vcc_lo, 0, v15, vcc_lo
	s_waitcnt vmcnt(0)
	v_cmp_gt_u16_e32 vcc_lo, v16, v13
	v_dual_cndmask_b32 v12, v12, v15 :: v_dual_cndmask_b32 v11, v11, v14
	s_delay_alu instid0(VALU_DEP_3) | instskip(NEXT) | instid1(VALU_DEP_1)
	v_dual_cndmask_b32 v10, v19, v10 :: v_dual_cndmask_b32 v9, v18, v9
	v_cmp_ge_u64_e32 vcc_lo, v[9:10], v[11:12]
	s_or_b32 s26, vcc_lo, s26
	s_delay_alu instid0(SALU_CYCLE_1)
	s_and_not1_b32 exec_lo, exec_lo, s26
	s_cbranch_execnz .LBB136_92
; %bb.93:
	s_or_b32 exec_lo, exec_lo, s26
	s_branch .LBB136_95
.LBB136_94:
	v_mov_b32_e32 v7, 0
	v_mov_b32_e32 v8, 0
	s_or_b32 exec_lo, exec_lo, s25
                                        ; implicit-def: $vgpr9_vgpr10
	s_and_saveexec_b32 s25, s8
	s_cbranch_execnz .LBB136_90
.LBB136_95:
	s_or_b32 exec_lo, exec_lo, s25
                                        ; implicit-def: $vgpr11_vgpr12
	s_and_saveexec_b32 s25, s11
	s_cbranch_execz .LBB136_100
; %bb.96:
	s_and_not1_b32 vcc_lo, exec_lo, s24
	s_cbranch_vccnz .LBB136_105
; %bb.97:
	v_mov_b32_e32 v11, 0
	v_lshrrev_b32_e32 v15, 16, v13
	v_dual_mov_b32 v12, 0 :: v_dual_mov_b32 v13, s20
	v_mov_b32_e32 v14, s21
	s_mov_b32 s26, 0
	.p2align	6
.LBB136_98:                             ; =>This Inner Loop Header: Depth=1
	s_delay_alu instid0(VALU_DEP_2) | instskip(NEXT) | instid1(VALU_DEP_2)
	v_sub_co_u32 v18, vcc_lo, v13, v11
	v_sub_co_ci_u32_e32 v19, vcc_lo, v14, v12, vcc_lo
	s_delay_alu instid0(VALU_DEP_1) | instskip(SKIP_1) | instid1(VALU_DEP_2)
	v_lshrrev_b64 v[22:23], 1, v[18:19]
	v_lshrrev_b64 v[18:19], 6, v[18:19]
	v_add_co_u32 v16, vcc_lo, v22, v11
	s_delay_alu instid0(VALU_DEP_3) | instskip(NEXT) | instid1(VALU_DEP_2)
	v_add_co_ci_u32_e32 v20, vcc_lo, v23, v12, vcc_lo
	v_add_co_u32 v18, vcc_lo, v16, v18
	s_delay_alu instid0(VALU_DEP_2) | instskip(NEXT) | instid1(VALU_DEP_1)
	v_add_co_ci_u32_e32 v19, vcc_lo, v20, v19, vcc_lo
	v_lshlrev_b64 v[22:23], 1, v[18:19]
	s_delay_alu instid0(VALU_DEP_1) | instskip(NEXT) | instid1(VALU_DEP_2)
	v_add_co_u32 v22, vcc_lo, s18, v22
	v_add_co_ci_u32_e32 v23, vcc_lo, s19, v23, vcc_lo
	v_add_co_u32 v20, vcc_lo, v18, 1
	global_load_u16 v16, v[22:23], off
	v_add_co_ci_u32_e32 v22, vcc_lo, 0, v19, vcc_lo
	s_waitcnt vmcnt(0)
	v_cmp_gt_u16_e32 vcc_lo, v16, v15
	v_dual_cndmask_b32 v14, v14, v19 :: v_dual_cndmask_b32 v13, v13, v18
	s_delay_alu instid0(VALU_DEP_3) | instskip(NEXT) | instid1(VALU_DEP_1)
	v_dual_cndmask_b32 v12, v22, v12 :: v_dual_cndmask_b32 v11, v20, v11
	v_cmp_ge_u64_e32 vcc_lo, v[11:12], v[13:14]
	s_or_b32 s26, vcc_lo, s26
	s_delay_alu instid0(SALU_CYCLE_1)
	s_and_not1_b32 exec_lo, exec_lo, s26
	s_cbranch_execnz .LBB136_98
; %bb.99:
	s_or_b32 exec_lo, exec_lo, s26
.LBB136_100:
	s_delay_alu instid0(SALU_CYCLE_1)
	s_or_b32 exec_lo, exec_lo, s25
                                        ; implicit-def: $vgpr13_vgpr14
	s_and_saveexec_b32 s25, s9
	s_cbranch_execz .LBB136_106
.LBB136_101:
	v_mov_b32_e32 v13, 0
	v_mov_b32_e32 v14, 0
	s_and_not1_b32 vcc_lo, exec_lo, s24
	s_cbranch_vccnz .LBB136_106
; %bb.102:
	v_dual_mov_b32 v15, s20 :: v_dual_mov_b32 v16, s21
	s_mov_b32 s26, 0
	.p2align	6
.LBB136_103:                            ; =>This Inner Loop Header: Depth=1
	s_delay_alu instid0(VALU_DEP_1) | instskip(NEXT) | instid1(VALU_DEP_2)
	v_sub_co_u32 v18, vcc_lo, v15, v13
	v_sub_co_ci_u32_e32 v19, vcc_lo, v16, v14, vcc_lo
	s_delay_alu instid0(VALU_DEP_1) | instskip(SKIP_1) | instid1(VALU_DEP_2)
	v_lshrrev_b64 v[22:23], 1, v[18:19]
	v_lshrrev_b64 v[18:19], 6, v[18:19]
	v_add_co_u32 v20, vcc_lo, v22, v13
	s_delay_alu instid0(VALU_DEP_3) | instskip(NEXT) | instid1(VALU_DEP_2)
	v_add_co_ci_u32_e32 v22, vcc_lo, v23, v14, vcc_lo
	v_add_co_u32 v18, vcc_lo, v20, v18
	s_delay_alu instid0(VALU_DEP_2) | instskip(NEXT) | instid1(VALU_DEP_1)
	v_add_co_ci_u32_e32 v19, vcc_lo, v22, v19, vcc_lo
	v_lshlrev_b64 v[22:23], 1, v[18:19]
	s_delay_alu instid0(VALU_DEP_1) | instskip(NEXT) | instid1(VALU_DEP_2)
	v_add_co_u32 v22, vcc_lo, s18, v22
	v_add_co_ci_u32_e32 v23, vcc_lo, s19, v23, vcc_lo
	global_load_u16 v20, v[22:23], off
	v_add_co_u32 v22, vcc_lo, v18, 1
	v_add_co_ci_u32_e32 v23, vcc_lo, 0, v19, vcc_lo
	s_waitcnt vmcnt(0)
	v_cmp_gt_u16_e32 vcc_lo, v20, v17
	v_dual_cndmask_b32 v16, v16, v19 :: v_dual_cndmask_b32 v15, v15, v18
	s_delay_alu instid0(VALU_DEP_3) | instskip(NEXT) | instid1(VALU_DEP_1)
	v_dual_cndmask_b32 v14, v23, v14 :: v_dual_cndmask_b32 v13, v22, v13
	v_cmp_ge_u64_e32 vcc_lo, v[13:14], v[15:16]
	s_or_b32 s26, vcc_lo, s26
	s_delay_alu instid0(SALU_CYCLE_1)
	s_and_not1_b32 exec_lo, exec_lo, s26
	s_cbranch_execnz .LBB136_103
; %bb.104:
	s_or_b32 exec_lo, exec_lo, s26
	s_branch .LBB136_106
.LBB136_105:
	v_mov_b32_e32 v11, 0
	v_mov_b32_e32 v12, 0
	s_or_b32 exec_lo, exec_lo, s25
                                        ; implicit-def: $vgpr13_vgpr14
	s_and_saveexec_b32 s25, s9
	s_cbranch_execnz .LBB136_101
.LBB136_106:
	s_or_b32 exec_lo, exec_lo, s25
                                        ; implicit-def: $vgpr15_vgpr16
	s_and_saveexec_b32 s25, s7
	s_cbranch_execz .LBB136_111
; %bb.107:
	s_and_not1_b32 vcc_lo, exec_lo, s24
	s_cbranch_vccnz .LBB136_116
; %bb.108:
	v_mov_b32_e32 v15, 0
	v_lshrrev_b32_e32 v19, 16, v17
	v_dual_mov_b32 v16, 0 :: v_dual_mov_b32 v17, s20
	v_mov_b32_e32 v18, s21
	s_mov_b32 s26, 0
	.p2align	6
.LBB136_109:                            ; =>This Inner Loop Header: Depth=1
	s_delay_alu instid0(VALU_DEP_2) | instskip(NEXT) | instid1(VALU_DEP_2)
	v_sub_co_u32 v22, vcc_lo, v17, v15
	v_sub_co_ci_u32_e32 v23, vcc_lo, v18, v16, vcc_lo
	s_delay_alu instid0(VALU_DEP_1) | instskip(SKIP_1) | instid1(VALU_DEP_2)
	v_lshrrev_b64 v[26:27], 1, v[22:23]
	v_lshrrev_b64 v[22:23], 6, v[22:23]
	v_add_co_u32 v20, vcc_lo, v26, v15
	s_delay_alu instid0(VALU_DEP_3) | instskip(NEXT) | instid1(VALU_DEP_2)
	v_add_co_ci_u32_e32 v24, vcc_lo, v27, v16, vcc_lo
	v_add_co_u32 v22, vcc_lo, v20, v22
	s_delay_alu instid0(VALU_DEP_2) | instskip(NEXT) | instid1(VALU_DEP_1)
	v_add_co_ci_u32_e32 v23, vcc_lo, v24, v23, vcc_lo
	v_lshlrev_b64 v[26:27], 1, v[22:23]
	s_delay_alu instid0(VALU_DEP_1) | instskip(NEXT) | instid1(VALU_DEP_2)
	v_add_co_u32 v26, vcc_lo, s18, v26
	v_add_co_ci_u32_e32 v27, vcc_lo, s19, v27, vcc_lo
	v_add_co_u32 v24, vcc_lo, v22, 1
	global_load_u16 v20, v[26:27], off
	v_add_co_ci_u32_e32 v26, vcc_lo, 0, v23, vcc_lo
	s_waitcnt vmcnt(0)
	v_cmp_gt_u16_e32 vcc_lo, v20, v19
	v_dual_cndmask_b32 v18, v18, v23 :: v_dual_cndmask_b32 v17, v17, v22
	s_delay_alu instid0(VALU_DEP_3) | instskip(NEXT) | instid1(VALU_DEP_1)
	v_dual_cndmask_b32 v16, v26, v16 :: v_dual_cndmask_b32 v15, v24, v15
	v_cmp_ge_u64_e32 vcc_lo, v[15:16], v[17:18]
	s_or_b32 s26, vcc_lo, s26
	s_delay_alu instid0(SALU_CYCLE_1)
	s_and_not1_b32 exec_lo, exec_lo, s26
	s_cbranch_execnz .LBB136_109
; %bb.110:
	s_or_b32 exec_lo, exec_lo, s26
.LBB136_111:
	s_delay_alu instid0(SALU_CYCLE_1)
	s_or_b32 exec_lo, exec_lo, s25
                                        ; implicit-def: $vgpr17_vgpr18
	s_and_saveexec_b32 s25, s6
	s_cbranch_execz .LBB136_117
.LBB136_112:
	v_mov_b32_e32 v17, 0
	v_mov_b32_e32 v18, 0
	s_and_not1_b32 vcc_lo, exec_lo, s24
	s_cbranch_vccnz .LBB136_117
; %bb.113:
	v_dual_mov_b32 v19, s20 :: v_dual_mov_b32 v20, s21
	s_mov_b32 s26, 0
	.p2align	6
.LBB136_114:                            ; =>This Inner Loop Header: Depth=1
	s_delay_alu instid0(VALU_DEP_1) | instskip(NEXT) | instid1(VALU_DEP_2)
	v_sub_co_u32 v22, vcc_lo, v19, v17
	v_sub_co_ci_u32_e32 v23, vcc_lo, v20, v18, vcc_lo
	s_delay_alu instid0(VALU_DEP_1) | instskip(SKIP_1) | instid1(VALU_DEP_2)
	v_lshrrev_b64 v[26:27], 1, v[22:23]
	v_lshrrev_b64 v[22:23], 6, v[22:23]
	v_add_co_u32 v24, vcc_lo, v26, v17
	s_delay_alu instid0(VALU_DEP_3) | instskip(NEXT) | instid1(VALU_DEP_2)
	v_add_co_ci_u32_e32 v26, vcc_lo, v27, v18, vcc_lo
	v_add_co_u32 v22, vcc_lo, v24, v22
	s_delay_alu instid0(VALU_DEP_2) | instskip(NEXT) | instid1(VALU_DEP_1)
	v_add_co_ci_u32_e32 v23, vcc_lo, v26, v23, vcc_lo
	v_lshlrev_b64 v[26:27], 1, v[22:23]
	s_delay_alu instid0(VALU_DEP_1) | instskip(NEXT) | instid1(VALU_DEP_2)
	v_add_co_u32 v26, vcc_lo, s18, v26
	v_add_co_ci_u32_e32 v27, vcc_lo, s19, v27, vcc_lo
	global_load_u16 v24, v[26:27], off
	v_add_co_u32 v26, vcc_lo, v22, 1
	v_add_co_ci_u32_e32 v27, vcc_lo, 0, v23, vcc_lo
	s_waitcnt vmcnt(0)
	v_cmp_gt_u16_e32 vcc_lo, v24, v21
	v_dual_cndmask_b32 v20, v20, v23 :: v_dual_cndmask_b32 v19, v19, v22
	s_delay_alu instid0(VALU_DEP_3) | instskip(NEXT) | instid1(VALU_DEP_1)
	v_dual_cndmask_b32 v18, v27, v18 :: v_dual_cndmask_b32 v17, v26, v17
	v_cmp_ge_u64_e32 vcc_lo, v[17:18], v[19:20]
	s_or_b32 s26, vcc_lo, s26
	s_delay_alu instid0(SALU_CYCLE_1)
	s_and_not1_b32 exec_lo, exec_lo, s26
	s_cbranch_execnz .LBB136_114
; %bb.115:
	s_or_b32 exec_lo, exec_lo, s26
	s_branch .LBB136_117
.LBB136_116:
	v_mov_b32_e32 v15, 0
	v_mov_b32_e32 v16, 0
	s_or_b32 exec_lo, exec_lo, s25
                                        ; implicit-def: $vgpr17_vgpr18
	s_and_saveexec_b32 s25, s6
	s_cbranch_execnz .LBB136_112
.LBB136_117:
	s_or_b32 exec_lo, exec_lo, s25
                                        ; implicit-def: $vgpr19_vgpr20
	s_and_saveexec_b32 s25, s5
	s_cbranch_execz .LBB136_122
; %bb.118:
	s_and_not1_b32 vcc_lo, exec_lo, s24
	s_cbranch_vccnz .LBB136_127
; %bb.119:
	v_lshrrev_b32_e32 v23, 16, v21
	v_dual_mov_b32 v19, 0 :: v_dual_mov_b32 v22, s21
	v_dual_mov_b32 v20, 0 :: v_dual_mov_b32 v21, s20
	s_mov_b32 s26, 0
	.p2align	6
.LBB136_120:                            ; =>This Inner Loop Header: Depth=1
	s_delay_alu instid0(VALU_DEP_1) | instskip(NEXT) | instid1(VALU_DEP_2)
	v_sub_co_u32 v26, vcc_lo, v21, v19
	v_sub_co_ci_u32_e32 v27, vcc_lo, v22, v20, vcc_lo
	s_delay_alu instid0(VALU_DEP_1) | instskip(SKIP_1) | instid1(VALU_DEP_2)
	v_lshrrev_b64 v[30:31], 1, v[26:27]
	v_lshrrev_b64 v[26:27], 6, v[26:27]
	v_add_co_u32 v24, vcc_lo, v30, v19
	s_delay_alu instid0(VALU_DEP_3) | instskip(NEXT) | instid1(VALU_DEP_2)
	v_add_co_ci_u32_e32 v28, vcc_lo, v31, v20, vcc_lo
	v_add_co_u32 v26, vcc_lo, v24, v26
	s_delay_alu instid0(VALU_DEP_2) | instskip(NEXT) | instid1(VALU_DEP_1)
	v_add_co_ci_u32_e32 v27, vcc_lo, v28, v27, vcc_lo
	v_lshlrev_b64 v[30:31], 1, v[26:27]
	s_delay_alu instid0(VALU_DEP_1) | instskip(NEXT) | instid1(VALU_DEP_2)
	v_add_co_u32 v30, vcc_lo, s18, v30
	v_add_co_ci_u32_e32 v31, vcc_lo, s19, v31, vcc_lo
	v_add_co_u32 v28, vcc_lo, v26, 1
	global_load_u16 v24, v[30:31], off
	v_add_co_ci_u32_e32 v30, vcc_lo, 0, v27, vcc_lo
	s_waitcnt vmcnt(0)
	v_cmp_gt_u16_e32 vcc_lo, v24, v23
	v_dual_cndmask_b32 v22, v22, v27 :: v_dual_cndmask_b32 v21, v21, v26
	s_delay_alu instid0(VALU_DEP_3) | instskip(NEXT) | instid1(VALU_DEP_1)
	v_dual_cndmask_b32 v20, v30, v20 :: v_dual_cndmask_b32 v19, v28, v19
	v_cmp_ge_u64_e32 vcc_lo, v[19:20], v[21:22]
	s_or_b32 s26, vcc_lo, s26
	s_delay_alu instid0(SALU_CYCLE_1)
	s_and_not1_b32 exec_lo, exec_lo, s26
	s_cbranch_execnz .LBB136_120
; %bb.121:
	s_or_b32 exec_lo, exec_lo, s26
.LBB136_122:
	s_delay_alu instid0(SALU_CYCLE_1)
	s_or_b32 exec_lo, exec_lo, s25
                                        ; implicit-def: $vgpr21_vgpr22
	s_and_saveexec_b32 s25, s3
	s_cbranch_execz .LBB136_128
.LBB136_123:
	v_mov_b32_e32 v21, 0
	v_mov_b32_e32 v22, 0
	s_and_not1_b32 vcc_lo, exec_lo, s24
	s_cbranch_vccnz .LBB136_128
; %bb.124:
	v_dual_mov_b32 v24, s21 :: v_dual_mov_b32 v23, s20
	s_mov_b32 s26, 0
	.p2align	6
.LBB136_125:                            ; =>This Inner Loop Header: Depth=1
	s_delay_alu instid0(VALU_DEP_1) | instskip(NEXT) | instid1(VALU_DEP_2)
	v_sub_co_u32 v26, vcc_lo, v23, v21
	v_sub_co_ci_u32_e32 v27, vcc_lo, v24, v22, vcc_lo
	s_delay_alu instid0(VALU_DEP_1) | instskip(SKIP_1) | instid1(VALU_DEP_2)
	v_lshrrev_b64 v[30:31], 1, v[26:27]
	v_lshrrev_b64 v[26:27], 6, v[26:27]
	v_add_co_u32 v28, vcc_lo, v30, v21
	s_delay_alu instid0(VALU_DEP_3) | instskip(NEXT) | instid1(VALU_DEP_2)
	v_add_co_ci_u32_e32 v30, vcc_lo, v31, v22, vcc_lo
	v_add_co_u32 v26, vcc_lo, v28, v26
	s_delay_alu instid0(VALU_DEP_2) | instskip(NEXT) | instid1(VALU_DEP_1)
	v_add_co_ci_u32_e32 v27, vcc_lo, v30, v27, vcc_lo
	v_lshlrev_b64 v[30:31], 1, v[26:27]
	s_delay_alu instid0(VALU_DEP_1) | instskip(NEXT) | instid1(VALU_DEP_2)
	v_add_co_u32 v30, vcc_lo, s18, v30
	v_add_co_ci_u32_e32 v31, vcc_lo, s19, v31, vcc_lo
	global_load_u16 v28, v[30:31], off
	v_add_co_u32 v30, vcc_lo, v26, 1
	v_add_co_ci_u32_e32 v31, vcc_lo, 0, v27, vcc_lo
	s_waitcnt vmcnt(0)
	v_cmp_gt_u16_e32 vcc_lo, v28, v25
	v_dual_cndmask_b32 v24, v24, v27 :: v_dual_cndmask_b32 v23, v23, v26
	s_delay_alu instid0(VALU_DEP_3) | instskip(NEXT) | instid1(VALU_DEP_1)
	v_dual_cndmask_b32 v22, v31, v22 :: v_dual_cndmask_b32 v21, v30, v21
	v_cmp_ge_u64_e32 vcc_lo, v[21:22], v[23:24]
	s_or_b32 s26, vcc_lo, s26
	s_delay_alu instid0(SALU_CYCLE_1)
	s_and_not1_b32 exec_lo, exec_lo, s26
	s_cbranch_execnz .LBB136_125
; %bb.126:
	s_or_b32 exec_lo, exec_lo, s26
	s_branch .LBB136_128
.LBB136_127:
	v_mov_b32_e32 v19, 0
	v_mov_b32_e32 v20, 0
	s_or_b32 exec_lo, exec_lo, s25
                                        ; implicit-def: $vgpr21_vgpr22
	s_and_saveexec_b32 s25, s3
	s_cbranch_execnz .LBB136_123
.LBB136_128:
	s_or_b32 exec_lo, exec_lo, s25
                                        ; implicit-def: $vgpr23_vgpr24
	s_and_saveexec_b32 s25, s4
	s_cbranch_execz .LBB136_133
; %bb.129:
	s_and_not1_b32 vcc_lo, exec_lo, s24
	s_cbranch_vccnz .LBB136_138
; %bb.130:
	v_lshrrev_b32_e32 v27, 16, v25
	v_dual_mov_b32 v23, 0 :: v_dual_mov_b32 v26, s21
	v_dual_mov_b32 v24, 0 :: v_dual_mov_b32 v25, s20
	s_mov_b32 s26, 0
	.p2align	6
.LBB136_131:                            ; =>This Inner Loop Header: Depth=1
	s_delay_alu instid0(VALU_DEP_1) | instskip(NEXT) | instid1(VALU_DEP_2)
	v_sub_co_u32 v30, vcc_lo, v25, v23
	v_sub_co_ci_u32_e32 v31, vcc_lo, v26, v24, vcc_lo
	s_delay_alu instid0(VALU_DEP_1) | instskip(SKIP_1) | instid1(VALU_DEP_2)
	v_lshrrev_b64 v[34:35], 1, v[30:31]
	v_lshrrev_b64 v[30:31], 6, v[30:31]
	v_add_co_u32 v28, vcc_lo, v34, v23
	s_delay_alu instid0(VALU_DEP_3) | instskip(NEXT) | instid1(VALU_DEP_2)
	v_add_co_ci_u32_e32 v32, vcc_lo, v35, v24, vcc_lo
	v_add_co_u32 v30, vcc_lo, v28, v30
	s_delay_alu instid0(VALU_DEP_2) | instskip(NEXT) | instid1(VALU_DEP_1)
	v_add_co_ci_u32_e32 v31, vcc_lo, v32, v31, vcc_lo
	v_lshlrev_b64 v[34:35], 1, v[30:31]
	s_delay_alu instid0(VALU_DEP_1) | instskip(NEXT) | instid1(VALU_DEP_2)
	v_add_co_u32 v34, vcc_lo, s18, v34
	v_add_co_ci_u32_e32 v35, vcc_lo, s19, v35, vcc_lo
	v_add_co_u32 v32, vcc_lo, v30, 1
	global_load_u16 v28, v[34:35], off
	v_add_co_ci_u32_e32 v34, vcc_lo, 0, v31, vcc_lo
	s_waitcnt vmcnt(0)
	v_cmp_gt_u16_e32 vcc_lo, v28, v27
	v_dual_cndmask_b32 v26, v26, v31 :: v_dual_cndmask_b32 v25, v25, v30
	s_delay_alu instid0(VALU_DEP_3) | instskip(NEXT) | instid1(VALU_DEP_1)
	v_dual_cndmask_b32 v24, v34, v24 :: v_dual_cndmask_b32 v23, v32, v23
	v_cmp_ge_u64_e32 vcc_lo, v[23:24], v[25:26]
	s_or_b32 s26, vcc_lo, s26
	s_delay_alu instid0(SALU_CYCLE_1)
	s_and_not1_b32 exec_lo, exec_lo, s26
	s_cbranch_execnz .LBB136_131
; %bb.132:
	s_or_b32 exec_lo, exec_lo, s26
.LBB136_133:
	s_delay_alu instid0(SALU_CYCLE_1)
	s_or_b32 exec_lo, exec_lo, s25
                                        ; implicit-def: $vgpr25_vgpr26
	s_and_saveexec_b32 s25, s2
	s_cbranch_execz .LBB136_139
.LBB136_134:
	v_mov_b32_e32 v25, 0
	v_mov_b32_e32 v26, 0
	s_and_not1_b32 vcc_lo, exec_lo, s24
	s_cbranch_vccnz .LBB136_139
; %bb.135:
	v_dual_mov_b32 v28, s21 :: v_dual_mov_b32 v27, s20
	s_mov_b32 s26, 0
	.p2align	6
.LBB136_136:                            ; =>This Inner Loop Header: Depth=1
	s_delay_alu instid0(VALU_DEP_1) | instskip(NEXT) | instid1(VALU_DEP_2)
	v_sub_co_u32 v30, vcc_lo, v27, v25
	v_sub_co_ci_u32_e32 v31, vcc_lo, v28, v26, vcc_lo
	s_delay_alu instid0(VALU_DEP_1) | instskip(SKIP_1) | instid1(VALU_DEP_2)
	v_lshrrev_b64 v[34:35], 1, v[30:31]
	v_lshrrev_b64 v[30:31], 6, v[30:31]
	v_add_co_u32 v32, vcc_lo, v34, v25
	s_delay_alu instid0(VALU_DEP_3) | instskip(NEXT) | instid1(VALU_DEP_2)
	v_add_co_ci_u32_e32 v34, vcc_lo, v35, v26, vcc_lo
	v_add_co_u32 v30, vcc_lo, v32, v30
	s_delay_alu instid0(VALU_DEP_2) | instskip(NEXT) | instid1(VALU_DEP_1)
	v_add_co_ci_u32_e32 v31, vcc_lo, v34, v31, vcc_lo
	v_lshlrev_b64 v[34:35], 1, v[30:31]
	s_delay_alu instid0(VALU_DEP_1) | instskip(NEXT) | instid1(VALU_DEP_2)
	v_add_co_u32 v34, vcc_lo, s18, v34
	v_add_co_ci_u32_e32 v35, vcc_lo, s19, v35, vcc_lo
	global_load_u16 v32, v[34:35], off
	v_add_co_u32 v34, vcc_lo, v30, 1
	v_add_co_ci_u32_e32 v35, vcc_lo, 0, v31, vcc_lo
	s_waitcnt vmcnt(0)
	v_cmp_gt_u16_e32 vcc_lo, v32, v29
	v_dual_cndmask_b32 v28, v28, v31 :: v_dual_cndmask_b32 v27, v27, v30
	s_delay_alu instid0(VALU_DEP_3) | instskip(NEXT) | instid1(VALU_DEP_1)
	v_dual_cndmask_b32 v26, v35, v26 :: v_dual_cndmask_b32 v25, v34, v25
	v_cmp_ge_u64_e32 vcc_lo, v[25:26], v[27:28]
	s_or_b32 s26, vcc_lo, s26
	s_delay_alu instid0(SALU_CYCLE_1)
	s_and_not1_b32 exec_lo, exec_lo, s26
	s_cbranch_execnz .LBB136_136
; %bb.137:
	s_or_b32 exec_lo, exec_lo, s26
	s_branch .LBB136_139
.LBB136_138:
	v_mov_b32_e32 v23, 0
	v_mov_b32_e32 v24, 0
	s_or_b32 exec_lo, exec_lo, s25
                                        ; implicit-def: $vgpr25_vgpr26
	s_and_saveexec_b32 s25, s2
	s_cbranch_execnz .LBB136_134
.LBB136_139:
	s_or_b32 exec_lo, exec_lo, s25
                                        ; implicit-def: $vgpr27_vgpr28
	s_and_saveexec_b32 s25, s1
	s_cbranch_execz .LBB136_144
; %bb.140:
	s_and_not1_b32 vcc_lo, exec_lo, s24
	s_cbranch_vccnz .LBB136_149
; %bb.141:
	v_lshrrev_b32_e32 v31, 16, v29
	v_dual_mov_b32 v27, 0 :: v_dual_mov_b32 v30, s21
	v_dual_mov_b32 v28, 0 :: v_dual_mov_b32 v29, s20
	s_mov_b32 s26, 0
	.p2align	6
.LBB136_142:                            ; =>This Inner Loop Header: Depth=1
	s_delay_alu instid0(VALU_DEP_1) | instskip(NEXT) | instid1(VALU_DEP_2)
	v_sub_co_u32 v34, vcc_lo, v29, v27
	v_sub_co_ci_u32_e32 v35, vcc_lo, v30, v28, vcc_lo
	s_delay_alu instid0(VALU_DEP_1) | instskip(SKIP_1) | instid1(VALU_DEP_2)
	v_lshrrev_b64 v[36:37], 1, v[34:35]
	v_lshrrev_b64 v[34:35], 6, v[34:35]
	v_add_co_u32 v32, vcc_lo, v36, v27
	s_delay_alu instid0(VALU_DEP_3) | instskip(NEXT) | instid1(VALU_DEP_2)
	v_add_co_ci_u32_e32 v36, vcc_lo, v37, v28, vcc_lo
	v_add_co_u32 v34, vcc_lo, v32, v34
	s_delay_alu instid0(VALU_DEP_2) | instskip(NEXT) | instid1(VALU_DEP_1)
	v_add_co_ci_u32_e32 v35, vcc_lo, v36, v35, vcc_lo
	v_lshlrev_b64 v[36:37], 1, v[34:35]
	s_delay_alu instid0(VALU_DEP_1) | instskip(NEXT) | instid1(VALU_DEP_2)
	v_add_co_u32 v36, vcc_lo, s18, v36
	v_add_co_ci_u32_e32 v37, vcc_lo, s19, v37, vcc_lo
	global_load_u16 v32, v[36:37], off
	v_add_co_u32 v36, vcc_lo, v34, 1
	v_add_co_ci_u32_e32 v37, vcc_lo, 0, v35, vcc_lo
	s_waitcnt vmcnt(0)
	v_cmp_gt_u16_e32 vcc_lo, v32, v31
	v_dual_cndmask_b32 v30, v30, v35 :: v_dual_cndmask_b32 v29, v29, v34
	s_delay_alu instid0(VALU_DEP_3) | instskip(NEXT) | instid1(VALU_DEP_1)
	v_dual_cndmask_b32 v28, v37, v28 :: v_dual_cndmask_b32 v27, v36, v27
	v_cmp_ge_u64_e32 vcc_lo, v[27:28], v[29:30]
	s_or_b32 s26, vcc_lo, s26
	s_delay_alu instid0(SALU_CYCLE_1)
	s_and_not1_b32 exec_lo, exec_lo, s26
	s_cbranch_execnz .LBB136_142
; %bb.143:
	s_or_b32 exec_lo, exec_lo, s26
.LBB136_144:
	s_delay_alu instid0(SALU_CYCLE_1)
	s_or_b32 exec_lo, exec_lo, s25
                                        ; implicit-def: $vgpr31_vgpr32
	s_and_saveexec_b32 s25, s0
	s_cbranch_execz .LBB136_150
.LBB136_145:
	v_mov_b32_e32 v31, 0
	v_mov_b32_e32 v32, 0
	s_and_not1_b32 vcc_lo, exec_lo, s24
	s_cbranch_vccnz .LBB136_150
; %bb.146:
	v_dual_mov_b32 v30, s21 :: v_dual_mov_b32 v29, s20
	s_mov_b32 s26, 0
	.p2align	6
.LBB136_147:                            ; =>This Inner Loop Header: Depth=1
	s_delay_alu instid0(VALU_DEP_1) | instskip(NEXT) | instid1(VALU_DEP_2)
	v_sub_co_u32 v34, vcc_lo, v29, v31
	v_sub_co_ci_u32_e32 v35, vcc_lo, v30, v32, vcc_lo
	s_delay_alu instid0(VALU_DEP_1) | instskip(SKIP_1) | instid1(VALU_DEP_2)
	v_lshrrev_b64 v[36:37], 1, v[34:35]
	v_lshrrev_b64 v[34:35], 6, v[34:35]
	v_add_co_u32 v36, vcc_lo, v36, v31
	s_delay_alu instid0(VALU_DEP_3) | instskip(NEXT) | instid1(VALU_DEP_2)
	v_add_co_ci_u32_e32 v37, vcc_lo, v37, v32, vcc_lo
	v_add_co_u32 v34, vcc_lo, v36, v34
	s_delay_alu instid0(VALU_DEP_2) | instskip(NEXT) | instid1(VALU_DEP_1)
	v_add_co_ci_u32_e32 v35, vcc_lo, v37, v35, vcc_lo
	v_lshlrev_b64 v[36:37], 1, v[34:35]
	s_delay_alu instid0(VALU_DEP_1) | instskip(NEXT) | instid1(VALU_DEP_2)
	v_add_co_u32 v36, vcc_lo, s18, v36
	v_add_co_ci_u32_e32 v37, vcc_lo, s19, v37, vcc_lo
	global_load_u16 v36, v[36:37], off
	v_add_co_u32 v37, vcc_lo, v34, 1
	v_add_co_ci_u32_e32 v38, vcc_lo, 0, v35, vcc_lo
	s_waitcnt vmcnt(0)
	v_cmp_gt_u16_e32 vcc_lo, v36, v33
	v_dual_cndmask_b32 v30, v30, v35 :: v_dual_cndmask_b32 v29, v29, v34
	s_delay_alu instid0(VALU_DEP_3) | instskip(NEXT) | instid1(VALU_DEP_1)
	v_dual_cndmask_b32 v32, v38, v32 :: v_dual_cndmask_b32 v31, v37, v31
	v_cmp_ge_u64_e32 vcc_lo, v[31:32], v[29:30]
	s_or_b32 s26, vcc_lo, s26
	s_delay_alu instid0(SALU_CYCLE_1)
	s_and_not1_b32 exec_lo, exec_lo, s26
	s_cbranch_execnz .LBB136_147
; %bb.148:
	s_or_b32 exec_lo, exec_lo, s26
	s_branch .LBB136_150
.LBB136_149:
	v_mov_b32_e32 v27, 0
	v_mov_b32_e32 v28, 0
	s_or_b32 exec_lo, exec_lo, s25
                                        ; implicit-def: $vgpr31_vgpr32
	s_and_saveexec_b32 s25, s0
	s_cbranch_execnz .LBB136_145
.LBB136_150:
	s_or_b32 exec_lo, exec_lo, s25
                                        ; implicit-def: $vgpr29_vgpr30
	s_and_saveexec_b32 s25, s15
	s_cbranch_execz .LBB136_156
; %bb.151:
	s_and_not1_b32 vcc_lo, exec_lo, s24
	s_cbranch_vccnz .LBB136_155
; %bb.152:
	v_lshrrev_b32_e32 v35, 16, v33
	v_dual_mov_b32 v29, 0 :: v_dual_mov_b32 v34, s21
	v_dual_mov_b32 v30, 0 :: v_dual_mov_b32 v33, s20
	s_mov_b32 s20, 0
	.p2align	6
.LBB136_153:                            ; =>This Inner Loop Header: Depth=1
	s_delay_alu instid0(VALU_DEP_1) | instskip(NEXT) | instid1(VALU_DEP_2)
	v_sub_co_u32 v36, vcc_lo, v33, v29
	v_sub_co_ci_u32_e32 v37, vcc_lo, v34, v30, vcc_lo
	s_delay_alu instid0(VALU_DEP_1) | instskip(SKIP_1) | instid1(VALU_DEP_2)
	v_lshrrev_b64 v[38:39], 1, v[36:37]
	v_lshrrev_b64 v[36:37], 6, v[36:37]
	v_add_co_u32 v38, vcc_lo, v38, v29
	s_delay_alu instid0(VALU_DEP_3) | instskip(NEXT) | instid1(VALU_DEP_2)
	v_add_co_ci_u32_e32 v39, vcc_lo, v39, v30, vcc_lo
	v_add_co_u32 v36, vcc_lo, v38, v36
	s_delay_alu instid0(VALU_DEP_2) | instskip(NEXT) | instid1(VALU_DEP_1)
	v_add_co_ci_u32_e32 v37, vcc_lo, v39, v37, vcc_lo
	v_lshlrev_b64 v[38:39], 1, v[36:37]
	s_delay_alu instid0(VALU_DEP_1) | instskip(NEXT) | instid1(VALU_DEP_2)
	v_add_co_u32 v38, vcc_lo, s18, v38
	v_add_co_ci_u32_e32 v39, vcc_lo, s19, v39, vcc_lo
	global_load_u16 v38, v[38:39], off
	v_add_co_u32 v39, vcc_lo, v36, 1
	v_add_co_ci_u32_e32 v40, vcc_lo, 0, v37, vcc_lo
	s_waitcnt vmcnt(0)
	v_cmp_gt_u16_e32 vcc_lo, v38, v35
	v_dual_cndmask_b32 v34, v34, v37 :: v_dual_cndmask_b32 v33, v33, v36
	s_delay_alu instid0(VALU_DEP_3) | instskip(NEXT) | instid1(VALU_DEP_1)
	v_dual_cndmask_b32 v30, v40, v30 :: v_dual_cndmask_b32 v29, v39, v29
	v_cmp_ge_u64_e32 vcc_lo, v[29:30], v[33:34]
	s_or_b32 s20, vcc_lo, s20
	s_delay_alu instid0(SALU_CYCLE_1)
	s_and_not1_b32 exec_lo, exec_lo, s20
	s_cbranch_execnz .LBB136_153
; %bb.154:
	s_or_b32 exec_lo, exec_lo, s20
	s_branch .LBB136_156
.LBB136_155:
	v_mov_b32_e32 v29, 0
	v_mov_b32_e32 v30, 0
.LBB136_156:
	s_or_b32 exec_lo, exec_lo, s25
	v_lshlrev_b32_e32 v0, 3, v0
	s_lshl_b64 s[16:17], s[16:17], 3
	s_delay_alu instid0(SALU_CYCLE_1) | instskip(SKIP_1) | instid1(VALU_DEP_1)
	s_add_u32 s16, s22, s16
	s_addc_u32 s17, s23, s17
	v_add_co_u32 v33, s16, s16, v0
	s_delay_alu instid0(VALU_DEP_1) | instskip(SKIP_1) | instid1(SALU_CYCLE_1)
	v_add_co_ci_u32_e64 v34, null, s17, 0, s16
	s_and_saveexec_b32 s16, s14
	s_xor_b32 s14, exec_lo, s16
	s_cbranch_execz .LBB136_158
; %bb.157:
	global_store_b64 v[33:34], v[1:2], off
.LBB136_158:
	s_or_b32 exec_lo, exec_lo, s14
	s_and_saveexec_b32 s14, s13
	s_cbranch_execnz .LBB136_177
; %bb.159:
	s_or_b32 exec_lo, exec_lo, s14
	s_and_saveexec_b32 s13, s12
	s_cbranch_execnz .LBB136_178
.LBB136_160:
	s_or_b32 exec_lo, exec_lo, s13
	s_and_saveexec_b32 s12, s10
	s_cbranch_execnz .LBB136_179
.LBB136_161:
	s_or_b32 exec_lo, exec_lo, s12
	s_and_saveexec_b32 s10, s8
	s_cbranch_execnz .LBB136_180
.LBB136_162:
	s_or_b32 exec_lo, exec_lo, s10
	s_and_saveexec_b32 s8, s11
	s_cbranch_execnz .LBB136_181
.LBB136_163:
	s_or_b32 exec_lo, exec_lo, s8
	s_and_saveexec_b32 s8, s9
	s_cbranch_execnz .LBB136_182
.LBB136_164:
	s_or_b32 exec_lo, exec_lo, s8
	s_and_saveexec_b32 s8, s7
	s_cbranch_execnz .LBB136_183
.LBB136_165:
	s_or_b32 exec_lo, exec_lo, s8
	s_and_saveexec_b32 s7, s6
	s_cbranch_execnz .LBB136_184
.LBB136_166:
	s_or_b32 exec_lo, exec_lo, s7
	s_and_saveexec_b32 s6, s5
	s_cbranch_execnz .LBB136_185
.LBB136_167:
	s_or_b32 exec_lo, exec_lo, s6
	s_and_saveexec_b32 s5, s3
	s_cbranch_execnz .LBB136_186
.LBB136_168:
	s_or_b32 exec_lo, exec_lo, s5
	s_and_saveexec_b32 s3, s4
	s_cbranch_execnz .LBB136_187
.LBB136_169:
	s_or_b32 exec_lo, exec_lo, s3
	s_and_saveexec_b32 s3, s2
	s_cbranch_execnz .LBB136_188
.LBB136_170:
	s_or_b32 exec_lo, exec_lo, s3
	s_and_saveexec_b32 s2, s1
	s_cbranch_execnz .LBB136_189
.LBB136_171:
	s_or_b32 exec_lo, exec_lo, s2
	s_and_saveexec_b32 s1, s0
	s_cbranch_execz .LBB136_173
.LBB136_172:
	v_add_co_u32 v0, vcc_lo, 0x1000, v33
	v_add_co_ci_u32_e32 v1, vcc_lo, 0, v34, vcc_lo
	global_store_b64 v[0:1], v[31:32], off offset:3072
.LBB136_173:
	s_or_b32 exec_lo, exec_lo, s1
.LBB136_174:
	s_and_saveexec_b32 s0, s15
	s_cbranch_execnz .LBB136_176
; %bb.175:
	s_nop 0
	s_sendmsg sendmsg(MSG_DEALLOC_VGPRS)
	s_endpgm
.LBB136_176:
	v_add_co_u32 v0, vcc_lo, 0x1000, v33
	v_add_co_ci_u32_e32 v1, vcc_lo, 0, v34, vcc_lo
	global_store_b64 v[0:1], v[29:30], off offset:3584
	s_nop 0
	s_sendmsg sendmsg(MSG_DEALLOC_VGPRS)
	s_endpgm
.LBB136_177:
	global_store_b64 v[33:34], v[3:4], off offset:512
	s_or_b32 exec_lo, exec_lo, s14
	s_and_saveexec_b32 s13, s12
	s_cbranch_execz .LBB136_160
.LBB136_178:
	global_store_b64 v[33:34], v[5:6], off offset:1024
	s_or_b32 exec_lo, exec_lo, s13
	s_and_saveexec_b32 s12, s10
	s_cbranch_execz .LBB136_161
.LBB136_179:
	global_store_b64 v[33:34], v[7:8], off offset:1536
	s_or_b32 exec_lo, exec_lo, s12
	s_and_saveexec_b32 s10, s8
	s_cbranch_execz .LBB136_162
.LBB136_180:
	global_store_b64 v[33:34], v[9:10], off offset:2048
	s_or_b32 exec_lo, exec_lo, s10
	s_and_saveexec_b32 s8, s11
	s_cbranch_execz .LBB136_163
.LBB136_181:
	global_store_b64 v[33:34], v[11:12], off offset:2560
	s_or_b32 exec_lo, exec_lo, s8
	s_and_saveexec_b32 s8, s9
	s_cbranch_execz .LBB136_164
.LBB136_182:
	global_store_b64 v[33:34], v[13:14], off offset:3072
	s_or_b32 exec_lo, exec_lo, s8
	s_and_saveexec_b32 s8, s7
	s_cbranch_execz .LBB136_165
.LBB136_183:
	global_store_b64 v[33:34], v[15:16], off offset:3584
	s_or_b32 exec_lo, exec_lo, s8
	s_and_saveexec_b32 s7, s6
	s_cbranch_execz .LBB136_166
.LBB136_184:
	v_add_co_u32 v0, vcc_lo, 0x1000, v33
	v_add_co_ci_u32_e32 v1, vcc_lo, 0, v34, vcc_lo
	global_store_b64 v[0:1], v[17:18], off
	s_or_b32 exec_lo, exec_lo, s7
	s_and_saveexec_b32 s6, s5
	s_cbranch_execz .LBB136_167
.LBB136_185:
	v_add_co_u32 v0, vcc_lo, 0x1000, v33
	v_add_co_ci_u32_e32 v1, vcc_lo, 0, v34, vcc_lo
	global_store_b64 v[0:1], v[19:20], off offset:512
	s_or_b32 exec_lo, exec_lo, s6
	s_and_saveexec_b32 s5, s3
	s_cbranch_execz .LBB136_168
.LBB136_186:
	v_add_co_u32 v0, vcc_lo, 0x1000, v33
	v_add_co_ci_u32_e32 v1, vcc_lo, 0, v34, vcc_lo
	global_store_b64 v[0:1], v[21:22], off offset:1024
	s_or_b32 exec_lo, exec_lo, s5
	s_and_saveexec_b32 s3, s4
	s_cbranch_execz .LBB136_169
.LBB136_187:
	v_add_co_u32 v0, vcc_lo, 0x1000, v33
	v_add_co_ci_u32_e32 v1, vcc_lo, 0, v34, vcc_lo
	global_store_b64 v[0:1], v[23:24], off offset:1536
	s_or_b32 exec_lo, exec_lo, s3
	s_and_saveexec_b32 s3, s2
	s_cbranch_execz .LBB136_170
.LBB136_188:
	v_add_co_u32 v0, vcc_lo, 0x1000, v33
	v_add_co_ci_u32_e32 v1, vcc_lo, 0, v34, vcc_lo
	global_store_b64 v[0:1], v[25:26], off offset:2048
	s_or_b32 exec_lo, exec_lo, s3
	s_and_saveexec_b32 s2, s1
	s_cbranch_execz .LBB136_171
.LBB136_189:
	v_add_co_u32 v0, vcc_lo, 0x1000, v33
	v_add_co_ci_u32_e32 v1, vcc_lo, 0, v34, vcc_lo
	global_store_b64 v[0:1], v[27:28], off offset:2560
	s_or_b32 exec_lo, exec_lo, s2
	s_and_saveexec_b32 s1, s0
	s_cbranch_execnz .LBB136_172
	s_branch .LBB136_173
	.section	.rodata,"a",@progbits
	.p2align	6, 0x0
	.amdhsa_kernel _ZN7rocprim17ROCPRIM_400000_NS6detail17trampoline_kernelINS0_14default_configENS1_27upper_bound_config_selectorItlEEZNS1_14transform_implILb0ES3_S5_N6thrust23THRUST_200600_302600_NS17counting_iteratorItNS8_11use_defaultESA_SA_EEPlZNS1_13binary_searchIS3_S5_PtSB_SC_NS1_21upper_bound_search_opENS8_6detail16wrapped_functionINS0_4lessIvEEbEEEE10hipError_tPvRmT1_T2_T3_mmT4_T5_P12ihipStream_tbEUlRKtE_EESL_SP_SQ_mSR_SU_bEUlT_E_NS1_11comp_targetILNS1_3genE9ELNS1_11target_archE1100ELNS1_3gpuE3ELNS1_3repE0EEENS1_30default_config_static_selectorELNS0_4arch9wavefront6targetE0EEEvSO_
		.amdhsa_group_segment_fixed_size 0
		.amdhsa_private_segment_fixed_size 0
		.amdhsa_kernarg_size 312
		.amdhsa_user_sgpr_count 15
		.amdhsa_user_sgpr_dispatch_ptr 0
		.amdhsa_user_sgpr_queue_ptr 0
		.amdhsa_user_sgpr_kernarg_segment_ptr 1
		.amdhsa_user_sgpr_dispatch_id 0
		.amdhsa_user_sgpr_private_segment_size 0
		.amdhsa_wavefront_size32 1
		.amdhsa_uses_dynamic_stack 0
		.amdhsa_enable_private_segment 0
		.amdhsa_system_sgpr_workgroup_id_x 1
		.amdhsa_system_sgpr_workgroup_id_y 0
		.amdhsa_system_sgpr_workgroup_id_z 0
		.amdhsa_system_sgpr_workgroup_info 0
		.amdhsa_system_vgpr_workitem_id 0
		.amdhsa_next_free_vgpr 41
		.amdhsa_next_free_sgpr 27
		.amdhsa_reserve_vcc 1
		.amdhsa_float_round_mode_32 0
		.amdhsa_float_round_mode_16_64 0
		.amdhsa_float_denorm_mode_32 3
		.amdhsa_float_denorm_mode_16_64 3
		.amdhsa_dx10_clamp 1
		.amdhsa_ieee_mode 1
		.amdhsa_fp16_overflow 0
		.amdhsa_workgroup_processor_mode 1
		.amdhsa_memory_ordered 1
		.amdhsa_forward_progress 0
		.amdhsa_shared_vgpr_count 0
		.amdhsa_exception_fp_ieee_invalid_op 0
		.amdhsa_exception_fp_denorm_src 0
		.amdhsa_exception_fp_ieee_div_zero 0
		.amdhsa_exception_fp_ieee_overflow 0
		.amdhsa_exception_fp_ieee_underflow 0
		.amdhsa_exception_fp_ieee_inexact 0
		.amdhsa_exception_int_div_zero 0
	.end_amdhsa_kernel
	.section	.text._ZN7rocprim17ROCPRIM_400000_NS6detail17trampoline_kernelINS0_14default_configENS1_27upper_bound_config_selectorItlEEZNS1_14transform_implILb0ES3_S5_N6thrust23THRUST_200600_302600_NS17counting_iteratorItNS8_11use_defaultESA_SA_EEPlZNS1_13binary_searchIS3_S5_PtSB_SC_NS1_21upper_bound_search_opENS8_6detail16wrapped_functionINS0_4lessIvEEbEEEE10hipError_tPvRmT1_T2_T3_mmT4_T5_P12ihipStream_tbEUlRKtE_EESL_SP_SQ_mSR_SU_bEUlT_E_NS1_11comp_targetILNS1_3genE9ELNS1_11target_archE1100ELNS1_3gpuE3ELNS1_3repE0EEENS1_30default_config_static_selectorELNS0_4arch9wavefront6targetE0EEEvSO_,"axG",@progbits,_ZN7rocprim17ROCPRIM_400000_NS6detail17trampoline_kernelINS0_14default_configENS1_27upper_bound_config_selectorItlEEZNS1_14transform_implILb0ES3_S5_N6thrust23THRUST_200600_302600_NS17counting_iteratorItNS8_11use_defaultESA_SA_EEPlZNS1_13binary_searchIS3_S5_PtSB_SC_NS1_21upper_bound_search_opENS8_6detail16wrapped_functionINS0_4lessIvEEbEEEE10hipError_tPvRmT1_T2_T3_mmT4_T5_P12ihipStream_tbEUlRKtE_EESL_SP_SQ_mSR_SU_bEUlT_E_NS1_11comp_targetILNS1_3genE9ELNS1_11target_archE1100ELNS1_3gpuE3ELNS1_3repE0EEENS1_30default_config_static_selectorELNS0_4arch9wavefront6targetE0EEEvSO_,comdat
.Lfunc_end136:
	.size	_ZN7rocprim17ROCPRIM_400000_NS6detail17trampoline_kernelINS0_14default_configENS1_27upper_bound_config_selectorItlEEZNS1_14transform_implILb0ES3_S5_N6thrust23THRUST_200600_302600_NS17counting_iteratorItNS8_11use_defaultESA_SA_EEPlZNS1_13binary_searchIS3_S5_PtSB_SC_NS1_21upper_bound_search_opENS8_6detail16wrapped_functionINS0_4lessIvEEbEEEE10hipError_tPvRmT1_T2_T3_mmT4_T5_P12ihipStream_tbEUlRKtE_EESL_SP_SQ_mSR_SU_bEUlT_E_NS1_11comp_targetILNS1_3genE9ELNS1_11target_archE1100ELNS1_3gpuE3ELNS1_3repE0EEENS1_30default_config_static_selectorELNS0_4arch9wavefront6targetE0EEEvSO_, .Lfunc_end136-_ZN7rocprim17ROCPRIM_400000_NS6detail17trampoline_kernelINS0_14default_configENS1_27upper_bound_config_selectorItlEEZNS1_14transform_implILb0ES3_S5_N6thrust23THRUST_200600_302600_NS17counting_iteratorItNS8_11use_defaultESA_SA_EEPlZNS1_13binary_searchIS3_S5_PtSB_SC_NS1_21upper_bound_search_opENS8_6detail16wrapped_functionINS0_4lessIvEEbEEEE10hipError_tPvRmT1_T2_T3_mmT4_T5_P12ihipStream_tbEUlRKtE_EESL_SP_SQ_mSR_SU_bEUlT_E_NS1_11comp_targetILNS1_3genE9ELNS1_11target_archE1100ELNS1_3gpuE3ELNS1_3repE0EEENS1_30default_config_static_selectorELNS0_4arch9wavefront6targetE0EEEvSO_
                                        ; -- End function
	.section	.AMDGPU.csdata,"",@progbits
; Kernel info:
; codeLenInByte = 8612
; NumSgprs: 29
; NumVgprs: 41
; ScratchSize: 0
; MemoryBound: 0
; FloatMode: 240
; IeeeMode: 1
; LDSByteSize: 0 bytes/workgroup (compile time only)
; SGPRBlocks: 3
; VGPRBlocks: 5
; NumSGPRsForWavesPerEU: 29
; NumVGPRsForWavesPerEU: 41
; Occupancy: 16
; WaveLimiterHint : 1
; COMPUTE_PGM_RSRC2:SCRATCH_EN: 0
; COMPUTE_PGM_RSRC2:USER_SGPR: 15
; COMPUTE_PGM_RSRC2:TRAP_HANDLER: 0
; COMPUTE_PGM_RSRC2:TGID_X_EN: 1
; COMPUTE_PGM_RSRC2:TGID_Y_EN: 0
; COMPUTE_PGM_RSRC2:TGID_Z_EN: 0
; COMPUTE_PGM_RSRC2:TIDIG_COMP_CNT: 0
	.section	.text._ZN7rocprim17ROCPRIM_400000_NS6detail17trampoline_kernelINS0_14default_configENS1_27upper_bound_config_selectorItlEEZNS1_14transform_implILb0ES3_S5_N6thrust23THRUST_200600_302600_NS17counting_iteratorItNS8_11use_defaultESA_SA_EEPlZNS1_13binary_searchIS3_S5_PtSB_SC_NS1_21upper_bound_search_opENS8_6detail16wrapped_functionINS0_4lessIvEEbEEEE10hipError_tPvRmT1_T2_T3_mmT4_T5_P12ihipStream_tbEUlRKtE_EESL_SP_SQ_mSR_SU_bEUlT_E_NS1_11comp_targetILNS1_3genE8ELNS1_11target_archE1030ELNS1_3gpuE2ELNS1_3repE0EEENS1_30default_config_static_selectorELNS0_4arch9wavefront6targetE0EEEvSO_,"axG",@progbits,_ZN7rocprim17ROCPRIM_400000_NS6detail17trampoline_kernelINS0_14default_configENS1_27upper_bound_config_selectorItlEEZNS1_14transform_implILb0ES3_S5_N6thrust23THRUST_200600_302600_NS17counting_iteratorItNS8_11use_defaultESA_SA_EEPlZNS1_13binary_searchIS3_S5_PtSB_SC_NS1_21upper_bound_search_opENS8_6detail16wrapped_functionINS0_4lessIvEEbEEEE10hipError_tPvRmT1_T2_T3_mmT4_T5_P12ihipStream_tbEUlRKtE_EESL_SP_SQ_mSR_SU_bEUlT_E_NS1_11comp_targetILNS1_3genE8ELNS1_11target_archE1030ELNS1_3gpuE2ELNS1_3repE0EEENS1_30default_config_static_selectorELNS0_4arch9wavefront6targetE0EEEvSO_,comdat
	.protected	_ZN7rocprim17ROCPRIM_400000_NS6detail17trampoline_kernelINS0_14default_configENS1_27upper_bound_config_selectorItlEEZNS1_14transform_implILb0ES3_S5_N6thrust23THRUST_200600_302600_NS17counting_iteratorItNS8_11use_defaultESA_SA_EEPlZNS1_13binary_searchIS3_S5_PtSB_SC_NS1_21upper_bound_search_opENS8_6detail16wrapped_functionINS0_4lessIvEEbEEEE10hipError_tPvRmT1_T2_T3_mmT4_T5_P12ihipStream_tbEUlRKtE_EESL_SP_SQ_mSR_SU_bEUlT_E_NS1_11comp_targetILNS1_3genE8ELNS1_11target_archE1030ELNS1_3gpuE2ELNS1_3repE0EEENS1_30default_config_static_selectorELNS0_4arch9wavefront6targetE0EEEvSO_ ; -- Begin function _ZN7rocprim17ROCPRIM_400000_NS6detail17trampoline_kernelINS0_14default_configENS1_27upper_bound_config_selectorItlEEZNS1_14transform_implILb0ES3_S5_N6thrust23THRUST_200600_302600_NS17counting_iteratorItNS8_11use_defaultESA_SA_EEPlZNS1_13binary_searchIS3_S5_PtSB_SC_NS1_21upper_bound_search_opENS8_6detail16wrapped_functionINS0_4lessIvEEbEEEE10hipError_tPvRmT1_T2_T3_mmT4_T5_P12ihipStream_tbEUlRKtE_EESL_SP_SQ_mSR_SU_bEUlT_E_NS1_11comp_targetILNS1_3genE8ELNS1_11target_archE1030ELNS1_3gpuE2ELNS1_3repE0EEENS1_30default_config_static_selectorELNS0_4arch9wavefront6targetE0EEEvSO_
	.globl	_ZN7rocprim17ROCPRIM_400000_NS6detail17trampoline_kernelINS0_14default_configENS1_27upper_bound_config_selectorItlEEZNS1_14transform_implILb0ES3_S5_N6thrust23THRUST_200600_302600_NS17counting_iteratorItNS8_11use_defaultESA_SA_EEPlZNS1_13binary_searchIS3_S5_PtSB_SC_NS1_21upper_bound_search_opENS8_6detail16wrapped_functionINS0_4lessIvEEbEEEE10hipError_tPvRmT1_T2_T3_mmT4_T5_P12ihipStream_tbEUlRKtE_EESL_SP_SQ_mSR_SU_bEUlT_E_NS1_11comp_targetILNS1_3genE8ELNS1_11target_archE1030ELNS1_3gpuE2ELNS1_3repE0EEENS1_30default_config_static_selectorELNS0_4arch9wavefront6targetE0EEEvSO_
	.p2align	8
	.type	_ZN7rocprim17ROCPRIM_400000_NS6detail17trampoline_kernelINS0_14default_configENS1_27upper_bound_config_selectorItlEEZNS1_14transform_implILb0ES3_S5_N6thrust23THRUST_200600_302600_NS17counting_iteratorItNS8_11use_defaultESA_SA_EEPlZNS1_13binary_searchIS3_S5_PtSB_SC_NS1_21upper_bound_search_opENS8_6detail16wrapped_functionINS0_4lessIvEEbEEEE10hipError_tPvRmT1_T2_T3_mmT4_T5_P12ihipStream_tbEUlRKtE_EESL_SP_SQ_mSR_SU_bEUlT_E_NS1_11comp_targetILNS1_3genE8ELNS1_11target_archE1030ELNS1_3gpuE2ELNS1_3repE0EEENS1_30default_config_static_selectorELNS0_4arch9wavefront6targetE0EEEvSO_,@function
_ZN7rocprim17ROCPRIM_400000_NS6detail17trampoline_kernelINS0_14default_configENS1_27upper_bound_config_selectorItlEEZNS1_14transform_implILb0ES3_S5_N6thrust23THRUST_200600_302600_NS17counting_iteratorItNS8_11use_defaultESA_SA_EEPlZNS1_13binary_searchIS3_S5_PtSB_SC_NS1_21upper_bound_search_opENS8_6detail16wrapped_functionINS0_4lessIvEEbEEEE10hipError_tPvRmT1_T2_T3_mmT4_T5_P12ihipStream_tbEUlRKtE_EESL_SP_SQ_mSR_SU_bEUlT_E_NS1_11comp_targetILNS1_3genE8ELNS1_11target_archE1030ELNS1_3gpuE2ELNS1_3repE0EEENS1_30default_config_static_selectorELNS0_4arch9wavefront6targetE0EEEvSO_: ; @_ZN7rocprim17ROCPRIM_400000_NS6detail17trampoline_kernelINS0_14default_configENS1_27upper_bound_config_selectorItlEEZNS1_14transform_implILb0ES3_S5_N6thrust23THRUST_200600_302600_NS17counting_iteratorItNS8_11use_defaultESA_SA_EEPlZNS1_13binary_searchIS3_S5_PtSB_SC_NS1_21upper_bound_search_opENS8_6detail16wrapped_functionINS0_4lessIvEEbEEEE10hipError_tPvRmT1_T2_T3_mmT4_T5_P12ihipStream_tbEUlRKtE_EESL_SP_SQ_mSR_SU_bEUlT_E_NS1_11comp_targetILNS1_3genE8ELNS1_11target_archE1030ELNS1_3gpuE2ELNS1_3repE0EEENS1_30default_config_static_selectorELNS0_4arch9wavefront6targetE0EEEvSO_
; %bb.0:
	.section	.rodata,"a",@progbits
	.p2align	6, 0x0
	.amdhsa_kernel _ZN7rocprim17ROCPRIM_400000_NS6detail17trampoline_kernelINS0_14default_configENS1_27upper_bound_config_selectorItlEEZNS1_14transform_implILb0ES3_S5_N6thrust23THRUST_200600_302600_NS17counting_iteratorItNS8_11use_defaultESA_SA_EEPlZNS1_13binary_searchIS3_S5_PtSB_SC_NS1_21upper_bound_search_opENS8_6detail16wrapped_functionINS0_4lessIvEEbEEEE10hipError_tPvRmT1_T2_T3_mmT4_T5_P12ihipStream_tbEUlRKtE_EESL_SP_SQ_mSR_SU_bEUlT_E_NS1_11comp_targetILNS1_3genE8ELNS1_11target_archE1030ELNS1_3gpuE2ELNS1_3repE0EEENS1_30default_config_static_selectorELNS0_4arch9wavefront6targetE0EEEvSO_
		.amdhsa_group_segment_fixed_size 0
		.amdhsa_private_segment_fixed_size 0
		.amdhsa_kernarg_size 56
		.amdhsa_user_sgpr_count 15
		.amdhsa_user_sgpr_dispatch_ptr 0
		.amdhsa_user_sgpr_queue_ptr 0
		.amdhsa_user_sgpr_kernarg_segment_ptr 1
		.amdhsa_user_sgpr_dispatch_id 0
		.amdhsa_user_sgpr_private_segment_size 0
		.amdhsa_wavefront_size32 1
		.amdhsa_uses_dynamic_stack 0
		.amdhsa_enable_private_segment 0
		.amdhsa_system_sgpr_workgroup_id_x 1
		.amdhsa_system_sgpr_workgroup_id_y 0
		.amdhsa_system_sgpr_workgroup_id_z 0
		.amdhsa_system_sgpr_workgroup_info 0
		.amdhsa_system_vgpr_workitem_id 0
		.amdhsa_next_free_vgpr 1
		.amdhsa_next_free_sgpr 1
		.amdhsa_reserve_vcc 0
		.amdhsa_float_round_mode_32 0
		.amdhsa_float_round_mode_16_64 0
		.amdhsa_float_denorm_mode_32 3
		.amdhsa_float_denorm_mode_16_64 3
		.amdhsa_dx10_clamp 1
		.amdhsa_ieee_mode 1
		.amdhsa_fp16_overflow 0
		.amdhsa_workgroup_processor_mode 1
		.amdhsa_memory_ordered 1
		.amdhsa_forward_progress 0
		.amdhsa_shared_vgpr_count 0
		.amdhsa_exception_fp_ieee_invalid_op 0
		.amdhsa_exception_fp_denorm_src 0
		.amdhsa_exception_fp_ieee_div_zero 0
		.amdhsa_exception_fp_ieee_overflow 0
		.amdhsa_exception_fp_ieee_underflow 0
		.amdhsa_exception_fp_ieee_inexact 0
		.amdhsa_exception_int_div_zero 0
	.end_amdhsa_kernel
	.section	.text._ZN7rocprim17ROCPRIM_400000_NS6detail17trampoline_kernelINS0_14default_configENS1_27upper_bound_config_selectorItlEEZNS1_14transform_implILb0ES3_S5_N6thrust23THRUST_200600_302600_NS17counting_iteratorItNS8_11use_defaultESA_SA_EEPlZNS1_13binary_searchIS3_S5_PtSB_SC_NS1_21upper_bound_search_opENS8_6detail16wrapped_functionINS0_4lessIvEEbEEEE10hipError_tPvRmT1_T2_T3_mmT4_T5_P12ihipStream_tbEUlRKtE_EESL_SP_SQ_mSR_SU_bEUlT_E_NS1_11comp_targetILNS1_3genE8ELNS1_11target_archE1030ELNS1_3gpuE2ELNS1_3repE0EEENS1_30default_config_static_selectorELNS0_4arch9wavefront6targetE0EEEvSO_,"axG",@progbits,_ZN7rocprim17ROCPRIM_400000_NS6detail17trampoline_kernelINS0_14default_configENS1_27upper_bound_config_selectorItlEEZNS1_14transform_implILb0ES3_S5_N6thrust23THRUST_200600_302600_NS17counting_iteratorItNS8_11use_defaultESA_SA_EEPlZNS1_13binary_searchIS3_S5_PtSB_SC_NS1_21upper_bound_search_opENS8_6detail16wrapped_functionINS0_4lessIvEEbEEEE10hipError_tPvRmT1_T2_T3_mmT4_T5_P12ihipStream_tbEUlRKtE_EESL_SP_SQ_mSR_SU_bEUlT_E_NS1_11comp_targetILNS1_3genE8ELNS1_11target_archE1030ELNS1_3gpuE2ELNS1_3repE0EEENS1_30default_config_static_selectorELNS0_4arch9wavefront6targetE0EEEvSO_,comdat
.Lfunc_end137:
	.size	_ZN7rocprim17ROCPRIM_400000_NS6detail17trampoline_kernelINS0_14default_configENS1_27upper_bound_config_selectorItlEEZNS1_14transform_implILb0ES3_S5_N6thrust23THRUST_200600_302600_NS17counting_iteratorItNS8_11use_defaultESA_SA_EEPlZNS1_13binary_searchIS3_S5_PtSB_SC_NS1_21upper_bound_search_opENS8_6detail16wrapped_functionINS0_4lessIvEEbEEEE10hipError_tPvRmT1_T2_T3_mmT4_T5_P12ihipStream_tbEUlRKtE_EESL_SP_SQ_mSR_SU_bEUlT_E_NS1_11comp_targetILNS1_3genE8ELNS1_11target_archE1030ELNS1_3gpuE2ELNS1_3repE0EEENS1_30default_config_static_selectorELNS0_4arch9wavefront6targetE0EEEvSO_, .Lfunc_end137-_ZN7rocprim17ROCPRIM_400000_NS6detail17trampoline_kernelINS0_14default_configENS1_27upper_bound_config_selectorItlEEZNS1_14transform_implILb0ES3_S5_N6thrust23THRUST_200600_302600_NS17counting_iteratorItNS8_11use_defaultESA_SA_EEPlZNS1_13binary_searchIS3_S5_PtSB_SC_NS1_21upper_bound_search_opENS8_6detail16wrapped_functionINS0_4lessIvEEbEEEE10hipError_tPvRmT1_T2_T3_mmT4_T5_P12ihipStream_tbEUlRKtE_EESL_SP_SQ_mSR_SU_bEUlT_E_NS1_11comp_targetILNS1_3genE8ELNS1_11target_archE1030ELNS1_3gpuE2ELNS1_3repE0EEENS1_30default_config_static_selectorELNS0_4arch9wavefront6targetE0EEEvSO_
                                        ; -- End function
	.section	.AMDGPU.csdata,"",@progbits
; Kernel info:
; codeLenInByte = 0
; NumSgprs: 0
; NumVgprs: 0
; ScratchSize: 0
; MemoryBound: 0
; FloatMode: 240
; IeeeMode: 1
; LDSByteSize: 0 bytes/workgroup (compile time only)
; SGPRBlocks: 0
; VGPRBlocks: 0
; NumSGPRsForWavesPerEU: 1
; NumVGPRsForWavesPerEU: 1
; Occupancy: 16
; WaveLimiterHint : 0
; COMPUTE_PGM_RSRC2:SCRATCH_EN: 0
; COMPUTE_PGM_RSRC2:USER_SGPR: 15
; COMPUTE_PGM_RSRC2:TRAP_HANDLER: 0
; COMPUTE_PGM_RSRC2:TGID_X_EN: 1
; COMPUTE_PGM_RSRC2:TGID_Y_EN: 0
; COMPUTE_PGM_RSRC2:TGID_Z_EN: 0
; COMPUTE_PGM_RSRC2:TIDIG_COMP_CNT: 0
	.section	.text._Z18upper_bound_kernelIxEvmPT_Pl,"axG",@progbits,_Z18upper_bound_kernelIxEvmPT_Pl,comdat
	.protected	_Z18upper_bound_kernelIxEvmPT_Pl ; -- Begin function _Z18upper_bound_kernelIxEvmPT_Pl
	.globl	_Z18upper_bound_kernelIxEvmPT_Pl
	.p2align	8
	.type	_Z18upper_bound_kernelIxEvmPT_Pl,@function
_Z18upper_bound_kernelIxEvmPT_Pl:       ; @_Z18upper_bound_kernelIxEvmPT_Pl
; %bb.0:
	s_clause 0x1
	s_load_b128 s[4:7], s[0:1], 0x0
	s_load_b64 s[2:3], s[0:1], 0x10
	s_mov_b64 s[8:9], 0
	s_waitcnt lgkmcnt(0)
	v_cmp_lt_i64_e64 s0, s[4:5], 1
	s_delay_alu instid0(VALU_DEP_1) | instskip(NEXT) | instid1(SALU_CYCLE_1)
	s_and_b32 s0, exec_lo, s0
	s_mov_b32 vcc_lo, s0
	s_cbranch_vccnz .LBB138_3
; %bb.1:
	s_mov_b64 s[10:11], s[4:5]
	.p2align	6
.LBB138_2:                              ; =>This Inner Loop Header: Depth=1
	s_delay_alu instid0(SALU_CYCLE_1) | instskip(SKIP_1) | instid1(SALU_CYCLE_1)
	s_sub_u32 s1, s10, s8
	s_subb_u32 s13, s11, s9
	s_lshr_b32 s12, s13, 31
	s_delay_alu instid0(SALU_CYCLE_1) | instskip(SKIP_1) | instid1(SALU_CYCLE_1)
	s_add_u32 s12, s1, s12
	s_addc_u32 s13, s13, 0
	s_ashr_i64 s[12:13], s[12:13], 1
	s_delay_alu instid0(SALU_CYCLE_1) | instskip(SKIP_1) | instid1(SALU_CYCLE_1)
	s_add_u32 s12, s12, s8
	s_addc_u32 s13, s13, s9
	s_lshl_b64 s[14:15], s[12:13], 3
	s_delay_alu instid0(SALU_CYCLE_1)
	s_add_u32 s14, s6, s14
	s_addc_u32 s15, s7, s15
	s_load_b64 s[14:15], s[14:15], 0x0
	s_waitcnt lgkmcnt(0)
	v_cmp_gt_i64_e64 s1, s[14:15], 0
	s_add_u32 s14, s12, 1
	s_addc_u32 s15, s13, 0
	s_delay_alu instid0(VALU_DEP_1) | instskip(SKIP_4) | instid1(SALU_CYCLE_1)
	s_and_b32 s1, s1, exec_lo
	s_cselect_b32 s9, s9, s15
	s_cselect_b32 s8, s8, s14
	;; [unrolled: 1-line block ×4, first 2 shown]
	v_cmp_lt_i64_e64 s1, s[8:9], s[10:11]
	s_delay_alu instid0(VALU_DEP_1)
	s_and_b32 vcc_lo, exec_lo, s1
	s_cbranch_vccnz .LBB138_2
.LBB138_3:
	v_cmp_gt_i64_e64 s10, s[4:5], 0
	v_mov_b32_e32 v2, 0
	s_delay_alu instid0(VALU_DEP_2) | instskip(SKIP_1) | instid1(VALU_DEP_1)
	v_cndmask_b32_e64 v0, 0, 1, s10
	s_and_not1_b32 vcc_lo, exec_lo, s10
	v_cmp_ne_u32_e64 s1, 1, v0
	v_dual_mov_b32 v0, s8 :: v_dual_mov_b32 v1, s9
	s_mov_b64 s[8:9], 0
	global_store_b64 v2, v[0:1], s[2:3]
	s_cbranch_vccnz .LBB138_6
; %bb.4:
	s_mov_b64 s[10:11], s[4:5]
	.p2align	6
.LBB138_5:                              ; =>This Inner Loop Header: Depth=1
	s_delay_alu instid0(SALU_CYCLE_1) | instskip(SKIP_1) | instid1(SALU_CYCLE_1)
	s_sub_u32 s12, s10, s8
	s_subb_u32 s13, s11, s9
	s_lshr_b32 s14, s13, 31
	s_delay_alu instid0(SALU_CYCLE_1) | instskip(SKIP_1) | instid1(SALU_CYCLE_1)
	s_add_u32 s12, s12, s14
	s_addc_u32 s13, s13, 0
	s_ashr_i64 s[12:13], s[12:13], 1
	s_delay_alu instid0(SALU_CYCLE_1) | instskip(SKIP_1) | instid1(SALU_CYCLE_1)
	s_add_u32 s12, s12, s8
	s_addc_u32 s13, s13, s9
	s_lshl_b64 s[14:15], s[12:13], 3
	s_delay_alu instid0(SALU_CYCLE_1)
	s_add_u32 s14, s6, s14
	s_addc_u32 s15, s7, s15
	s_load_b64 s[14:15], s[14:15], 0x0
	s_waitcnt lgkmcnt(0)
	v_cmp_gt_i64_e64 s14, s[14:15], 1
	s_add_u32 s15, s12, 1
	s_addc_u32 s16, s13, 0
	s_delay_alu instid0(VALU_DEP_1) | instskip(SKIP_4) | instid1(SALU_CYCLE_1)
	s_and_b32 s14, s14, exec_lo
	s_cselect_b32 s9, s9, s16
	s_cselect_b32 s8, s8, s15
	;; [unrolled: 1-line block ×4, first 2 shown]
	v_cmp_lt_i64_e64 s12, s[8:9], s[10:11]
	s_delay_alu instid0(VALU_DEP_1)
	s_and_b32 vcc_lo, exec_lo, s12
	s_cbranch_vccnz .LBB138_5
.LBB138_6:
	v_mov_b32_e32 v0, s8
	v_dual_mov_b32 v2, 0 :: v_dual_mov_b32 v1, s9
	s_and_b32 vcc_lo, exec_lo, s1
	s_mov_b64 s[8:9], 0
	global_store_b64 v2, v[0:1], s[2:3] offset:8
	s_cbranch_vccnz .LBB138_9
; %bb.7:
	s_mov_b64 s[10:11], s[4:5]
	.p2align	6
.LBB138_8:                              ; =>This Inner Loop Header: Depth=1
	s_delay_alu instid0(SALU_CYCLE_1) | instskip(SKIP_1) | instid1(SALU_CYCLE_1)
	s_sub_u32 s12, s10, s8
	s_subb_u32 s13, s11, s9
	s_lshr_b32 s14, s13, 31
	s_delay_alu instid0(SALU_CYCLE_1) | instskip(SKIP_1) | instid1(SALU_CYCLE_1)
	s_add_u32 s12, s12, s14
	s_addc_u32 s13, s13, 0
	s_ashr_i64 s[12:13], s[12:13], 1
	s_delay_alu instid0(SALU_CYCLE_1) | instskip(SKIP_1) | instid1(SALU_CYCLE_1)
	s_add_u32 s12, s12, s8
	s_addc_u32 s13, s13, s9
	s_lshl_b64 s[14:15], s[12:13], 3
	s_delay_alu instid0(SALU_CYCLE_1)
	s_add_u32 s14, s6, s14
	s_addc_u32 s15, s7, s15
	s_load_b64 s[14:15], s[14:15], 0x0
	s_waitcnt lgkmcnt(0)
	v_cmp_gt_i64_e64 s14, s[14:15], 2
	s_add_u32 s15, s12, 1
	s_addc_u32 s16, s13, 0
	s_delay_alu instid0(VALU_DEP_1) | instskip(SKIP_4) | instid1(SALU_CYCLE_1)
	s_and_b32 s14, s14, exec_lo
	s_cselect_b32 s9, s9, s16
	s_cselect_b32 s8, s8, s15
	;; [unrolled: 1-line block ×4, first 2 shown]
	v_cmp_lt_i64_e64 s12, s[8:9], s[10:11]
	s_delay_alu instid0(VALU_DEP_1)
	s_and_b32 vcc_lo, exec_lo, s12
	s_cbranch_vccnz .LBB138_8
.LBB138_9:
	v_mov_b32_e32 v0, s8
	v_dual_mov_b32 v2, 0 :: v_dual_mov_b32 v1, s9
	s_and_b32 vcc_lo, exec_lo, s1
	s_mov_b64 s[8:9], 0
	global_store_b64 v2, v[0:1], s[2:3] offset:16
	s_cbranch_vccnz .LBB138_12
; %bb.10:
	s_mov_b64 s[10:11], s[4:5]
	.p2align	6
.LBB138_11:                             ; =>This Inner Loop Header: Depth=1
	s_delay_alu instid0(SALU_CYCLE_1) | instskip(SKIP_1) | instid1(SALU_CYCLE_1)
	s_sub_u32 s12, s10, s8
	s_subb_u32 s13, s11, s9
	s_lshr_b32 s14, s13, 31
	s_delay_alu instid0(SALU_CYCLE_1) | instskip(SKIP_1) | instid1(SALU_CYCLE_1)
	s_add_u32 s12, s12, s14
	s_addc_u32 s13, s13, 0
	s_ashr_i64 s[12:13], s[12:13], 1
	s_delay_alu instid0(SALU_CYCLE_1) | instskip(SKIP_1) | instid1(SALU_CYCLE_1)
	s_add_u32 s12, s12, s8
	s_addc_u32 s13, s13, s9
	s_lshl_b64 s[14:15], s[12:13], 3
	s_delay_alu instid0(SALU_CYCLE_1)
	s_add_u32 s14, s6, s14
	s_addc_u32 s15, s7, s15
	s_load_b64 s[14:15], s[14:15], 0x0
	s_waitcnt lgkmcnt(0)
	v_cmp_gt_i64_e64 s14, s[14:15], 3
	s_add_u32 s15, s12, 1
	s_addc_u32 s16, s13, 0
	s_delay_alu instid0(VALU_DEP_1) | instskip(SKIP_4) | instid1(SALU_CYCLE_1)
	s_and_b32 s14, s14, exec_lo
	s_cselect_b32 s9, s9, s16
	s_cselect_b32 s8, s8, s15
	;; [unrolled: 1-line block ×4, first 2 shown]
	v_cmp_lt_i64_e64 s12, s[8:9], s[10:11]
	s_delay_alu instid0(VALU_DEP_1)
	s_and_b32 vcc_lo, exec_lo, s12
	s_cbranch_vccnz .LBB138_11
.LBB138_12:
	v_mov_b32_e32 v0, s8
	v_dual_mov_b32 v2, 0 :: v_dual_mov_b32 v1, s9
	s_and_b32 vcc_lo, exec_lo, s1
	s_mov_b64 s[8:9], 0
	global_store_b64 v2, v[0:1], s[2:3] offset:24
	s_cbranch_vccnz .LBB138_15
; %bb.13:
	s_mov_b64 s[10:11], s[4:5]
	.p2align	6
.LBB138_14:                             ; =>This Inner Loop Header: Depth=1
	s_delay_alu instid0(SALU_CYCLE_1) | instskip(SKIP_1) | instid1(SALU_CYCLE_1)
	s_sub_u32 s12, s10, s8
	s_subb_u32 s13, s11, s9
	s_lshr_b32 s14, s13, 31
	s_delay_alu instid0(SALU_CYCLE_1) | instskip(SKIP_1) | instid1(SALU_CYCLE_1)
	s_add_u32 s12, s12, s14
	s_addc_u32 s13, s13, 0
	s_ashr_i64 s[12:13], s[12:13], 1
	s_delay_alu instid0(SALU_CYCLE_1) | instskip(SKIP_1) | instid1(SALU_CYCLE_1)
	s_add_u32 s12, s12, s8
	s_addc_u32 s13, s13, s9
	s_lshl_b64 s[14:15], s[12:13], 3
	s_delay_alu instid0(SALU_CYCLE_1)
	s_add_u32 s14, s6, s14
	s_addc_u32 s15, s7, s15
	s_load_b64 s[14:15], s[14:15], 0x0
	s_waitcnt lgkmcnt(0)
	v_cmp_gt_i64_e64 s14, s[14:15], 4
	s_add_u32 s15, s12, 1
	s_addc_u32 s16, s13, 0
	s_delay_alu instid0(VALU_DEP_1) | instskip(SKIP_4) | instid1(SALU_CYCLE_1)
	s_and_b32 s14, s14, exec_lo
	s_cselect_b32 s9, s9, s16
	s_cselect_b32 s8, s8, s15
	;; [unrolled: 1-line block ×4, first 2 shown]
	v_cmp_lt_i64_e64 s12, s[8:9], s[10:11]
	s_delay_alu instid0(VALU_DEP_1)
	s_and_b32 vcc_lo, exec_lo, s12
	s_cbranch_vccnz .LBB138_14
.LBB138_15:
	v_mov_b32_e32 v0, s8
	v_dual_mov_b32 v2, 0 :: v_dual_mov_b32 v1, s9
	s_and_b32 vcc_lo, exec_lo, s1
	s_mov_b64 s[8:9], 0
	global_store_b64 v2, v[0:1], s[2:3] offset:32
	s_cbranch_vccnz .LBB138_18
; %bb.16:
	s_mov_b64 s[10:11], s[4:5]
	.p2align	6
.LBB138_17:                             ; =>This Inner Loop Header: Depth=1
	s_delay_alu instid0(SALU_CYCLE_1) | instskip(SKIP_1) | instid1(SALU_CYCLE_1)
	s_sub_u32 s12, s10, s8
	s_subb_u32 s13, s11, s9
	s_lshr_b32 s14, s13, 31
	s_delay_alu instid0(SALU_CYCLE_1) | instskip(SKIP_1) | instid1(SALU_CYCLE_1)
	s_add_u32 s12, s12, s14
	s_addc_u32 s13, s13, 0
	s_ashr_i64 s[12:13], s[12:13], 1
	s_delay_alu instid0(SALU_CYCLE_1) | instskip(SKIP_1) | instid1(SALU_CYCLE_1)
	s_add_u32 s12, s12, s8
	s_addc_u32 s13, s13, s9
	s_lshl_b64 s[14:15], s[12:13], 3
	s_delay_alu instid0(SALU_CYCLE_1)
	s_add_u32 s14, s6, s14
	s_addc_u32 s15, s7, s15
	s_load_b64 s[14:15], s[14:15], 0x0
	s_waitcnt lgkmcnt(0)
	v_cmp_gt_i64_e64 s14, s[14:15], 5
	s_add_u32 s15, s12, 1
	s_addc_u32 s16, s13, 0
	s_delay_alu instid0(VALU_DEP_1) | instskip(SKIP_4) | instid1(SALU_CYCLE_1)
	s_and_b32 s14, s14, exec_lo
	s_cselect_b32 s9, s9, s16
	s_cselect_b32 s8, s8, s15
	;; [unrolled: 1-line block ×4, first 2 shown]
	v_cmp_lt_i64_e64 s12, s[8:9], s[10:11]
	s_delay_alu instid0(VALU_DEP_1)
	s_and_b32 vcc_lo, exec_lo, s12
	s_cbranch_vccnz .LBB138_17
.LBB138_18:
	v_mov_b32_e32 v0, s8
	v_dual_mov_b32 v2, 0 :: v_dual_mov_b32 v1, s9
	s_and_b32 vcc_lo, exec_lo, s1
	s_mov_b64 s[8:9], 0
	global_store_b64 v2, v[0:1], s[2:3] offset:40
	s_cbranch_vccnz .LBB138_21
; %bb.19:
	s_mov_b64 s[10:11], s[4:5]
	.p2align	6
.LBB138_20:                             ; =>This Inner Loop Header: Depth=1
	s_delay_alu instid0(SALU_CYCLE_1) | instskip(SKIP_1) | instid1(SALU_CYCLE_1)
	s_sub_u32 s12, s10, s8
	s_subb_u32 s13, s11, s9
	s_lshr_b32 s14, s13, 31
	s_delay_alu instid0(SALU_CYCLE_1) | instskip(SKIP_1) | instid1(SALU_CYCLE_1)
	s_add_u32 s12, s12, s14
	s_addc_u32 s13, s13, 0
	s_ashr_i64 s[12:13], s[12:13], 1
	s_delay_alu instid0(SALU_CYCLE_1) | instskip(SKIP_1) | instid1(SALU_CYCLE_1)
	s_add_u32 s12, s12, s8
	s_addc_u32 s13, s13, s9
	s_lshl_b64 s[14:15], s[12:13], 3
	s_delay_alu instid0(SALU_CYCLE_1)
	s_add_u32 s14, s6, s14
	s_addc_u32 s15, s7, s15
	s_load_b64 s[14:15], s[14:15], 0x0
	s_waitcnt lgkmcnt(0)
	v_cmp_gt_i64_e64 s14, s[14:15], 6
	s_add_u32 s15, s12, 1
	s_addc_u32 s16, s13, 0
	s_delay_alu instid0(VALU_DEP_1) | instskip(SKIP_4) | instid1(SALU_CYCLE_1)
	s_and_b32 s14, s14, exec_lo
	s_cselect_b32 s9, s9, s16
	s_cselect_b32 s8, s8, s15
	;; [unrolled: 1-line block ×4, first 2 shown]
	v_cmp_lt_i64_e64 s12, s[8:9], s[10:11]
	s_delay_alu instid0(VALU_DEP_1)
	s_and_b32 vcc_lo, exec_lo, s12
	s_cbranch_vccnz .LBB138_20
.LBB138_21:
	v_mov_b32_e32 v0, s8
	v_dual_mov_b32 v2, 0 :: v_dual_mov_b32 v1, s9
	s_and_b32 vcc_lo, exec_lo, s1
	s_mov_b64 s[8:9], 0
	global_store_b64 v2, v[0:1], s[2:3] offset:48
	s_cbranch_vccnz .LBB138_24
; %bb.22:
	s_mov_b64 s[10:11], s[4:5]
	.p2align	6
.LBB138_23:                             ; =>This Inner Loop Header: Depth=1
	s_delay_alu instid0(SALU_CYCLE_1) | instskip(SKIP_1) | instid1(SALU_CYCLE_1)
	s_sub_u32 s1, s10, s8
	s_subb_u32 s13, s11, s9
	s_lshr_b32 s12, s13, 31
	s_delay_alu instid0(SALU_CYCLE_1) | instskip(SKIP_1) | instid1(SALU_CYCLE_1)
	s_add_u32 s12, s1, s12
	s_addc_u32 s13, s13, 0
	s_ashr_i64 s[12:13], s[12:13], 1
	s_delay_alu instid0(SALU_CYCLE_1) | instskip(SKIP_1) | instid1(SALU_CYCLE_1)
	s_add_u32 s12, s12, s8
	s_addc_u32 s13, s13, s9
	s_lshl_b64 s[14:15], s[12:13], 3
	s_delay_alu instid0(SALU_CYCLE_1)
	s_add_u32 s14, s6, s14
	s_addc_u32 s15, s7, s15
	s_load_b64 s[14:15], s[14:15], 0x0
	s_waitcnt lgkmcnt(0)
	v_cmp_gt_i64_e64 s1, s[14:15], 7
	s_add_u32 s14, s12, 1
	s_addc_u32 s15, s13, 0
	s_delay_alu instid0(VALU_DEP_1) | instskip(SKIP_4) | instid1(SALU_CYCLE_1)
	s_and_b32 s1, s1, exec_lo
	s_cselect_b32 s9, s9, s15
	s_cselect_b32 s8, s8, s14
	;; [unrolled: 1-line block ×4, first 2 shown]
	v_cmp_lt_i64_e64 s1, s[8:9], s[10:11]
	s_delay_alu instid0(VALU_DEP_1)
	s_and_b32 vcc_lo, exec_lo, s1
	s_cbranch_vccnz .LBB138_23
.LBB138_24:
	v_dual_mov_b32 v0, 0 :: v_dual_mov_b32 v1, s8
	v_mov_b32_e32 v2, s9
	s_mov_b32 vcc_lo, s0
	global_store_b64 v0, v[1:2], s[2:3] offset:56
	s_cbranch_vccz .LBB138_26
; %bb.25:
	v_mov_b32_e32 v1, v0
	s_mov_b64 s[0:1], 0
	global_store_b64 v0, v[0:1], s[2:3] offset:64
	s_cbranch_execz .LBB138_27
	s_branch .LBB138_31
.LBB138_26:
                                        ; implicit-def: $sgpr0_sgpr1
.LBB138_27:
	s_mov_b64 s[0:1], 0
	s_mov_b64 s[8:9], s[4:5]
	.p2align	6
.LBB138_28:                             ; =>This Inner Loop Header: Depth=1
	s_delay_alu instid0(SALU_CYCLE_1) | instskip(SKIP_1) | instid1(SALU_CYCLE_1)
	s_sub_u32 s10, s8, s0
	s_subb_u32 s11, s9, s1
	s_lshr_b32 s12, s11, 31
	s_delay_alu instid0(SALU_CYCLE_1) | instskip(SKIP_1) | instid1(SALU_CYCLE_1)
	s_add_u32 s10, s10, s12
	s_addc_u32 s11, s11, 0
	s_ashr_i64 s[10:11], s[10:11], 1
	s_delay_alu instid0(SALU_CYCLE_1) | instskip(SKIP_1) | instid1(SALU_CYCLE_1)
	s_add_u32 s10, s10, s0
	s_addc_u32 s11, s11, s1
	s_lshl_b64 s[12:13], s[10:11], 3
	s_delay_alu instid0(SALU_CYCLE_1)
	s_add_u32 s12, s6, s12
	s_addc_u32 s13, s7, s13
	s_load_b64 s[12:13], s[12:13], 0x0
	s_waitcnt lgkmcnt(0)
	v_cmp_gt_i64_e64 s12, s[12:13], 8
	s_add_u32 s13, s10, 1
	s_addc_u32 s14, s11, 0
	s_delay_alu instid0(VALU_DEP_1) | instskip(SKIP_4) | instid1(SALU_CYCLE_1)
	s_and_b32 s12, s12, exec_lo
	s_cselect_b32 s1, s1, s14
	s_cselect_b32 s0, s0, s13
	;; [unrolled: 1-line block ×4, first 2 shown]
	v_cmp_lt_i64_e64 s10, s[0:1], s[8:9]
	s_delay_alu instid0(VALU_DEP_1)
	s_and_b32 vcc_lo, exec_lo, s10
	s_cbranch_vccnz .LBB138_28
; %bb.29:
	v_mov_b32_e32 v0, s0
	v_dual_mov_b32 v2, 0 :: v_dual_mov_b32 v1, s1
	s_mov_b64 s[0:1], 0
	global_store_b64 v2, v[0:1], s[2:3] offset:64
	.p2align	6
.LBB138_30:                             ; =>This Inner Loop Header: Depth=1
	s_sub_u32 s8, s4, s0
	s_subb_u32 s9, s5, s1
	s_delay_alu instid0(SALU_CYCLE_1) | instskip(NEXT) | instid1(SALU_CYCLE_1)
	s_lshr_b32 s10, s9, 31
	s_add_u32 s8, s8, s10
	s_addc_u32 s9, s9, 0
	s_delay_alu instid0(SALU_CYCLE_1) | instskip(NEXT) | instid1(SALU_CYCLE_1)
	s_ashr_i64 s[8:9], s[8:9], 1
	s_add_u32 s8, s8, s0
	s_addc_u32 s9, s9, s1
	s_delay_alu instid0(SALU_CYCLE_1) | instskip(NEXT) | instid1(SALU_CYCLE_1)
	s_lshl_b64 s[10:11], s[8:9], 3
	s_add_u32 s10, s6, s10
	s_addc_u32 s11, s7, s11
	s_load_b64 s[10:11], s[10:11], 0x0
	s_waitcnt lgkmcnt(0)
	v_cmp_gt_i64_e64 s10, s[10:11], 9
	s_add_u32 s11, s8, 1
	s_addc_u32 s12, s9, 0
	s_delay_alu instid0(VALU_DEP_1) | instskip(SKIP_4) | instid1(SALU_CYCLE_1)
	s_and_b32 s10, s10, exec_lo
	s_cselect_b32 s1, s1, s12
	s_cselect_b32 s0, s0, s11
	;; [unrolled: 1-line block ×4, first 2 shown]
	v_cmp_ge_i64_e64 s8, s[0:1], s[4:5]
	s_delay_alu instid0(VALU_DEP_1)
	s_and_b32 vcc_lo, exec_lo, s8
	s_cbranch_vccz .LBB138_30
.LBB138_31:
	v_mov_b32_e32 v0, s0
	v_dual_mov_b32 v2, 0 :: v_dual_mov_b32 v1, s1
	global_store_b64 v2, v[0:1], s[2:3] offset:72
	s_nop 0
	s_sendmsg sendmsg(MSG_DEALLOC_VGPRS)
	s_endpgm
	.section	.rodata,"a",@progbits
	.p2align	6, 0x0
	.amdhsa_kernel _Z18upper_bound_kernelIxEvmPT_Pl
		.amdhsa_group_segment_fixed_size 0
		.amdhsa_private_segment_fixed_size 0
		.amdhsa_kernarg_size 24
		.amdhsa_user_sgpr_count 15
		.amdhsa_user_sgpr_dispatch_ptr 0
		.amdhsa_user_sgpr_queue_ptr 0
		.amdhsa_user_sgpr_kernarg_segment_ptr 1
		.amdhsa_user_sgpr_dispatch_id 0
		.amdhsa_user_sgpr_private_segment_size 0
		.amdhsa_wavefront_size32 1
		.amdhsa_uses_dynamic_stack 0
		.amdhsa_enable_private_segment 0
		.amdhsa_system_sgpr_workgroup_id_x 1
		.amdhsa_system_sgpr_workgroup_id_y 0
		.amdhsa_system_sgpr_workgroup_id_z 0
		.amdhsa_system_sgpr_workgroup_info 0
		.amdhsa_system_vgpr_workitem_id 0
		.amdhsa_next_free_vgpr 3
		.amdhsa_next_free_sgpr 17
		.amdhsa_reserve_vcc 1
		.amdhsa_float_round_mode_32 0
		.amdhsa_float_round_mode_16_64 0
		.amdhsa_float_denorm_mode_32 3
		.amdhsa_float_denorm_mode_16_64 3
		.amdhsa_dx10_clamp 1
		.amdhsa_ieee_mode 1
		.amdhsa_fp16_overflow 0
		.amdhsa_workgroup_processor_mode 1
		.amdhsa_memory_ordered 1
		.amdhsa_forward_progress 0
		.amdhsa_shared_vgpr_count 0
		.amdhsa_exception_fp_ieee_invalid_op 0
		.amdhsa_exception_fp_denorm_src 0
		.amdhsa_exception_fp_ieee_div_zero 0
		.amdhsa_exception_fp_ieee_overflow 0
		.amdhsa_exception_fp_ieee_underflow 0
		.amdhsa_exception_fp_ieee_inexact 0
		.amdhsa_exception_int_div_zero 0
	.end_amdhsa_kernel
	.section	.text._Z18upper_bound_kernelIxEvmPT_Pl,"axG",@progbits,_Z18upper_bound_kernelIxEvmPT_Pl,comdat
.Lfunc_end138:
	.size	_Z18upper_bound_kernelIxEvmPT_Pl, .Lfunc_end138-_Z18upper_bound_kernelIxEvmPT_Pl
                                        ; -- End function
	.section	.AMDGPU.csdata,"",@progbits
; Kernel info:
; codeLenInByte = 1768
; NumSgprs: 19
; NumVgprs: 3
; ScratchSize: 0
; MemoryBound: 0
; FloatMode: 240
; IeeeMode: 1
; LDSByteSize: 0 bytes/workgroup (compile time only)
; SGPRBlocks: 2
; VGPRBlocks: 0
; NumSGPRsForWavesPerEU: 19
; NumVGPRsForWavesPerEU: 3
; Occupancy: 16
; WaveLimiterHint : 0
; COMPUTE_PGM_RSRC2:SCRATCH_EN: 0
; COMPUTE_PGM_RSRC2:USER_SGPR: 15
; COMPUTE_PGM_RSRC2:TRAP_HANDLER: 0
; COMPUTE_PGM_RSRC2:TGID_X_EN: 1
; COMPUTE_PGM_RSRC2:TGID_Y_EN: 0
; COMPUTE_PGM_RSRC2:TGID_Z_EN: 0
; COMPUTE_PGM_RSRC2:TIDIG_COMP_CNT: 0
	.section	.text._ZN7rocprim17ROCPRIM_400000_NS6detail17trampoline_kernelINS0_14default_configENS1_27upper_bound_config_selectorIxlEEZNS1_14transform_implILb0ES3_S5_N6thrust23THRUST_200600_302600_NS17counting_iteratorIxNS8_11use_defaultESA_SA_EEPlZNS1_13binary_searchIS3_S5_PxSB_SC_NS1_21upper_bound_search_opENS8_6detail16wrapped_functionINS0_4lessIvEEbEEEE10hipError_tPvRmT1_T2_T3_mmT4_T5_P12ihipStream_tbEUlRKxE_EESL_SP_SQ_mSR_SU_bEUlT_E_NS1_11comp_targetILNS1_3genE0ELNS1_11target_archE4294967295ELNS1_3gpuE0ELNS1_3repE0EEENS1_30default_config_static_selectorELNS0_4arch9wavefront6targetE0EEEvSO_,"axG",@progbits,_ZN7rocprim17ROCPRIM_400000_NS6detail17trampoline_kernelINS0_14default_configENS1_27upper_bound_config_selectorIxlEEZNS1_14transform_implILb0ES3_S5_N6thrust23THRUST_200600_302600_NS17counting_iteratorIxNS8_11use_defaultESA_SA_EEPlZNS1_13binary_searchIS3_S5_PxSB_SC_NS1_21upper_bound_search_opENS8_6detail16wrapped_functionINS0_4lessIvEEbEEEE10hipError_tPvRmT1_T2_T3_mmT4_T5_P12ihipStream_tbEUlRKxE_EESL_SP_SQ_mSR_SU_bEUlT_E_NS1_11comp_targetILNS1_3genE0ELNS1_11target_archE4294967295ELNS1_3gpuE0ELNS1_3repE0EEENS1_30default_config_static_selectorELNS0_4arch9wavefront6targetE0EEEvSO_,comdat
	.protected	_ZN7rocprim17ROCPRIM_400000_NS6detail17trampoline_kernelINS0_14default_configENS1_27upper_bound_config_selectorIxlEEZNS1_14transform_implILb0ES3_S5_N6thrust23THRUST_200600_302600_NS17counting_iteratorIxNS8_11use_defaultESA_SA_EEPlZNS1_13binary_searchIS3_S5_PxSB_SC_NS1_21upper_bound_search_opENS8_6detail16wrapped_functionINS0_4lessIvEEbEEEE10hipError_tPvRmT1_T2_T3_mmT4_T5_P12ihipStream_tbEUlRKxE_EESL_SP_SQ_mSR_SU_bEUlT_E_NS1_11comp_targetILNS1_3genE0ELNS1_11target_archE4294967295ELNS1_3gpuE0ELNS1_3repE0EEENS1_30default_config_static_selectorELNS0_4arch9wavefront6targetE0EEEvSO_ ; -- Begin function _ZN7rocprim17ROCPRIM_400000_NS6detail17trampoline_kernelINS0_14default_configENS1_27upper_bound_config_selectorIxlEEZNS1_14transform_implILb0ES3_S5_N6thrust23THRUST_200600_302600_NS17counting_iteratorIxNS8_11use_defaultESA_SA_EEPlZNS1_13binary_searchIS3_S5_PxSB_SC_NS1_21upper_bound_search_opENS8_6detail16wrapped_functionINS0_4lessIvEEbEEEE10hipError_tPvRmT1_T2_T3_mmT4_T5_P12ihipStream_tbEUlRKxE_EESL_SP_SQ_mSR_SU_bEUlT_E_NS1_11comp_targetILNS1_3genE0ELNS1_11target_archE4294967295ELNS1_3gpuE0ELNS1_3repE0EEENS1_30default_config_static_selectorELNS0_4arch9wavefront6targetE0EEEvSO_
	.globl	_ZN7rocprim17ROCPRIM_400000_NS6detail17trampoline_kernelINS0_14default_configENS1_27upper_bound_config_selectorIxlEEZNS1_14transform_implILb0ES3_S5_N6thrust23THRUST_200600_302600_NS17counting_iteratorIxNS8_11use_defaultESA_SA_EEPlZNS1_13binary_searchIS3_S5_PxSB_SC_NS1_21upper_bound_search_opENS8_6detail16wrapped_functionINS0_4lessIvEEbEEEE10hipError_tPvRmT1_T2_T3_mmT4_T5_P12ihipStream_tbEUlRKxE_EESL_SP_SQ_mSR_SU_bEUlT_E_NS1_11comp_targetILNS1_3genE0ELNS1_11target_archE4294967295ELNS1_3gpuE0ELNS1_3repE0EEENS1_30default_config_static_selectorELNS0_4arch9wavefront6targetE0EEEvSO_
	.p2align	8
	.type	_ZN7rocprim17ROCPRIM_400000_NS6detail17trampoline_kernelINS0_14default_configENS1_27upper_bound_config_selectorIxlEEZNS1_14transform_implILb0ES3_S5_N6thrust23THRUST_200600_302600_NS17counting_iteratorIxNS8_11use_defaultESA_SA_EEPlZNS1_13binary_searchIS3_S5_PxSB_SC_NS1_21upper_bound_search_opENS8_6detail16wrapped_functionINS0_4lessIvEEbEEEE10hipError_tPvRmT1_T2_T3_mmT4_T5_P12ihipStream_tbEUlRKxE_EESL_SP_SQ_mSR_SU_bEUlT_E_NS1_11comp_targetILNS1_3genE0ELNS1_11target_archE4294967295ELNS1_3gpuE0ELNS1_3repE0EEENS1_30default_config_static_selectorELNS0_4arch9wavefront6targetE0EEEvSO_,@function
_ZN7rocprim17ROCPRIM_400000_NS6detail17trampoline_kernelINS0_14default_configENS1_27upper_bound_config_selectorIxlEEZNS1_14transform_implILb0ES3_S5_N6thrust23THRUST_200600_302600_NS17counting_iteratorIxNS8_11use_defaultESA_SA_EEPlZNS1_13binary_searchIS3_S5_PxSB_SC_NS1_21upper_bound_search_opENS8_6detail16wrapped_functionINS0_4lessIvEEbEEEE10hipError_tPvRmT1_T2_T3_mmT4_T5_P12ihipStream_tbEUlRKxE_EESL_SP_SQ_mSR_SU_bEUlT_E_NS1_11comp_targetILNS1_3genE0ELNS1_11target_archE4294967295ELNS1_3gpuE0ELNS1_3repE0EEENS1_30default_config_static_selectorELNS0_4arch9wavefront6targetE0EEEvSO_: ; @_ZN7rocprim17ROCPRIM_400000_NS6detail17trampoline_kernelINS0_14default_configENS1_27upper_bound_config_selectorIxlEEZNS1_14transform_implILb0ES3_S5_N6thrust23THRUST_200600_302600_NS17counting_iteratorIxNS8_11use_defaultESA_SA_EEPlZNS1_13binary_searchIS3_S5_PxSB_SC_NS1_21upper_bound_search_opENS8_6detail16wrapped_functionINS0_4lessIvEEbEEEE10hipError_tPvRmT1_T2_T3_mmT4_T5_P12ihipStream_tbEUlRKxE_EESL_SP_SQ_mSR_SU_bEUlT_E_NS1_11comp_targetILNS1_3genE0ELNS1_11target_archE4294967295ELNS1_3gpuE0ELNS1_3repE0EEENS1_30default_config_static_selectorELNS0_4arch9wavefront6targetE0EEEvSO_
; %bb.0:
	.section	.rodata,"a",@progbits
	.p2align	6, 0x0
	.amdhsa_kernel _ZN7rocprim17ROCPRIM_400000_NS6detail17trampoline_kernelINS0_14default_configENS1_27upper_bound_config_selectorIxlEEZNS1_14transform_implILb0ES3_S5_N6thrust23THRUST_200600_302600_NS17counting_iteratorIxNS8_11use_defaultESA_SA_EEPlZNS1_13binary_searchIS3_S5_PxSB_SC_NS1_21upper_bound_search_opENS8_6detail16wrapped_functionINS0_4lessIvEEbEEEE10hipError_tPvRmT1_T2_T3_mmT4_T5_P12ihipStream_tbEUlRKxE_EESL_SP_SQ_mSR_SU_bEUlT_E_NS1_11comp_targetILNS1_3genE0ELNS1_11target_archE4294967295ELNS1_3gpuE0ELNS1_3repE0EEENS1_30default_config_static_selectorELNS0_4arch9wavefront6targetE0EEEvSO_
		.amdhsa_group_segment_fixed_size 0
		.amdhsa_private_segment_fixed_size 0
		.amdhsa_kernarg_size 56
		.amdhsa_user_sgpr_count 15
		.amdhsa_user_sgpr_dispatch_ptr 0
		.amdhsa_user_sgpr_queue_ptr 0
		.amdhsa_user_sgpr_kernarg_segment_ptr 1
		.amdhsa_user_sgpr_dispatch_id 0
		.amdhsa_user_sgpr_private_segment_size 0
		.amdhsa_wavefront_size32 1
		.amdhsa_uses_dynamic_stack 0
		.amdhsa_enable_private_segment 0
		.amdhsa_system_sgpr_workgroup_id_x 1
		.amdhsa_system_sgpr_workgroup_id_y 0
		.amdhsa_system_sgpr_workgroup_id_z 0
		.amdhsa_system_sgpr_workgroup_info 0
		.amdhsa_system_vgpr_workitem_id 0
		.amdhsa_next_free_vgpr 1
		.amdhsa_next_free_sgpr 1
		.amdhsa_reserve_vcc 0
		.amdhsa_float_round_mode_32 0
		.amdhsa_float_round_mode_16_64 0
		.amdhsa_float_denorm_mode_32 3
		.amdhsa_float_denorm_mode_16_64 3
		.amdhsa_dx10_clamp 1
		.amdhsa_ieee_mode 1
		.amdhsa_fp16_overflow 0
		.amdhsa_workgroup_processor_mode 1
		.amdhsa_memory_ordered 1
		.amdhsa_forward_progress 0
		.amdhsa_shared_vgpr_count 0
		.amdhsa_exception_fp_ieee_invalid_op 0
		.amdhsa_exception_fp_denorm_src 0
		.amdhsa_exception_fp_ieee_div_zero 0
		.amdhsa_exception_fp_ieee_overflow 0
		.amdhsa_exception_fp_ieee_underflow 0
		.amdhsa_exception_fp_ieee_inexact 0
		.amdhsa_exception_int_div_zero 0
	.end_amdhsa_kernel
	.section	.text._ZN7rocprim17ROCPRIM_400000_NS6detail17trampoline_kernelINS0_14default_configENS1_27upper_bound_config_selectorIxlEEZNS1_14transform_implILb0ES3_S5_N6thrust23THRUST_200600_302600_NS17counting_iteratorIxNS8_11use_defaultESA_SA_EEPlZNS1_13binary_searchIS3_S5_PxSB_SC_NS1_21upper_bound_search_opENS8_6detail16wrapped_functionINS0_4lessIvEEbEEEE10hipError_tPvRmT1_T2_T3_mmT4_T5_P12ihipStream_tbEUlRKxE_EESL_SP_SQ_mSR_SU_bEUlT_E_NS1_11comp_targetILNS1_3genE0ELNS1_11target_archE4294967295ELNS1_3gpuE0ELNS1_3repE0EEENS1_30default_config_static_selectorELNS0_4arch9wavefront6targetE0EEEvSO_,"axG",@progbits,_ZN7rocprim17ROCPRIM_400000_NS6detail17trampoline_kernelINS0_14default_configENS1_27upper_bound_config_selectorIxlEEZNS1_14transform_implILb0ES3_S5_N6thrust23THRUST_200600_302600_NS17counting_iteratorIxNS8_11use_defaultESA_SA_EEPlZNS1_13binary_searchIS3_S5_PxSB_SC_NS1_21upper_bound_search_opENS8_6detail16wrapped_functionINS0_4lessIvEEbEEEE10hipError_tPvRmT1_T2_T3_mmT4_T5_P12ihipStream_tbEUlRKxE_EESL_SP_SQ_mSR_SU_bEUlT_E_NS1_11comp_targetILNS1_3genE0ELNS1_11target_archE4294967295ELNS1_3gpuE0ELNS1_3repE0EEENS1_30default_config_static_selectorELNS0_4arch9wavefront6targetE0EEEvSO_,comdat
.Lfunc_end139:
	.size	_ZN7rocprim17ROCPRIM_400000_NS6detail17trampoline_kernelINS0_14default_configENS1_27upper_bound_config_selectorIxlEEZNS1_14transform_implILb0ES3_S5_N6thrust23THRUST_200600_302600_NS17counting_iteratorIxNS8_11use_defaultESA_SA_EEPlZNS1_13binary_searchIS3_S5_PxSB_SC_NS1_21upper_bound_search_opENS8_6detail16wrapped_functionINS0_4lessIvEEbEEEE10hipError_tPvRmT1_T2_T3_mmT4_T5_P12ihipStream_tbEUlRKxE_EESL_SP_SQ_mSR_SU_bEUlT_E_NS1_11comp_targetILNS1_3genE0ELNS1_11target_archE4294967295ELNS1_3gpuE0ELNS1_3repE0EEENS1_30default_config_static_selectorELNS0_4arch9wavefront6targetE0EEEvSO_, .Lfunc_end139-_ZN7rocprim17ROCPRIM_400000_NS6detail17trampoline_kernelINS0_14default_configENS1_27upper_bound_config_selectorIxlEEZNS1_14transform_implILb0ES3_S5_N6thrust23THRUST_200600_302600_NS17counting_iteratorIxNS8_11use_defaultESA_SA_EEPlZNS1_13binary_searchIS3_S5_PxSB_SC_NS1_21upper_bound_search_opENS8_6detail16wrapped_functionINS0_4lessIvEEbEEEE10hipError_tPvRmT1_T2_T3_mmT4_T5_P12ihipStream_tbEUlRKxE_EESL_SP_SQ_mSR_SU_bEUlT_E_NS1_11comp_targetILNS1_3genE0ELNS1_11target_archE4294967295ELNS1_3gpuE0ELNS1_3repE0EEENS1_30default_config_static_selectorELNS0_4arch9wavefront6targetE0EEEvSO_
                                        ; -- End function
	.section	.AMDGPU.csdata,"",@progbits
; Kernel info:
; codeLenInByte = 0
; NumSgprs: 0
; NumVgprs: 0
; ScratchSize: 0
; MemoryBound: 0
; FloatMode: 240
; IeeeMode: 1
; LDSByteSize: 0 bytes/workgroup (compile time only)
; SGPRBlocks: 0
; VGPRBlocks: 0
; NumSGPRsForWavesPerEU: 1
; NumVGPRsForWavesPerEU: 1
; Occupancy: 16
; WaveLimiterHint : 0
; COMPUTE_PGM_RSRC2:SCRATCH_EN: 0
; COMPUTE_PGM_RSRC2:USER_SGPR: 15
; COMPUTE_PGM_RSRC2:TRAP_HANDLER: 0
; COMPUTE_PGM_RSRC2:TGID_X_EN: 1
; COMPUTE_PGM_RSRC2:TGID_Y_EN: 0
; COMPUTE_PGM_RSRC2:TGID_Z_EN: 0
; COMPUTE_PGM_RSRC2:TIDIG_COMP_CNT: 0
	.section	.text._ZN7rocprim17ROCPRIM_400000_NS6detail17trampoline_kernelINS0_14default_configENS1_27upper_bound_config_selectorIxlEEZNS1_14transform_implILb0ES3_S5_N6thrust23THRUST_200600_302600_NS17counting_iteratorIxNS8_11use_defaultESA_SA_EEPlZNS1_13binary_searchIS3_S5_PxSB_SC_NS1_21upper_bound_search_opENS8_6detail16wrapped_functionINS0_4lessIvEEbEEEE10hipError_tPvRmT1_T2_T3_mmT4_T5_P12ihipStream_tbEUlRKxE_EESL_SP_SQ_mSR_SU_bEUlT_E_NS1_11comp_targetILNS1_3genE5ELNS1_11target_archE942ELNS1_3gpuE9ELNS1_3repE0EEENS1_30default_config_static_selectorELNS0_4arch9wavefront6targetE0EEEvSO_,"axG",@progbits,_ZN7rocprim17ROCPRIM_400000_NS6detail17trampoline_kernelINS0_14default_configENS1_27upper_bound_config_selectorIxlEEZNS1_14transform_implILb0ES3_S5_N6thrust23THRUST_200600_302600_NS17counting_iteratorIxNS8_11use_defaultESA_SA_EEPlZNS1_13binary_searchIS3_S5_PxSB_SC_NS1_21upper_bound_search_opENS8_6detail16wrapped_functionINS0_4lessIvEEbEEEE10hipError_tPvRmT1_T2_T3_mmT4_T5_P12ihipStream_tbEUlRKxE_EESL_SP_SQ_mSR_SU_bEUlT_E_NS1_11comp_targetILNS1_3genE5ELNS1_11target_archE942ELNS1_3gpuE9ELNS1_3repE0EEENS1_30default_config_static_selectorELNS0_4arch9wavefront6targetE0EEEvSO_,comdat
	.protected	_ZN7rocprim17ROCPRIM_400000_NS6detail17trampoline_kernelINS0_14default_configENS1_27upper_bound_config_selectorIxlEEZNS1_14transform_implILb0ES3_S5_N6thrust23THRUST_200600_302600_NS17counting_iteratorIxNS8_11use_defaultESA_SA_EEPlZNS1_13binary_searchIS3_S5_PxSB_SC_NS1_21upper_bound_search_opENS8_6detail16wrapped_functionINS0_4lessIvEEbEEEE10hipError_tPvRmT1_T2_T3_mmT4_T5_P12ihipStream_tbEUlRKxE_EESL_SP_SQ_mSR_SU_bEUlT_E_NS1_11comp_targetILNS1_3genE5ELNS1_11target_archE942ELNS1_3gpuE9ELNS1_3repE0EEENS1_30default_config_static_selectorELNS0_4arch9wavefront6targetE0EEEvSO_ ; -- Begin function _ZN7rocprim17ROCPRIM_400000_NS6detail17trampoline_kernelINS0_14default_configENS1_27upper_bound_config_selectorIxlEEZNS1_14transform_implILb0ES3_S5_N6thrust23THRUST_200600_302600_NS17counting_iteratorIxNS8_11use_defaultESA_SA_EEPlZNS1_13binary_searchIS3_S5_PxSB_SC_NS1_21upper_bound_search_opENS8_6detail16wrapped_functionINS0_4lessIvEEbEEEE10hipError_tPvRmT1_T2_T3_mmT4_T5_P12ihipStream_tbEUlRKxE_EESL_SP_SQ_mSR_SU_bEUlT_E_NS1_11comp_targetILNS1_3genE5ELNS1_11target_archE942ELNS1_3gpuE9ELNS1_3repE0EEENS1_30default_config_static_selectorELNS0_4arch9wavefront6targetE0EEEvSO_
	.globl	_ZN7rocprim17ROCPRIM_400000_NS6detail17trampoline_kernelINS0_14default_configENS1_27upper_bound_config_selectorIxlEEZNS1_14transform_implILb0ES3_S5_N6thrust23THRUST_200600_302600_NS17counting_iteratorIxNS8_11use_defaultESA_SA_EEPlZNS1_13binary_searchIS3_S5_PxSB_SC_NS1_21upper_bound_search_opENS8_6detail16wrapped_functionINS0_4lessIvEEbEEEE10hipError_tPvRmT1_T2_T3_mmT4_T5_P12ihipStream_tbEUlRKxE_EESL_SP_SQ_mSR_SU_bEUlT_E_NS1_11comp_targetILNS1_3genE5ELNS1_11target_archE942ELNS1_3gpuE9ELNS1_3repE0EEENS1_30default_config_static_selectorELNS0_4arch9wavefront6targetE0EEEvSO_
	.p2align	8
	.type	_ZN7rocprim17ROCPRIM_400000_NS6detail17trampoline_kernelINS0_14default_configENS1_27upper_bound_config_selectorIxlEEZNS1_14transform_implILb0ES3_S5_N6thrust23THRUST_200600_302600_NS17counting_iteratorIxNS8_11use_defaultESA_SA_EEPlZNS1_13binary_searchIS3_S5_PxSB_SC_NS1_21upper_bound_search_opENS8_6detail16wrapped_functionINS0_4lessIvEEbEEEE10hipError_tPvRmT1_T2_T3_mmT4_T5_P12ihipStream_tbEUlRKxE_EESL_SP_SQ_mSR_SU_bEUlT_E_NS1_11comp_targetILNS1_3genE5ELNS1_11target_archE942ELNS1_3gpuE9ELNS1_3repE0EEENS1_30default_config_static_selectorELNS0_4arch9wavefront6targetE0EEEvSO_,@function
_ZN7rocprim17ROCPRIM_400000_NS6detail17trampoline_kernelINS0_14default_configENS1_27upper_bound_config_selectorIxlEEZNS1_14transform_implILb0ES3_S5_N6thrust23THRUST_200600_302600_NS17counting_iteratorIxNS8_11use_defaultESA_SA_EEPlZNS1_13binary_searchIS3_S5_PxSB_SC_NS1_21upper_bound_search_opENS8_6detail16wrapped_functionINS0_4lessIvEEbEEEE10hipError_tPvRmT1_T2_T3_mmT4_T5_P12ihipStream_tbEUlRKxE_EESL_SP_SQ_mSR_SU_bEUlT_E_NS1_11comp_targetILNS1_3genE5ELNS1_11target_archE942ELNS1_3gpuE9ELNS1_3repE0EEENS1_30default_config_static_selectorELNS0_4arch9wavefront6targetE0EEEvSO_: ; @_ZN7rocprim17ROCPRIM_400000_NS6detail17trampoline_kernelINS0_14default_configENS1_27upper_bound_config_selectorIxlEEZNS1_14transform_implILb0ES3_S5_N6thrust23THRUST_200600_302600_NS17counting_iteratorIxNS8_11use_defaultESA_SA_EEPlZNS1_13binary_searchIS3_S5_PxSB_SC_NS1_21upper_bound_search_opENS8_6detail16wrapped_functionINS0_4lessIvEEbEEEE10hipError_tPvRmT1_T2_T3_mmT4_T5_P12ihipStream_tbEUlRKxE_EESL_SP_SQ_mSR_SU_bEUlT_E_NS1_11comp_targetILNS1_3genE5ELNS1_11target_archE942ELNS1_3gpuE9ELNS1_3repE0EEENS1_30default_config_static_selectorELNS0_4arch9wavefront6targetE0EEEvSO_
; %bb.0:
	.section	.rodata,"a",@progbits
	.p2align	6, 0x0
	.amdhsa_kernel _ZN7rocprim17ROCPRIM_400000_NS6detail17trampoline_kernelINS0_14default_configENS1_27upper_bound_config_selectorIxlEEZNS1_14transform_implILb0ES3_S5_N6thrust23THRUST_200600_302600_NS17counting_iteratorIxNS8_11use_defaultESA_SA_EEPlZNS1_13binary_searchIS3_S5_PxSB_SC_NS1_21upper_bound_search_opENS8_6detail16wrapped_functionINS0_4lessIvEEbEEEE10hipError_tPvRmT1_T2_T3_mmT4_T5_P12ihipStream_tbEUlRKxE_EESL_SP_SQ_mSR_SU_bEUlT_E_NS1_11comp_targetILNS1_3genE5ELNS1_11target_archE942ELNS1_3gpuE9ELNS1_3repE0EEENS1_30default_config_static_selectorELNS0_4arch9wavefront6targetE0EEEvSO_
		.amdhsa_group_segment_fixed_size 0
		.amdhsa_private_segment_fixed_size 0
		.amdhsa_kernarg_size 56
		.amdhsa_user_sgpr_count 15
		.amdhsa_user_sgpr_dispatch_ptr 0
		.amdhsa_user_sgpr_queue_ptr 0
		.amdhsa_user_sgpr_kernarg_segment_ptr 1
		.amdhsa_user_sgpr_dispatch_id 0
		.amdhsa_user_sgpr_private_segment_size 0
		.amdhsa_wavefront_size32 1
		.amdhsa_uses_dynamic_stack 0
		.amdhsa_enable_private_segment 0
		.amdhsa_system_sgpr_workgroup_id_x 1
		.amdhsa_system_sgpr_workgroup_id_y 0
		.amdhsa_system_sgpr_workgroup_id_z 0
		.amdhsa_system_sgpr_workgroup_info 0
		.amdhsa_system_vgpr_workitem_id 0
		.amdhsa_next_free_vgpr 1
		.amdhsa_next_free_sgpr 1
		.amdhsa_reserve_vcc 0
		.amdhsa_float_round_mode_32 0
		.amdhsa_float_round_mode_16_64 0
		.amdhsa_float_denorm_mode_32 3
		.amdhsa_float_denorm_mode_16_64 3
		.amdhsa_dx10_clamp 1
		.amdhsa_ieee_mode 1
		.amdhsa_fp16_overflow 0
		.amdhsa_workgroup_processor_mode 1
		.amdhsa_memory_ordered 1
		.amdhsa_forward_progress 0
		.amdhsa_shared_vgpr_count 0
		.amdhsa_exception_fp_ieee_invalid_op 0
		.amdhsa_exception_fp_denorm_src 0
		.amdhsa_exception_fp_ieee_div_zero 0
		.amdhsa_exception_fp_ieee_overflow 0
		.amdhsa_exception_fp_ieee_underflow 0
		.amdhsa_exception_fp_ieee_inexact 0
		.amdhsa_exception_int_div_zero 0
	.end_amdhsa_kernel
	.section	.text._ZN7rocprim17ROCPRIM_400000_NS6detail17trampoline_kernelINS0_14default_configENS1_27upper_bound_config_selectorIxlEEZNS1_14transform_implILb0ES3_S5_N6thrust23THRUST_200600_302600_NS17counting_iteratorIxNS8_11use_defaultESA_SA_EEPlZNS1_13binary_searchIS3_S5_PxSB_SC_NS1_21upper_bound_search_opENS8_6detail16wrapped_functionINS0_4lessIvEEbEEEE10hipError_tPvRmT1_T2_T3_mmT4_T5_P12ihipStream_tbEUlRKxE_EESL_SP_SQ_mSR_SU_bEUlT_E_NS1_11comp_targetILNS1_3genE5ELNS1_11target_archE942ELNS1_3gpuE9ELNS1_3repE0EEENS1_30default_config_static_selectorELNS0_4arch9wavefront6targetE0EEEvSO_,"axG",@progbits,_ZN7rocprim17ROCPRIM_400000_NS6detail17trampoline_kernelINS0_14default_configENS1_27upper_bound_config_selectorIxlEEZNS1_14transform_implILb0ES3_S5_N6thrust23THRUST_200600_302600_NS17counting_iteratorIxNS8_11use_defaultESA_SA_EEPlZNS1_13binary_searchIS3_S5_PxSB_SC_NS1_21upper_bound_search_opENS8_6detail16wrapped_functionINS0_4lessIvEEbEEEE10hipError_tPvRmT1_T2_T3_mmT4_T5_P12ihipStream_tbEUlRKxE_EESL_SP_SQ_mSR_SU_bEUlT_E_NS1_11comp_targetILNS1_3genE5ELNS1_11target_archE942ELNS1_3gpuE9ELNS1_3repE0EEENS1_30default_config_static_selectorELNS0_4arch9wavefront6targetE0EEEvSO_,comdat
.Lfunc_end140:
	.size	_ZN7rocprim17ROCPRIM_400000_NS6detail17trampoline_kernelINS0_14default_configENS1_27upper_bound_config_selectorIxlEEZNS1_14transform_implILb0ES3_S5_N6thrust23THRUST_200600_302600_NS17counting_iteratorIxNS8_11use_defaultESA_SA_EEPlZNS1_13binary_searchIS3_S5_PxSB_SC_NS1_21upper_bound_search_opENS8_6detail16wrapped_functionINS0_4lessIvEEbEEEE10hipError_tPvRmT1_T2_T3_mmT4_T5_P12ihipStream_tbEUlRKxE_EESL_SP_SQ_mSR_SU_bEUlT_E_NS1_11comp_targetILNS1_3genE5ELNS1_11target_archE942ELNS1_3gpuE9ELNS1_3repE0EEENS1_30default_config_static_selectorELNS0_4arch9wavefront6targetE0EEEvSO_, .Lfunc_end140-_ZN7rocprim17ROCPRIM_400000_NS6detail17trampoline_kernelINS0_14default_configENS1_27upper_bound_config_selectorIxlEEZNS1_14transform_implILb0ES3_S5_N6thrust23THRUST_200600_302600_NS17counting_iteratorIxNS8_11use_defaultESA_SA_EEPlZNS1_13binary_searchIS3_S5_PxSB_SC_NS1_21upper_bound_search_opENS8_6detail16wrapped_functionINS0_4lessIvEEbEEEE10hipError_tPvRmT1_T2_T3_mmT4_T5_P12ihipStream_tbEUlRKxE_EESL_SP_SQ_mSR_SU_bEUlT_E_NS1_11comp_targetILNS1_3genE5ELNS1_11target_archE942ELNS1_3gpuE9ELNS1_3repE0EEENS1_30default_config_static_selectorELNS0_4arch9wavefront6targetE0EEEvSO_
                                        ; -- End function
	.section	.AMDGPU.csdata,"",@progbits
; Kernel info:
; codeLenInByte = 0
; NumSgprs: 0
; NumVgprs: 0
; ScratchSize: 0
; MemoryBound: 0
; FloatMode: 240
; IeeeMode: 1
; LDSByteSize: 0 bytes/workgroup (compile time only)
; SGPRBlocks: 0
; VGPRBlocks: 0
; NumSGPRsForWavesPerEU: 1
; NumVGPRsForWavesPerEU: 1
; Occupancy: 16
; WaveLimiterHint : 0
; COMPUTE_PGM_RSRC2:SCRATCH_EN: 0
; COMPUTE_PGM_RSRC2:USER_SGPR: 15
; COMPUTE_PGM_RSRC2:TRAP_HANDLER: 0
; COMPUTE_PGM_RSRC2:TGID_X_EN: 1
; COMPUTE_PGM_RSRC2:TGID_Y_EN: 0
; COMPUTE_PGM_RSRC2:TGID_Z_EN: 0
; COMPUTE_PGM_RSRC2:TIDIG_COMP_CNT: 0
	.section	.text._ZN7rocprim17ROCPRIM_400000_NS6detail17trampoline_kernelINS0_14default_configENS1_27upper_bound_config_selectorIxlEEZNS1_14transform_implILb0ES3_S5_N6thrust23THRUST_200600_302600_NS17counting_iteratorIxNS8_11use_defaultESA_SA_EEPlZNS1_13binary_searchIS3_S5_PxSB_SC_NS1_21upper_bound_search_opENS8_6detail16wrapped_functionINS0_4lessIvEEbEEEE10hipError_tPvRmT1_T2_T3_mmT4_T5_P12ihipStream_tbEUlRKxE_EESL_SP_SQ_mSR_SU_bEUlT_E_NS1_11comp_targetILNS1_3genE4ELNS1_11target_archE910ELNS1_3gpuE8ELNS1_3repE0EEENS1_30default_config_static_selectorELNS0_4arch9wavefront6targetE0EEEvSO_,"axG",@progbits,_ZN7rocprim17ROCPRIM_400000_NS6detail17trampoline_kernelINS0_14default_configENS1_27upper_bound_config_selectorIxlEEZNS1_14transform_implILb0ES3_S5_N6thrust23THRUST_200600_302600_NS17counting_iteratorIxNS8_11use_defaultESA_SA_EEPlZNS1_13binary_searchIS3_S5_PxSB_SC_NS1_21upper_bound_search_opENS8_6detail16wrapped_functionINS0_4lessIvEEbEEEE10hipError_tPvRmT1_T2_T3_mmT4_T5_P12ihipStream_tbEUlRKxE_EESL_SP_SQ_mSR_SU_bEUlT_E_NS1_11comp_targetILNS1_3genE4ELNS1_11target_archE910ELNS1_3gpuE8ELNS1_3repE0EEENS1_30default_config_static_selectorELNS0_4arch9wavefront6targetE0EEEvSO_,comdat
	.protected	_ZN7rocprim17ROCPRIM_400000_NS6detail17trampoline_kernelINS0_14default_configENS1_27upper_bound_config_selectorIxlEEZNS1_14transform_implILb0ES3_S5_N6thrust23THRUST_200600_302600_NS17counting_iteratorIxNS8_11use_defaultESA_SA_EEPlZNS1_13binary_searchIS3_S5_PxSB_SC_NS1_21upper_bound_search_opENS8_6detail16wrapped_functionINS0_4lessIvEEbEEEE10hipError_tPvRmT1_T2_T3_mmT4_T5_P12ihipStream_tbEUlRKxE_EESL_SP_SQ_mSR_SU_bEUlT_E_NS1_11comp_targetILNS1_3genE4ELNS1_11target_archE910ELNS1_3gpuE8ELNS1_3repE0EEENS1_30default_config_static_selectorELNS0_4arch9wavefront6targetE0EEEvSO_ ; -- Begin function _ZN7rocprim17ROCPRIM_400000_NS6detail17trampoline_kernelINS0_14default_configENS1_27upper_bound_config_selectorIxlEEZNS1_14transform_implILb0ES3_S5_N6thrust23THRUST_200600_302600_NS17counting_iteratorIxNS8_11use_defaultESA_SA_EEPlZNS1_13binary_searchIS3_S5_PxSB_SC_NS1_21upper_bound_search_opENS8_6detail16wrapped_functionINS0_4lessIvEEbEEEE10hipError_tPvRmT1_T2_T3_mmT4_T5_P12ihipStream_tbEUlRKxE_EESL_SP_SQ_mSR_SU_bEUlT_E_NS1_11comp_targetILNS1_3genE4ELNS1_11target_archE910ELNS1_3gpuE8ELNS1_3repE0EEENS1_30default_config_static_selectorELNS0_4arch9wavefront6targetE0EEEvSO_
	.globl	_ZN7rocprim17ROCPRIM_400000_NS6detail17trampoline_kernelINS0_14default_configENS1_27upper_bound_config_selectorIxlEEZNS1_14transform_implILb0ES3_S5_N6thrust23THRUST_200600_302600_NS17counting_iteratorIxNS8_11use_defaultESA_SA_EEPlZNS1_13binary_searchIS3_S5_PxSB_SC_NS1_21upper_bound_search_opENS8_6detail16wrapped_functionINS0_4lessIvEEbEEEE10hipError_tPvRmT1_T2_T3_mmT4_T5_P12ihipStream_tbEUlRKxE_EESL_SP_SQ_mSR_SU_bEUlT_E_NS1_11comp_targetILNS1_3genE4ELNS1_11target_archE910ELNS1_3gpuE8ELNS1_3repE0EEENS1_30default_config_static_selectorELNS0_4arch9wavefront6targetE0EEEvSO_
	.p2align	8
	.type	_ZN7rocprim17ROCPRIM_400000_NS6detail17trampoline_kernelINS0_14default_configENS1_27upper_bound_config_selectorIxlEEZNS1_14transform_implILb0ES3_S5_N6thrust23THRUST_200600_302600_NS17counting_iteratorIxNS8_11use_defaultESA_SA_EEPlZNS1_13binary_searchIS3_S5_PxSB_SC_NS1_21upper_bound_search_opENS8_6detail16wrapped_functionINS0_4lessIvEEbEEEE10hipError_tPvRmT1_T2_T3_mmT4_T5_P12ihipStream_tbEUlRKxE_EESL_SP_SQ_mSR_SU_bEUlT_E_NS1_11comp_targetILNS1_3genE4ELNS1_11target_archE910ELNS1_3gpuE8ELNS1_3repE0EEENS1_30default_config_static_selectorELNS0_4arch9wavefront6targetE0EEEvSO_,@function
_ZN7rocprim17ROCPRIM_400000_NS6detail17trampoline_kernelINS0_14default_configENS1_27upper_bound_config_selectorIxlEEZNS1_14transform_implILb0ES3_S5_N6thrust23THRUST_200600_302600_NS17counting_iteratorIxNS8_11use_defaultESA_SA_EEPlZNS1_13binary_searchIS3_S5_PxSB_SC_NS1_21upper_bound_search_opENS8_6detail16wrapped_functionINS0_4lessIvEEbEEEE10hipError_tPvRmT1_T2_T3_mmT4_T5_P12ihipStream_tbEUlRKxE_EESL_SP_SQ_mSR_SU_bEUlT_E_NS1_11comp_targetILNS1_3genE4ELNS1_11target_archE910ELNS1_3gpuE8ELNS1_3repE0EEENS1_30default_config_static_selectorELNS0_4arch9wavefront6targetE0EEEvSO_: ; @_ZN7rocprim17ROCPRIM_400000_NS6detail17trampoline_kernelINS0_14default_configENS1_27upper_bound_config_selectorIxlEEZNS1_14transform_implILb0ES3_S5_N6thrust23THRUST_200600_302600_NS17counting_iteratorIxNS8_11use_defaultESA_SA_EEPlZNS1_13binary_searchIS3_S5_PxSB_SC_NS1_21upper_bound_search_opENS8_6detail16wrapped_functionINS0_4lessIvEEbEEEE10hipError_tPvRmT1_T2_T3_mmT4_T5_P12ihipStream_tbEUlRKxE_EESL_SP_SQ_mSR_SU_bEUlT_E_NS1_11comp_targetILNS1_3genE4ELNS1_11target_archE910ELNS1_3gpuE8ELNS1_3repE0EEENS1_30default_config_static_selectorELNS0_4arch9wavefront6targetE0EEEvSO_
; %bb.0:
	.section	.rodata,"a",@progbits
	.p2align	6, 0x0
	.amdhsa_kernel _ZN7rocprim17ROCPRIM_400000_NS6detail17trampoline_kernelINS0_14default_configENS1_27upper_bound_config_selectorIxlEEZNS1_14transform_implILb0ES3_S5_N6thrust23THRUST_200600_302600_NS17counting_iteratorIxNS8_11use_defaultESA_SA_EEPlZNS1_13binary_searchIS3_S5_PxSB_SC_NS1_21upper_bound_search_opENS8_6detail16wrapped_functionINS0_4lessIvEEbEEEE10hipError_tPvRmT1_T2_T3_mmT4_T5_P12ihipStream_tbEUlRKxE_EESL_SP_SQ_mSR_SU_bEUlT_E_NS1_11comp_targetILNS1_3genE4ELNS1_11target_archE910ELNS1_3gpuE8ELNS1_3repE0EEENS1_30default_config_static_selectorELNS0_4arch9wavefront6targetE0EEEvSO_
		.amdhsa_group_segment_fixed_size 0
		.amdhsa_private_segment_fixed_size 0
		.amdhsa_kernarg_size 56
		.amdhsa_user_sgpr_count 15
		.amdhsa_user_sgpr_dispatch_ptr 0
		.amdhsa_user_sgpr_queue_ptr 0
		.amdhsa_user_sgpr_kernarg_segment_ptr 1
		.amdhsa_user_sgpr_dispatch_id 0
		.amdhsa_user_sgpr_private_segment_size 0
		.amdhsa_wavefront_size32 1
		.amdhsa_uses_dynamic_stack 0
		.amdhsa_enable_private_segment 0
		.amdhsa_system_sgpr_workgroup_id_x 1
		.amdhsa_system_sgpr_workgroup_id_y 0
		.amdhsa_system_sgpr_workgroup_id_z 0
		.amdhsa_system_sgpr_workgroup_info 0
		.amdhsa_system_vgpr_workitem_id 0
		.amdhsa_next_free_vgpr 1
		.amdhsa_next_free_sgpr 1
		.amdhsa_reserve_vcc 0
		.amdhsa_float_round_mode_32 0
		.amdhsa_float_round_mode_16_64 0
		.amdhsa_float_denorm_mode_32 3
		.amdhsa_float_denorm_mode_16_64 3
		.amdhsa_dx10_clamp 1
		.amdhsa_ieee_mode 1
		.amdhsa_fp16_overflow 0
		.amdhsa_workgroup_processor_mode 1
		.amdhsa_memory_ordered 1
		.amdhsa_forward_progress 0
		.amdhsa_shared_vgpr_count 0
		.amdhsa_exception_fp_ieee_invalid_op 0
		.amdhsa_exception_fp_denorm_src 0
		.amdhsa_exception_fp_ieee_div_zero 0
		.amdhsa_exception_fp_ieee_overflow 0
		.amdhsa_exception_fp_ieee_underflow 0
		.amdhsa_exception_fp_ieee_inexact 0
		.amdhsa_exception_int_div_zero 0
	.end_amdhsa_kernel
	.section	.text._ZN7rocprim17ROCPRIM_400000_NS6detail17trampoline_kernelINS0_14default_configENS1_27upper_bound_config_selectorIxlEEZNS1_14transform_implILb0ES3_S5_N6thrust23THRUST_200600_302600_NS17counting_iteratorIxNS8_11use_defaultESA_SA_EEPlZNS1_13binary_searchIS3_S5_PxSB_SC_NS1_21upper_bound_search_opENS8_6detail16wrapped_functionINS0_4lessIvEEbEEEE10hipError_tPvRmT1_T2_T3_mmT4_T5_P12ihipStream_tbEUlRKxE_EESL_SP_SQ_mSR_SU_bEUlT_E_NS1_11comp_targetILNS1_3genE4ELNS1_11target_archE910ELNS1_3gpuE8ELNS1_3repE0EEENS1_30default_config_static_selectorELNS0_4arch9wavefront6targetE0EEEvSO_,"axG",@progbits,_ZN7rocprim17ROCPRIM_400000_NS6detail17trampoline_kernelINS0_14default_configENS1_27upper_bound_config_selectorIxlEEZNS1_14transform_implILb0ES3_S5_N6thrust23THRUST_200600_302600_NS17counting_iteratorIxNS8_11use_defaultESA_SA_EEPlZNS1_13binary_searchIS3_S5_PxSB_SC_NS1_21upper_bound_search_opENS8_6detail16wrapped_functionINS0_4lessIvEEbEEEE10hipError_tPvRmT1_T2_T3_mmT4_T5_P12ihipStream_tbEUlRKxE_EESL_SP_SQ_mSR_SU_bEUlT_E_NS1_11comp_targetILNS1_3genE4ELNS1_11target_archE910ELNS1_3gpuE8ELNS1_3repE0EEENS1_30default_config_static_selectorELNS0_4arch9wavefront6targetE0EEEvSO_,comdat
.Lfunc_end141:
	.size	_ZN7rocprim17ROCPRIM_400000_NS6detail17trampoline_kernelINS0_14default_configENS1_27upper_bound_config_selectorIxlEEZNS1_14transform_implILb0ES3_S5_N6thrust23THRUST_200600_302600_NS17counting_iteratorIxNS8_11use_defaultESA_SA_EEPlZNS1_13binary_searchIS3_S5_PxSB_SC_NS1_21upper_bound_search_opENS8_6detail16wrapped_functionINS0_4lessIvEEbEEEE10hipError_tPvRmT1_T2_T3_mmT4_T5_P12ihipStream_tbEUlRKxE_EESL_SP_SQ_mSR_SU_bEUlT_E_NS1_11comp_targetILNS1_3genE4ELNS1_11target_archE910ELNS1_3gpuE8ELNS1_3repE0EEENS1_30default_config_static_selectorELNS0_4arch9wavefront6targetE0EEEvSO_, .Lfunc_end141-_ZN7rocprim17ROCPRIM_400000_NS6detail17trampoline_kernelINS0_14default_configENS1_27upper_bound_config_selectorIxlEEZNS1_14transform_implILb0ES3_S5_N6thrust23THRUST_200600_302600_NS17counting_iteratorIxNS8_11use_defaultESA_SA_EEPlZNS1_13binary_searchIS3_S5_PxSB_SC_NS1_21upper_bound_search_opENS8_6detail16wrapped_functionINS0_4lessIvEEbEEEE10hipError_tPvRmT1_T2_T3_mmT4_T5_P12ihipStream_tbEUlRKxE_EESL_SP_SQ_mSR_SU_bEUlT_E_NS1_11comp_targetILNS1_3genE4ELNS1_11target_archE910ELNS1_3gpuE8ELNS1_3repE0EEENS1_30default_config_static_selectorELNS0_4arch9wavefront6targetE0EEEvSO_
                                        ; -- End function
	.section	.AMDGPU.csdata,"",@progbits
; Kernel info:
; codeLenInByte = 0
; NumSgprs: 0
; NumVgprs: 0
; ScratchSize: 0
; MemoryBound: 0
; FloatMode: 240
; IeeeMode: 1
; LDSByteSize: 0 bytes/workgroup (compile time only)
; SGPRBlocks: 0
; VGPRBlocks: 0
; NumSGPRsForWavesPerEU: 1
; NumVGPRsForWavesPerEU: 1
; Occupancy: 16
; WaveLimiterHint : 0
; COMPUTE_PGM_RSRC2:SCRATCH_EN: 0
; COMPUTE_PGM_RSRC2:USER_SGPR: 15
; COMPUTE_PGM_RSRC2:TRAP_HANDLER: 0
; COMPUTE_PGM_RSRC2:TGID_X_EN: 1
; COMPUTE_PGM_RSRC2:TGID_Y_EN: 0
; COMPUTE_PGM_RSRC2:TGID_Z_EN: 0
; COMPUTE_PGM_RSRC2:TIDIG_COMP_CNT: 0
	.section	.text._ZN7rocprim17ROCPRIM_400000_NS6detail17trampoline_kernelINS0_14default_configENS1_27upper_bound_config_selectorIxlEEZNS1_14transform_implILb0ES3_S5_N6thrust23THRUST_200600_302600_NS17counting_iteratorIxNS8_11use_defaultESA_SA_EEPlZNS1_13binary_searchIS3_S5_PxSB_SC_NS1_21upper_bound_search_opENS8_6detail16wrapped_functionINS0_4lessIvEEbEEEE10hipError_tPvRmT1_T2_T3_mmT4_T5_P12ihipStream_tbEUlRKxE_EESL_SP_SQ_mSR_SU_bEUlT_E_NS1_11comp_targetILNS1_3genE3ELNS1_11target_archE908ELNS1_3gpuE7ELNS1_3repE0EEENS1_30default_config_static_selectorELNS0_4arch9wavefront6targetE0EEEvSO_,"axG",@progbits,_ZN7rocprim17ROCPRIM_400000_NS6detail17trampoline_kernelINS0_14default_configENS1_27upper_bound_config_selectorIxlEEZNS1_14transform_implILb0ES3_S5_N6thrust23THRUST_200600_302600_NS17counting_iteratorIxNS8_11use_defaultESA_SA_EEPlZNS1_13binary_searchIS3_S5_PxSB_SC_NS1_21upper_bound_search_opENS8_6detail16wrapped_functionINS0_4lessIvEEbEEEE10hipError_tPvRmT1_T2_T3_mmT4_T5_P12ihipStream_tbEUlRKxE_EESL_SP_SQ_mSR_SU_bEUlT_E_NS1_11comp_targetILNS1_3genE3ELNS1_11target_archE908ELNS1_3gpuE7ELNS1_3repE0EEENS1_30default_config_static_selectorELNS0_4arch9wavefront6targetE0EEEvSO_,comdat
	.protected	_ZN7rocprim17ROCPRIM_400000_NS6detail17trampoline_kernelINS0_14default_configENS1_27upper_bound_config_selectorIxlEEZNS1_14transform_implILb0ES3_S5_N6thrust23THRUST_200600_302600_NS17counting_iteratorIxNS8_11use_defaultESA_SA_EEPlZNS1_13binary_searchIS3_S5_PxSB_SC_NS1_21upper_bound_search_opENS8_6detail16wrapped_functionINS0_4lessIvEEbEEEE10hipError_tPvRmT1_T2_T3_mmT4_T5_P12ihipStream_tbEUlRKxE_EESL_SP_SQ_mSR_SU_bEUlT_E_NS1_11comp_targetILNS1_3genE3ELNS1_11target_archE908ELNS1_3gpuE7ELNS1_3repE0EEENS1_30default_config_static_selectorELNS0_4arch9wavefront6targetE0EEEvSO_ ; -- Begin function _ZN7rocprim17ROCPRIM_400000_NS6detail17trampoline_kernelINS0_14default_configENS1_27upper_bound_config_selectorIxlEEZNS1_14transform_implILb0ES3_S5_N6thrust23THRUST_200600_302600_NS17counting_iteratorIxNS8_11use_defaultESA_SA_EEPlZNS1_13binary_searchIS3_S5_PxSB_SC_NS1_21upper_bound_search_opENS8_6detail16wrapped_functionINS0_4lessIvEEbEEEE10hipError_tPvRmT1_T2_T3_mmT4_T5_P12ihipStream_tbEUlRKxE_EESL_SP_SQ_mSR_SU_bEUlT_E_NS1_11comp_targetILNS1_3genE3ELNS1_11target_archE908ELNS1_3gpuE7ELNS1_3repE0EEENS1_30default_config_static_selectorELNS0_4arch9wavefront6targetE0EEEvSO_
	.globl	_ZN7rocprim17ROCPRIM_400000_NS6detail17trampoline_kernelINS0_14default_configENS1_27upper_bound_config_selectorIxlEEZNS1_14transform_implILb0ES3_S5_N6thrust23THRUST_200600_302600_NS17counting_iteratorIxNS8_11use_defaultESA_SA_EEPlZNS1_13binary_searchIS3_S5_PxSB_SC_NS1_21upper_bound_search_opENS8_6detail16wrapped_functionINS0_4lessIvEEbEEEE10hipError_tPvRmT1_T2_T3_mmT4_T5_P12ihipStream_tbEUlRKxE_EESL_SP_SQ_mSR_SU_bEUlT_E_NS1_11comp_targetILNS1_3genE3ELNS1_11target_archE908ELNS1_3gpuE7ELNS1_3repE0EEENS1_30default_config_static_selectorELNS0_4arch9wavefront6targetE0EEEvSO_
	.p2align	8
	.type	_ZN7rocprim17ROCPRIM_400000_NS6detail17trampoline_kernelINS0_14default_configENS1_27upper_bound_config_selectorIxlEEZNS1_14transform_implILb0ES3_S5_N6thrust23THRUST_200600_302600_NS17counting_iteratorIxNS8_11use_defaultESA_SA_EEPlZNS1_13binary_searchIS3_S5_PxSB_SC_NS1_21upper_bound_search_opENS8_6detail16wrapped_functionINS0_4lessIvEEbEEEE10hipError_tPvRmT1_T2_T3_mmT4_T5_P12ihipStream_tbEUlRKxE_EESL_SP_SQ_mSR_SU_bEUlT_E_NS1_11comp_targetILNS1_3genE3ELNS1_11target_archE908ELNS1_3gpuE7ELNS1_3repE0EEENS1_30default_config_static_selectorELNS0_4arch9wavefront6targetE0EEEvSO_,@function
_ZN7rocprim17ROCPRIM_400000_NS6detail17trampoline_kernelINS0_14default_configENS1_27upper_bound_config_selectorIxlEEZNS1_14transform_implILb0ES3_S5_N6thrust23THRUST_200600_302600_NS17counting_iteratorIxNS8_11use_defaultESA_SA_EEPlZNS1_13binary_searchIS3_S5_PxSB_SC_NS1_21upper_bound_search_opENS8_6detail16wrapped_functionINS0_4lessIvEEbEEEE10hipError_tPvRmT1_T2_T3_mmT4_T5_P12ihipStream_tbEUlRKxE_EESL_SP_SQ_mSR_SU_bEUlT_E_NS1_11comp_targetILNS1_3genE3ELNS1_11target_archE908ELNS1_3gpuE7ELNS1_3repE0EEENS1_30default_config_static_selectorELNS0_4arch9wavefront6targetE0EEEvSO_: ; @_ZN7rocprim17ROCPRIM_400000_NS6detail17trampoline_kernelINS0_14default_configENS1_27upper_bound_config_selectorIxlEEZNS1_14transform_implILb0ES3_S5_N6thrust23THRUST_200600_302600_NS17counting_iteratorIxNS8_11use_defaultESA_SA_EEPlZNS1_13binary_searchIS3_S5_PxSB_SC_NS1_21upper_bound_search_opENS8_6detail16wrapped_functionINS0_4lessIvEEbEEEE10hipError_tPvRmT1_T2_T3_mmT4_T5_P12ihipStream_tbEUlRKxE_EESL_SP_SQ_mSR_SU_bEUlT_E_NS1_11comp_targetILNS1_3genE3ELNS1_11target_archE908ELNS1_3gpuE7ELNS1_3repE0EEENS1_30default_config_static_selectorELNS0_4arch9wavefront6targetE0EEEvSO_
; %bb.0:
	.section	.rodata,"a",@progbits
	.p2align	6, 0x0
	.amdhsa_kernel _ZN7rocprim17ROCPRIM_400000_NS6detail17trampoline_kernelINS0_14default_configENS1_27upper_bound_config_selectorIxlEEZNS1_14transform_implILb0ES3_S5_N6thrust23THRUST_200600_302600_NS17counting_iteratorIxNS8_11use_defaultESA_SA_EEPlZNS1_13binary_searchIS3_S5_PxSB_SC_NS1_21upper_bound_search_opENS8_6detail16wrapped_functionINS0_4lessIvEEbEEEE10hipError_tPvRmT1_T2_T3_mmT4_T5_P12ihipStream_tbEUlRKxE_EESL_SP_SQ_mSR_SU_bEUlT_E_NS1_11comp_targetILNS1_3genE3ELNS1_11target_archE908ELNS1_3gpuE7ELNS1_3repE0EEENS1_30default_config_static_selectorELNS0_4arch9wavefront6targetE0EEEvSO_
		.amdhsa_group_segment_fixed_size 0
		.amdhsa_private_segment_fixed_size 0
		.amdhsa_kernarg_size 56
		.amdhsa_user_sgpr_count 15
		.amdhsa_user_sgpr_dispatch_ptr 0
		.amdhsa_user_sgpr_queue_ptr 0
		.amdhsa_user_sgpr_kernarg_segment_ptr 1
		.amdhsa_user_sgpr_dispatch_id 0
		.amdhsa_user_sgpr_private_segment_size 0
		.amdhsa_wavefront_size32 1
		.amdhsa_uses_dynamic_stack 0
		.amdhsa_enable_private_segment 0
		.amdhsa_system_sgpr_workgroup_id_x 1
		.amdhsa_system_sgpr_workgroup_id_y 0
		.amdhsa_system_sgpr_workgroup_id_z 0
		.amdhsa_system_sgpr_workgroup_info 0
		.amdhsa_system_vgpr_workitem_id 0
		.amdhsa_next_free_vgpr 1
		.amdhsa_next_free_sgpr 1
		.amdhsa_reserve_vcc 0
		.amdhsa_float_round_mode_32 0
		.amdhsa_float_round_mode_16_64 0
		.amdhsa_float_denorm_mode_32 3
		.amdhsa_float_denorm_mode_16_64 3
		.amdhsa_dx10_clamp 1
		.amdhsa_ieee_mode 1
		.amdhsa_fp16_overflow 0
		.amdhsa_workgroup_processor_mode 1
		.amdhsa_memory_ordered 1
		.amdhsa_forward_progress 0
		.amdhsa_shared_vgpr_count 0
		.amdhsa_exception_fp_ieee_invalid_op 0
		.amdhsa_exception_fp_denorm_src 0
		.amdhsa_exception_fp_ieee_div_zero 0
		.amdhsa_exception_fp_ieee_overflow 0
		.amdhsa_exception_fp_ieee_underflow 0
		.amdhsa_exception_fp_ieee_inexact 0
		.amdhsa_exception_int_div_zero 0
	.end_amdhsa_kernel
	.section	.text._ZN7rocprim17ROCPRIM_400000_NS6detail17trampoline_kernelINS0_14default_configENS1_27upper_bound_config_selectorIxlEEZNS1_14transform_implILb0ES3_S5_N6thrust23THRUST_200600_302600_NS17counting_iteratorIxNS8_11use_defaultESA_SA_EEPlZNS1_13binary_searchIS3_S5_PxSB_SC_NS1_21upper_bound_search_opENS8_6detail16wrapped_functionINS0_4lessIvEEbEEEE10hipError_tPvRmT1_T2_T3_mmT4_T5_P12ihipStream_tbEUlRKxE_EESL_SP_SQ_mSR_SU_bEUlT_E_NS1_11comp_targetILNS1_3genE3ELNS1_11target_archE908ELNS1_3gpuE7ELNS1_3repE0EEENS1_30default_config_static_selectorELNS0_4arch9wavefront6targetE0EEEvSO_,"axG",@progbits,_ZN7rocprim17ROCPRIM_400000_NS6detail17trampoline_kernelINS0_14default_configENS1_27upper_bound_config_selectorIxlEEZNS1_14transform_implILb0ES3_S5_N6thrust23THRUST_200600_302600_NS17counting_iteratorIxNS8_11use_defaultESA_SA_EEPlZNS1_13binary_searchIS3_S5_PxSB_SC_NS1_21upper_bound_search_opENS8_6detail16wrapped_functionINS0_4lessIvEEbEEEE10hipError_tPvRmT1_T2_T3_mmT4_T5_P12ihipStream_tbEUlRKxE_EESL_SP_SQ_mSR_SU_bEUlT_E_NS1_11comp_targetILNS1_3genE3ELNS1_11target_archE908ELNS1_3gpuE7ELNS1_3repE0EEENS1_30default_config_static_selectorELNS0_4arch9wavefront6targetE0EEEvSO_,comdat
.Lfunc_end142:
	.size	_ZN7rocprim17ROCPRIM_400000_NS6detail17trampoline_kernelINS0_14default_configENS1_27upper_bound_config_selectorIxlEEZNS1_14transform_implILb0ES3_S5_N6thrust23THRUST_200600_302600_NS17counting_iteratorIxNS8_11use_defaultESA_SA_EEPlZNS1_13binary_searchIS3_S5_PxSB_SC_NS1_21upper_bound_search_opENS8_6detail16wrapped_functionINS0_4lessIvEEbEEEE10hipError_tPvRmT1_T2_T3_mmT4_T5_P12ihipStream_tbEUlRKxE_EESL_SP_SQ_mSR_SU_bEUlT_E_NS1_11comp_targetILNS1_3genE3ELNS1_11target_archE908ELNS1_3gpuE7ELNS1_3repE0EEENS1_30default_config_static_selectorELNS0_4arch9wavefront6targetE0EEEvSO_, .Lfunc_end142-_ZN7rocprim17ROCPRIM_400000_NS6detail17trampoline_kernelINS0_14default_configENS1_27upper_bound_config_selectorIxlEEZNS1_14transform_implILb0ES3_S5_N6thrust23THRUST_200600_302600_NS17counting_iteratorIxNS8_11use_defaultESA_SA_EEPlZNS1_13binary_searchIS3_S5_PxSB_SC_NS1_21upper_bound_search_opENS8_6detail16wrapped_functionINS0_4lessIvEEbEEEE10hipError_tPvRmT1_T2_T3_mmT4_T5_P12ihipStream_tbEUlRKxE_EESL_SP_SQ_mSR_SU_bEUlT_E_NS1_11comp_targetILNS1_3genE3ELNS1_11target_archE908ELNS1_3gpuE7ELNS1_3repE0EEENS1_30default_config_static_selectorELNS0_4arch9wavefront6targetE0EEEvSO_
                                        ; -- End function
	.section	.AMDGPU.csdata,"",@progbits
; Kernel info:
; codeLenInByte = 0
; NumSgprs: 0
; NumVgprs: 0
; ScratchSize: 0
; MemoryBound: 0
; FloatMode: 240
; IeeeMode: 1
; LDSByteSize: 0 bytes/workgroup (compile time only)
; SGPRBlocks: 0
; VGPRBlocks: 0
; NumSGPRsForWavesPerEU: 1
; NumVGPRsForWavesPerEU: 1
; Occupancy: 16
; WaveLimiterHint : 0
; COMPUTE_PGM_RSRC2:SCRATCH_EN: 0
; COMPUTE_PGM_RSRC2:USER_SGPR: 15
; COMPUTE_PGM_RSRC2:TRAP_HANDLER: 0
; COMPUTE_PGM_RSRC2:TGID_X_EN: 1
; COMPUTE_PGM_RSRC2:TGID_Y_EN: 0
; COMPUTE_PGM_RSRC2:TGID_Z_EN: 0
; COMPUTE_PGM_RSRC2:TIDIG_COMP_CNT: 0
	.section	.text._ZN7rocprim17ROCPRIM_400000_NS6detail17trampoline_kernelINS0_14default_configENS1_27upper_bound_config_selectorIxlEEZNS1_14transform_implILb0ES3_S5_N6thrust23THRUST_200600_302600_NS17counting_iteratorIxNS8_11use_defaultESA_SA_EEPlZNS1_13binary_searchIS3_S5_PxSB_SC_NS1_21upper_bound_search_opENS8_6detail16wrapped_functionINS0_4lessIvEEbEEEE10hipError_tPvRmT1_T2_T3_mmT4_T5_P12ihipStream_tbEUlRKxE_EESL_SP_SQ_mSR_SU_bEUlT_E_NS1_11comp_targetILNS1_3genE2ELNS1_11target_archE906ELNS1_3gpuE6ELNS1_3repE0EEENS1_30default_config_static_selectorELNS0_4arch9wavefront6targetE0EEEvSO_,"axG",@progbits,_ZN7rocprim17ROCPRIM_400000_NS6detail17trampoline_kernelINS0_14default_configENS1_27upper_bound_config_selectorIxlEEZNS1_14transform_implILb0ES3_S5_N6thrust23THRUST_200600_302600_NS17counting_iteratorIxNS8_11use_defaultESA_SA_EEPlZNS1_13binary_searchIS3_S5_PxSB_SC_NS1_21upper_bound_search_opENS8_6detail16wrapped_functionINS0_4lessIvEEbEEEE10hipError_tPvRmT1_T2_T3_mmT4_T5_P12ihipStream_tbEUlRKxE_EESL_SP_SQ_mSR_SU_bEUlT_E_NS1_11comp_targetILNS1_3genE2ELNS1_11target_archE906ELNS1_3gpuE6ELNS1_3repE0EEENS1_30default_config_static_selectorELNS0_4arch9wavefront6targetE0EEEvSO_,comdat
	.protected	_ZN7rocprim17ROCPRIM_400000_NS6detail17trampoline_kernelINS0_14default_configENS1_27upper_bound_config_selectorIxlEEZNS1_14transform_implILb0ES3_S5_N6thrust23THRUST_200600_302600_NS17counting_iteratorIxNS8_11use_defaultESA_SA_EEPlZNS1_13binary_searchIS3_S5_PxSB_SC_NS1_21upper_bound_search_opENS8_6detail16wrapped_functionINS0_4lessIvEEbEEEE10hipError_tPvRmT1_T2_T3_mmT4_T5_P12ihipStream_tbEUlRKxE_EESL_SP_SQ_mSR_SU_bEUlT_E_NS1_11comp_targetILNS1_3genE2ELNS1_11target_archE906ELNS1_3gpuE6ELNS1_3repE0EEENS1_30default_config_static_selectorELNS0_4arch9wavefront6targetE0EEEvSO_ ; -- Begin function _ZN7rocprim17ROCPRIM_400000_NS6detail17trampoline_kernelINS0_14default_configENS1_27upper_bound_config_selectorIxlEEZNS1_14transform_implILb0ES3_S5_N6thrust23THRUST_200600_302600_NS17counting_iteratorIxNS8_11use_defaultESA_SA_EEPlZNS1_13binary_searchIS3_S5_PxSB_SC_NS1_21upper_bound_search_opENS8_6detail16wrapped_functionINS0_4lessIvEEbEEEE10hipError_tPvRmT1_T2_T3_mmT4_T5_P12ihipStream_tbEUlRKxE_EESL_SP_SQ_mSR_SU_bEUlT_E_NS1_11comp_targetILNS1_3genE2ELNS1_11target_archE906ELNS1_3gpuE6ELNS1_3repE0EEENS1_30default_config_static_selectorELNS0_4arch9wavefront6targetE0EEEvSO_
	.globl	_ZN7rocprim17ROCPRIM_400000_NS6detail17trampoline_kernelINS0_14default_configENS1_27upper_bound_config_selectorIxlEEZNS1_14transform_implILb0ES3_S5_N6thrust23THRUST_200600_302600_NS17counting_iteratorIxNS8_11use_defaultESA_SA_EEPlZNS1_13binary_searchIS3_S5_PxSB_SC_NS1_21upper_bound_search_opENS8_6detail16wrapped_functionINS0_4lessIvEEbEEEE10hipError_tPvRmT1_T2_T3_mmT4_T5_P12ihipStream_tbEUlRKxE_EESL_SP_SQ_mSR_SU_bEUlT_E_NS1_11comp_targetILNS1_3genE2ELNS1_11target_archE906ELNS1_3gpuE6ELNS1_3repE0EEENS1_30default_config_static_selectorELNS0_4arch9wavefront6targetE0EEEvSO_
	.p2align	8
	.type	_ZN7rocprim17ROCPRIM_400000_NS6detail17trampoline_kernelINS0_14default_configENS1_27upper_bound_config_selectorIxlEEZNS1_14transform_implILb0ES3_S5_N6thrust23THRUST_200600_302600_NS17counting_iteratorIxNS8_11use_defaultESA_SA_EEPlZNS1_13binary_searchIS3_S5_PxSB_SC_NS1_21upper_bound_search_opENS8_6detail16wrapped_functionINS0_4lessIvEEbEEEE10hipError_tPvRmT1_T2_T3_mmT4_T5_P12ihipStream_tbEUlRKxE_EESL_SP_SQ_mSR_SU_bEUlT_E_NS1_11comp_targetILNS1_3genE2ELNS1_11target_archE906ELNS1_3gpuE6ELNS1_3repE0EEENS1_30default_config_static_selectorELNS0_4arch9wavefront6targetE0EEEvSO_,@function
_ZN7rocprim17ROCPRIM_400000_NS6detail17trampoline_kernelINS0_14default_configENS1_27upper_bound_config_selectorIxlEEZNS1_14transform_implILb0ES3_S5_N6thrust23THRUST_200600_302600_NS17counting_iteratorIxNS8_11use_defaultESA_SA_EEPlZNS1_13binary_searchIS3_S5_PxSB_SC_NS1_21upper_bound_search_opENS8_6detail16wrapped_functionINS0_4lessIvEEbEEEE10hipError_tPvRmT1_T2_T3_mmT4_T5_P12ihipStream_tbEUlRKxE_EESL_SP_SQ_mSR_SU_bEUlT_E_NS1_11comp_targetILNS1_3genE2ELNS1_11target_archE906ELNS1_3gpuE6ELNS1_3repE0EEENS1_30default_config_static_selectorELNS0_4arch9wavefront6targetE0EEEvSO_: ; @_ZN7rocprim17ROCPRIM_400000_NS6detail17trampoline_kernelINS0_14default_configENS1_27upper_bound_config_selectorIxlEEZNS1_14transform_implILb0ES3_S5_N6thrust23THRUST_200600_302600_NS17counting_iteratorIxNS8_11use_defaultESA_SA_EEPlZNS1_13binary_searchIS3_S5_PxSB_SC_NS1_21upper_bound_search_opENS8_6detail16wrapped_functionINS0_4lessIvEEbEEEE10hipError_tPvRmT1_T2_T3_mmT4_T5_P12ihipStream_tbEUlRKxE_EESL_SP_SQ_mSR_SU_bEUlT_E_NS1_11comp_targetILNS1_3genE2ELNS1_11target_archE906ELNS1_3gpuE6ELNS1_3repE0EEENS1_30default_config_static_selectorELNS0_4arch9wavefront6targetE0EEEvSO_
; %bb.0:
	.section	.rodata,"a",@progbits
	.p2align	6, 0x0
	.amdhsa_kernel _ZN7rocprim17ROCPRIM_400000_NS6detail17trampoline_kernelINS0_14default_configENS1_27upper_bound_config_selectorIxlEEZNS1_14transform_implILb0ES3_S5_N6thrust23THRUST_200600_302600_NS17counting_iteratorIxNS8_11use_defaultESA_SA_EEPlZNS1_13binary_searchIS3_S5_PxSB_SC_NS1_21upper_bound_search_opENS8_6detail16wrapped_functionINS0_4lessIvEEbEEEE10hipError_tPvRmT1_T2_T3_mmT4_T5_P12ihipStream_tbEUlRKxE_EESL_SP_SQ_mSR_SU_bEUlT_E_NS1_11comp_targetILNS1_3genE2ELNS1_11target_archE906ELNS1_3gpuE6ELNS1_3repE0EEENS1_30default_config_static_selectorELNS0_4arch9wavefront6targetE0EEEvSO_
		.amdhsa_group_segment_fixed_size 0
		.amdhsa_private_segment_fixed_size 0
		.amdhsa_kernarg_size 56
		.amdhsa_user_sgpr_count 15
		.amdhsa_user_sgpr_dispatch_ptr 0
		.amdhsa_user_sgpr_queue_ptr 0
		.amdhsa_user_sgpr_kernarg_segment_ptr 1
		.amdhsa_user_sgpr_dispatch_id 0
		.amdhsa_user_sgpr_private_segment_size 0
		.amdhsa_wavefront_size32 1
		.amdhsa_uses_dynamic_stack 0
		.amdhsa_enable_private_segment 0
		.amdhsa_system_sgpr_workgroup_id_x 1
		.amdhsa_system_sgpr_workgroup_id_y 0
		.amdhsa_system_sgpr_workgroup_id_z 0
		.amdhsa_system_sgpr_workgroup_info 0
		.amdhsa_system_vgpr_workitem_id 0
		.amdhsa_next_free_vgpr 1
		.amdhsa_next_free_sgpr 1
		.amdhsa_reserve_vcc 0
		.amdhsa_float_round_mode_32 0
		.amdhsa_float_round_mode_16_64 0
		.amdhsa_float_denorm_mode_32 3
		.amdhsa_float_denorm_mode_16_64 3
		.amdhsa_dx10_clamp 1
		.amdhsa_ieee_mode 1
		.amdhsa_fp16_overflow 0
		.amdhsa_workgroup_processor_mode 1
		.amdhsa_memory_ordered 1
		.amdhsa_forward_progress 0
		.amdhsa_shared_vgpr_count 0
		.amdhsa_exception_fp_ieee_invalid_op 0
		.amdhsa_exception_fp_denorm_src 0
		.amdhsa_exception_fp_ieee_div_zero 0
		.amdhsa_exception_fp_ieee_overflow 0
		.amdhsa_exception_fp_ieee_underflow 0
		.amdhsa_exception_fp_ieee_inexact 0
		.amdhsa_exception_int_div_zero 0
	.end_amdhsa_kernel
	.section	.text._ZN7rocprim17ROCPRIM_400000_NS6detail17trampoline_kernelINS0_14default_configENS1_27upper_bound_config_selectorIxlEEZNS1_14transform_implILb0ES3_S5_N6thrust23THRUST_200600_302600_NS17counting_iteratorIxNS8_11use_defaultESA_SA_EEPlZNS1_13binary_searchIS3_S5_PxSB_SC_NS1_21upper_bound_search_opENS8_6detail16wrapped_functionINS0_4lessIvEEbEEEE10hipError_tPvRmT1_T2_T3_mmT4_T5_P12ihipStream_tbEUlRKxE_EESL_SP_SQ_mSR_SU_bEUlT_E_NS1_11comp_targetILNS1_3genE2ELNS1_11target_archE906ELNS1_3gpuE6ELNS1_3repE0EEENS1_30default_config_static_selectorELNS0_4arch9wavefront6targetE0EEEvSO_,"axG",@progbits,_ZN7rocprim17ROCPRIM_400000_NS6detail17trampoline_kernelINS0_14default_configENS1_27upper_bound_config_selectorIxlEEZNS1_14transform_implILb0ES3_S5_N6thrust23THRUST_200600_302600_NS17counting_iteratorIxNS8_11use_defaultESA_SA_EEPlZNS1_13binary_searchIS3_S5_PxSB_SC_NS1_21upper_bound_search_opENS8_6detail16wrapped_functionINS0_4lessIvEEbEEEE10hipError_tPvRmT1_T2_T3_mmT4_T5_P12ihipStream_tbEUlRKxE_EESL_SP_SQ_mSR_SU_bEUlT_E_NS1_11comp_targetILNS1_3genE2ELNS1_11target_archE906ELNS1_3gpuE6ELNS1_3repE0EEENS1_30default_config_static_selectorELNS0_4arch9wavefront6targetE0EEEvSO_,comdat
.Lfunc_end143:
	.size	_ZN7rocprim17ROCPRIM_400000_NS6detail17trampoline_kernelINS0_14default_configENS1_27upper_bound_config_selectorIxlEEZNS1_14transform_implILb0ES3_S5_N6thrust23THRUST_200600_302600_NS17counting_iteratorIxNS8_11use_defaultESA_SA_EEPlZNS1_13binary_searchIS3_S5_PxSB_SC_NS1_21upper_bound_search_opENS8_6detail16wrapped_functionINS0_4lessIvEEbEEEE10hipError_tPvRmT1_T2_T3_mmT4_T5_P12ihipStream_tbEUlRKxE_EESL_SP_SQ_mSR_SU_bEUlT_E_NS1_11comp_targetILNS1_3genE2ELNS1_11target_archE906ELNS1_3gpuE6ELNS1_3repE0EEENS1_30default_config_static_selectorELNS0_4arch9wavefront6targetE0EEEvSO_, .Lfunc_end143-_ZN7rocprim17ROCPRIM_400000_NS6detail17trampoline_kernelINS0_14default_configENS1_27upper_bound_config_selectorIxlEEZNS1_14transform_implILb0ES3_S5_N6thrust23THRUST_200600_302600_NS17counting_iteratorIxNS8_11use_defaultESA_SA_EEPlZNS1_13binary_searchIS3_S5_PxSB_SC_NS1_21upper_bound_search_opENS8_6detail16wrapped_functionINS0_4lessIvEEbEEEE10hipError_tPvRmT1_T2_T3_mmT4_T5_P12ihipStream_tbEUlRKxE_EESL_SP_SQ_mSR_SU_bEUlT_E_NS1_11comp_targetILNS1_3genE2ELNS1_11target_archE906ELNS1_3gpuE6ELNS1_3repE0EEENS1_30default_config_static_selectorELNS0_4arch9wavefront6targetE0EEEvSO_
                                        ; -- End function
	.section	.AMDGPU.csdata,"",@progbits
; Kernel info:
; codeLenInByte = 0
; NumSgprs: 0
; NumVgprs: 0
; ScratchSize: 0
; MemoryBound: 0
; FloatMode: 240
; IeeeMode: 1
; LDSByteSize: 0 bytes/workgroup (compile time only)
; SGPRBlocks: 0
; VGPRBlocks: 0
; NumSGPRsForWavesPerEU: 1
; NumVGPRsForWavesPerEU: 1
; Occupancy: 16
; WaveLimiterHint : 0
; COMPUTE_PGM_RSRC2:SCRATCH_EN: 0
; COMPUTE_PGM_RSRC2:USER_SGPR: 15
; COMPUTE_PGM_RSRC2:TRAP_HANDLER: 0
; COMPUTE_PGM_RSRC2:TGID_X_EN: 1
; COMPUTE_PGM_RSRC2:TGID_Y_EN: 0
; COMPUTE_PGM_RSRC2:TGID_Z_EN: 0
; COMPUTE_PGM_RSRC2:TIDIG_COMP_CNT: 0
	.section	.text._ZN7rocprim17ROCPRIM_400000_NS6detail17trampoline_kernelINS0_14default_configENS1_27upper_bound_config_selectorIxlEEZNS1_14transform_implILb0ES3_S5_N6thrust23THRUST_200600_302600_NS17counting_iteratorIxNS8_11use_defaultESA_SA_EEPlZNS1_13binary_searchIS3_S5_PxSB_SC_NS1_21upper_bound_search_opENS8_6detail16wrapped_functionINS0_4lessIvEEbEEEE10hipError_tPvRmT1_T2_T3_mmT4_T5_P12ihipStream_tbEUlRKxE_EESL_SP_SQ_mSR_SU_bEUlT_E_NS1_11comp_targetILNS1_3genE10ELNS1_11target_archE1201ELNS1_3gpuE5ELNS1_3repE0EEENS1_30default_config_static_selectorELNS0_4arch9wavefront6targetE0EEEvSO_,"axG",@progbits,_ZN7rocprim17ROCPRIM_400000_NS6detail17trampoline_kernelINS0_14default_configENS1_27upper_bound_config_selectorIxlEEZNS1_14transform_implILb0ES3_S5_N6thrust23THRUST_200600_302600_NS17counting_iteratorIxNS8_11use_defaultESA_SA_EEPlZNS1_13binary_searchIS3_S5_PxSB_SC_NS1_21upper_bound_search_opENS8_6detail16wrapped_functionINS0_4lessIvEEbEEEE10hipError_tPvRmT1_T2_T3_mmT4_T5_P12ihipStream_tbEUlRKxE_EESL_SP_SQ_mSR_SU_bEUlT_E_NS1_11comp_targetILNS1_3genE10ELNS1_11target_archE1201ELNS1_3gpuE5ELNS1_3repE0EEENS1_30default_config_static_selectorELNS0_4arch9wavefront6targetE0EEEvSO_,comdat
	.protected	_ZN7rocprim17ROCPRIM_400000_NS6detail17trampoline_kernelINS0_14default_configENS1_27upper_bound_config_selectorIxlEEZNS1_14transform_implILb0ES3_S5_N6thrust23THRUST_200600_302600_NS17counting_iteratorIxNS8_11use_defaultESA_SA_EEPlZNS1_13binary_searchIS3_S5_PxSB_SC_NS1_21upper_bound_search_opENS8_6detail16wrapped_functionINS0_4lessIvEEbEEEE10hipError_tPvRmT1_T2_T3_mmT4_T5_P12ihipStream_tbEUlRKxE_EESL_SP_SQ_mSR_SU_bEUlT_E_NS1_11comp_targetILNS1_3genE10ELNS1_11target_archE1201ELNS1_3gpuE5ELNS1_3repE0EEENS1_30default_config_static_selectorELNS0_4arch9wavefront6targetE0EEEvSO_ ; -- Begin function _ZN7rocprim17ROCPRIM_400000_NS6detail17trampoline_kernelINS0_14default_configENS1_27upper_bound_config_selectorIxlEEZNS1_14transform_implILb0ES3_S5_N6thrust23THRUST_200600_302600_NS17counting_iteratorIxNS8_11use_defaultESA_SA_EEPlZNS1_13binary_searchIS3_S5_PxSB_SC_NS1_21upper_bound_search_opENS8_6detail16wrapped_functionINS0_4lessIvEEbEEEE10hipError_tPvRmT1_T2_T3_mmT4_T5_P12ihipStream_tbEUlRKxE_EESL_SP_SQ_mSR_SU_bEUlT_E_NS1_11comp_targetILNS1_3genE10ELNS1_11target_archE1201ELNS1_3gpuE5ELNS1_3repE0EEENS1_30default_config_static_selectorELNS0_4arch9wavefront6targetE0EEEvSO_
	.globl	_ZN7rocprim17ROCPRIM_400000_NS6detail17trampoline_kernelINS0_14default_configENS1_27upper_bound_config_selectorIxlEEZNS1_14transform_implILb0ES3_S5_N6thrust23THRUST_200600_302600_NS17counting_iteratorIxNS8_11use_defaultESA_SA_EEPlZNS1_13binary_searchIS3_S5_PxSB_SC_NS1_21upper_bound_search_opENS8_6detail16wrapped_functionINS0_4lessIvEEbEEEE10hipError_tPvRmT1_T2_T3_mmT4_T5_P12ihipStream_tbEUlRKxE_EESL_SP_SQ_mSR_SU_bEUlT_E_NS1_11comp_targetILNS1_3genE10ELNS1_11target_archE1201ELNS1_3gpuE5ELNS1_3repE0EEENS1_30default_config_static_selectorELNS0_4arch9wavefront6targetE0EEEvSO_
	.p2align	8
	.type	_ZN7rocprim17ROCPRIM_400000_NS6detail17trampoline_kernelINS0_14default_configENS1_27upper_bound_config_selectorIxlEEZNS1_14transform_implILb0ES3_S5_N6thrust23THRUST_200600_302600_NS17counting_iteratorIxNS8_11use_defaultESA_SA_EEPlZNS1_13binary_searchIS3_S5_PxSB_SC_NS1_21upper_bound_search_opENS8_6detail16wrapped_functionINS0_4lessIvEEbEEEE10hipError_tPvRmT1_T2_T3_mmT4_T5_P12ihipStream_tbEUlRKxE_EESL_SP_SQ_mSR_SU_bEUlT_E_NS1_11comp_targetILNS1_3genE10ELNS1_11target_archE1201ELNS1_3gpuE5ELNS1_3repE0EEENS1_30default_config_static_selectorELNS0_4arch9wavefront6targetE0EEEvSO_,@function
_ZN7rocprim17ROCPRIM_400000_NS6detail17trampoline_kernelINS0_14default_configENS1_27upper_bound_config_selectorIxlEEZNS1_14transform_implILb0ES3_S5_N6thrust23THRUST_200600_302600_NS17counting_iteratorIxNS8_11use_defaultESA_SA_EEPlZNS1_13binary_searchIS3_S5_PxSB_SC_NS1_21upper_bound_search_opENS8_6detail16wrapped_functionINS0_4lessIvEEbEEEE10hipError_tPvRmT1_T2_T3_mmT4_T5_P12ihipStream_tbEUlRKxE_EESL_SP_SQ_mSR_SU_bEUlT_E_NS1_11comp_targetILNS1_3genE10ELNS1_11target_archE1201ELNS1_3gpuE5ELNS1_3repE0EEENS1_30default_config_static_selectorELNS0_4arch9wavefront6targetE0EEEvSO_: ; @_ZN7rocprim17ROCPRIM_400000_NS6detail17trampoline_kernelINS0_14default_configENS1_27upper_bound_config_selectorIxlEEZNS1_14transform_implILb0ES3_S5_N6thrust23THRUST_200600_302600_NS17counting_iteratorIxNS8_11use_defaultESA_SA_EEPlZNS1_13binary_searchIS3_S5_PxSB_SC_NS1_21upper_bound_search_opENS8_6detail16wrapped_functionINS0_4lessIvEEbEEEE10hipError_tPvRmT1_T2_T3_mmT4_T5_P12ihipStream_tbEUlRKxE_EESL_SP_SQ_mSR_SU_bEUlT_E_NS1_11comp_targetILNS1_3genE10ELNS1_11target_archE1201ELNS1_3gpuE5ELNS1_3repE0EEENS1_30default_config_static_selectorELNS0_4arch9wavefront6targetE0EEEvSO_
; %bb.0:
	.section	.rodata,"a",@progbits
	.p2align	6, 0x0
	.amdhsa_kernel _ZN7rocprim17ROCPRIM_400000_NS6detail17trampoline_kernelINS0_14default_configENS1_27upper_bound_config_selectorIxlEEZNS1_14transform_implILb0ES3_S5_N6thrust23THRUST_200600_302600_NS17counting_iteratorIxNS8_11use_defaultESA_SA_EEPlZNS1_13binary_searchIS3_S5_PxSB_SC_NS1_21upper_bound_search_opENS8_6detail16wrapped_functionINS0_4lessIvEEbEEEE10hipError_tPvRmT1_T2_T3_mmT4_T5_P12ihipStream_tbEUlRKxE_EESL_SP_SQ_mSR_SU_bEUlT_E_NS1_11comp_targetILNS1_3genE10ELNS1_11target_archE1201ELNS1_3gpuE5ELNS1_3repE0EEENS1_30default_config_static_selectorELNS0_4arch9wavefront6targetE0EEEvSO_
		.amdhsa_group_segment_fixed_size 0
		.amdhsa_private_segment_fixed_size 0
		.amdhsa_kernarg_size 56
		.amdhsa_user_sgpr_count 15
		.amdhsa_user_sgpr_dispatch_ptr 0
		.amdhsa_user_sgpr_queue_ptr 0
		.amdhsa_user_sgpr_kernarg_segment_ptr 1
		.amdhsa_user_sgpr_dispatch_id 0
		.amdhsa_user_sgpr_private_segment_size 0
		.amdhsa_wavefront_size32 1
		.amdhsa_uses_dynamic_stack 0
		.amdhsa_enable_private_segment 0
		.amdhsa_system_sgpr_workgroup_id_x 1
		.amdhsa_system_sgpr_workgroup_id_y 0
		.amdhsa_system_sgpr_workgroup_id_z 0
		.amdhsa_system_sgpr_workgroup_info 0
		.amdhsa_system_vgpr_workitem_id 0
		.amdhsa_next_free_vgpr 1
		.amdhsa_next_free_sgpr 1
		.amdhsa_reserve_vcc 0
		.amdhsa_float_round_mode_32 0
		.amdhsa_float_round_mode_16_64 0
		.amdhsa_float_denorm_mode_32 3
		.amdhsa_float_denorm_mode_16_64 3
		.amdhsa_dx10_clamp 1
		.amdhsa_ieee_mode 1
		.amdhsa_fp16_overflow 0
		.amdhsa_workgroup_processor_mode 1
		.amdhsa_memory_ordered 1
		.amdhsa_forward_progress 0
		.amdhsa_shared_vgpr_count 0
		.amdhsa_exception_fp_ieee_invalid_op 0
		.amdhsa_exception_fp_denorm_src 0
		.amdhsa_exception_fp_ieee_div_zero 0
		.amdhsa_exception_fp_ieee_overflow 0
		.amdhsa_exception_fp_ieee_underflow 0
		.amdhsa_exception_fp_ieee_inexact 0
		.amdhsa_exception_int_div_zero 0
	.end_amdhsa_kernel
	.section	.text._ZN7rocprim17ROCPRIM_400000_NS6detail17trampoline_kernelINS0_14default_configENS1_27upper_bound_config_selectorIxlEEZNS1_14transform_implILb0ES3_S5_N6thrust23THRUST_200600_302600_NS17counting_iteratorIxNS8_11use_defaultESA_SA_EEPlZNS1_13binary_searchIS3_S5_PxSB_SC_NS1_21upper_bound_search_opENS8_6detail16wrapped_functionINS0_4lessIvEEbEEEE10hipError_tPvRmT1_T2_T3_mmT4_T5_P12ihipStream_tbEUlRKxE_EESL_SP_SQ_mSR_SU_bEUlT_E_NS1_11comp_targetILNS1_3genE10ELNS1_11target_archE1201ELNS1_3gpuE5ELNS1_3repE0EEENS1_30default_config_static_selectorELNS0_4arch9wavefront6targetE0EEEvSO_,"axG",@progbits,_ZN7rocprim17ROCPRIM_400000_NS6detail17trampoline_kernelINS0_14default_configENS1_27upper_bound_config_selectorIxlEEZNS1_14transform_implILb0ES3_S5_N6thrust23THRUST_200600_302600_NS17counting_iteratorIxNS8_11use_defaultESA_SA_EEPlZNS1_13binary_searchIS3_S5_PxSB_SC_NS1_21upper_bound_search_opENS8_6detail16wrapped_functionINS0_4lessIvEEbEEEE10hipError_tPvRmT1_T2_T3_mmT4_T5_P12ihipStream_tbEUlRKxE_EESL_SP_SQ_mSR_SU_bEUlT_E_NS1_11comp_targetILNS1_3genE10ELNS1_11target_archE1201ELNS1_3gpuE5ELNS1_3repE0EEENS1_30default_config_static_selectorELNS0_4arch9wavefront6targetE0EEEvSO_,comdat
.Lfunc_end144:
	.size	_ZN7rocprim17ROCPRIM_400000_NS6detail17trampoline_kernelINS0_14default_configENS1_27upper_bound_config_selectorIxlEEZNS1_14transform_implILb0ES3_S5_N6thrust23THRUST_200600_302600_NS17counting_iteratorIxNS8_11use_defaultESA_SA_EEPlZNS1_13binary_searchIS3_S5_PxSB_SC_NS1_21upper_bound_search_opENS8_6detail16wrapped_functionINS0_4lessIvEEbEEEE10hipError_tPvRmT1_T2_T3_mmT4_T5_P12ihipStream_tbEUlRKxE_EESL_SP_SQ_mSR_SU_bEUlT_E_NS1_11comp_targetILNS1_3genE10ELNS1_11target_archE1201ELNS1_3gpuE5ELNS1_3repE0EEENS1_30default_config_static_selectorELNS0_4arch9wavefront6targetE0EEEvSO_, .Lfunc_end144-_ZN7rocprim17ROCPRIM_400000_NS6detail17trampoline_kernelINS0_14default_configENS1_27upper_bound_config_selectorIxlEEZNS1_14transform_implILb0ES3_S5_N6thrust23THRUST_200600_302600_NS17counting_iteratorIxNS8_11use_defaultESA_SA_EEPlZNS1_13binary_searchIS3_S5_PxSB_SC_NS1_21upper_bound_search_opENS8_6detail16wrapped_functionINS0_4lessIvEEbEEEE10hipError_tPvRmT1_T2_T3_mmT4_T5_P12ihipStream_tbEUlRKxE_EESL_SP_SQ_mSR_SU_bEUlT_E_NS1_11comp_targetILNS1_3genE10ELNS1_11target_archE1201ELNS1_3gpuE5ELNS1_3repE0EEENS1_30default_config_static_selectorELNS0_4arch9wavefront6targetE0EEEvSO_
                                        ; -- End function
	.section	.AMDGPU.csdata,"",@progbits
; Kernel info:
; codeLenInByte = 0
; NumSgprs: 0
; NumVgprs: 0
; ScratchSize: 0
; MemoryBound: 0
; FloatMode: 240
; IeeeMode: 1
; LDSByteSize: 0 bytes/workgroup (compile time only)
; SGPRBlocks: 0
; VGPRBlocks: 0
; NumSGPRsForWavesPerEU: 1
; NumVGPRsForWavesPerEU: 1
; Occupancy: 16
; WaveLimiterHint : 0
; COMPUTE_PGM_RSRC2:SCRATCH_EN: 0
; COMPUTE_PGM_RSRC2:USER_SGPR: 15
; COMPUTE_PGM_RSRC2:TRAP_HANDLER: 0
; COMPUTE_PGM_RSRC2:TGID_X_EN: 1
; COMPUTE_PGM_RSRC2:TGID_Y_EN: 0
; COMPUTE_PGM_RSRC2:TGID_Z_EN: 0
; COMPUTE_PGM_RSRC2:TIDIG_COMP_CNT: 0
	.section	.text._ZN7rocprim17ROCPRIM_400000_NS6detail17trampoline_kernelINS0_14default_configENS1_27upper_bound_config_selectorIxlEEZNS1_14transform_implILb0ES3_S5_N6thrust23THRUST_200600_302600_NS17counting_iteratorIxNS8_11use_defaultESA_SA_EEPlZNS1_13binary_searchIS3_S5_PxSB_SC_NS1_21upper_bound_search_opENS8_6detail16wrapped_functionINS0_4lessIvEEbEEEE10hipError_tPvRmT1_T2_T3_mmT4_T5_P12ihipStream_tbEUlRKxE_EESL_SP_SQ_mSR_SU_bEUlT_E_NS1_11comp_targetILNS1_3genE10ELNS1_11target_archE1200ELNS1_3gpuE4ELNS1_3repE0EEENS1_30default_config_static_selectorELNS0_4arch9wavefront6targetE0EEEvSO_,"axG",@progbits,_ZN7rocprim17ROCPRIM_400000_NS6detail17trampoline_kernelINS0_14default_configENS1_27upper_bound_config_selectorIxlEEZNS1_14transform_implILb0ES3_S5_N6thrust23THRUST_200600_302600_NS17counting_iteratorIxNS8_11use_defaultESA_SA_EEPlZNS1_13binary_searchIS3_S5_PxSB_SC_NS1_21upper_bound_search_opENS8_6detail16wrapped_functionINS0_4lessIvEEbEEEE10hipError_tPvRmT1_T2_T3_mmT4_T5_P12ihipStream_tbEUlRKxE_EESL_SP_SQ_mSR_SU_bEUlT_E_NS1_11comp_targetILNS1_3genE10ELNS1_11target_archE1200ELNS1_3gpuE4ELNS1_3repE0EEENS1_30default_config_static_selectorELNS0_4arch9wavefront6targetE0EEEvSO_,comdat
	.protected	_ZN7rocprim17ROCPRIM_400000_NS6detail17trampoline_kernelINS0_14default_configENS1_27upper_bound_config_selectorIxlEEZNS1_14transform_implILb0ES3_S5_N6thrust23THRUST_200600_302600_NS17counting_iteratorIxNS8_11use_defaultESA_SA_EEPlZNS1_13binary_searchIS3_S5_PxSB_SC_NS1_21upper_bound_search_opENS8_6detail16wrapped_functionINS0_4lessIvEEbEEEE10hipError_tPvRmT1_T2_T3_mmT4_T5_P12ihipStream_tbEUlRKxE_EESL_SP_SQ_mSR_SU_bEUlT_E_NS1_11comp_targetILNS1_3genE10ELNS1_11target_archE1200ELNS1_3gpuE4ELNS1_3repE0EEENS1_30default_config_static_selectorELNS0_4arch9wavefront6targetE0EEEvSO_ ; -- Begin function _ZN7rocprim17ROCPRIM_400000_NS6detail17trampoline_kernelINS0_14default_configENS1_27upper_bound_config_selectorIxlEEZNS1_14transform_implILb0ES3_S5_N6thrust23THRUST_200600_302600_NS17counting_iteratorIxNS8_11use_defaultESA_SA_EEPlZNS1_13binary_searchIS3_S5_PxSB_SC_NS1_21upper_bound_search_opENS8_6detail16wrapped_functionINS0_4lessIvEEbEEEE10hipError_tPvRmT1_T2_T3_mmT4_T5_P12ihipStream_tbEUlRKxE_EESL_SP_SQ_mSR_SU_bEUlT_E_NS1_11comp_targetILNS1_3genE10ELNS1_11target_archE1200ELNS1_3gpuE4ELNS1_3repE0EEENS1_30default_config_static_selectorELNS0_4arch9wavefront6targetE0EEEvSO_
	.globl	_ZN7rocprim17ROCPRIM_400000_NS6detail17trampoline_kernelINS0_14default_configENS1_27upper_bound_config_selectorIxlEEZNS1_14transform_implILb0ES3_S5_N6thrust23THRUST_200600_302600_NS17counting_iteratorIxNS8_11use_defaultESA_SA_EEPlZNS1_13binary_searchIS3_S5_PxSB_SC_NS1_21upper_bound_search_opENS8_6detail16wrapped_functionINS0_4lessIvEEbEEEE10hipError_tPvRmT1_T2_T3_mmT4_T5_P12ihipStream_tbEUlRKxE_EESL_SP_SQ_mSR_SU_bEUlT_E_NS1_11comp_targetILNS1_3genE10ELNS1_11target_archE1200ELNS1_3gpuE4ELNS1_3repE0EEENS1_30default_config_static_selectorELNS0_4arch9wavefront6targetE0EEEvSO_
	.p2align	8
	.type	_ZN7rocprim17ROCPRIM_400000_NS6detail17trampoline_kernelINS0_14default_configENS1_27upper_bound_config_selectorIxlEEZNS1_14transform_implILb0ES3_S5_N6thrust23THRUST_200600_302600_NS17counting_iteratorIxNS8_11use_defaultESA_SA_EEPlZNS1_13binary_searchIS3_S5_PxSB_SC_NS1_21upper_bound_search_opENS8_6detail16wrapped_functionINS0_4lessIvEEbEEEE10hipError_tPvRmT1_T2_T3_mmT4_T5_P12ihipStream_tbEUlRKxE_EESL_SP_SQ_mSR_SU_bEUlT_E_NS1_11comp_targetILNS1_3genE10ELNS1_11target_archE1200ELNS1_3gpuE4ELNS1_3repE0EEENS1_30default_config_static_selectorELNS0_4arch9wavefront6targetE0EEEvSO_,@function
_ZN7rocprim17ROCPRIM_400000_NS6detail17trampoline_kernelINS0_14default_configENS1_27upper_bound_config_selectorIxlEEZNS1_14transform_implILb0ES3_S5_N6thrust23THRUST_200600_302600_NS17counting_iteratorIxNS8_11use_defaultESA_SA_EEPlZNS1_13binary_searchIS3_S5_PxSB_SC_NS1_21upper_bound_search_opENS8_6detail16wrapped_functionINS0_4lessIvEEbEEEE10hipError_tPvRmT1_T2_T3_mmT4_T5_P12ihipStream_tbEUlRKxE_EESL_SP_SQ_mSR_SU_bEUlT_E_NS1_11comp_targetILNS1_3genE10ELNS1_11target_archE1200ELNS1_3gpuE4ELNS1_3repE0EEENS1_30default_config_static_selectorELNS0_4arch9wavefront6targetE0EEEvSO_: ; @_ZN7rocprim17ROCPRIM_400000_NS6detail17trampoline_kernelINS0_14default_configENS1_27upper_bound_config_selectorIxlEEZNS1_14transform_implILb0ES3_S5_N6thrust23THRUST_200600_302600_NS17counting_iteratorIxNS8_11use_defaultESA_SA_EEPlZNS1_13binary_searchIS3_S5_PxSB_SC_NS1_21upper_bound_search_opENS8_6detail16wrapped_functionINS0_4lessIvEEbEEEE10hipError_tPvRmT1_T2_T3_mmT4_T5_P12ihipStream_tbEUlRKxE_EESL_SP_SQ_mSR_SU_bEUlT_E_NS1_11comp_targetILNS1_3genE10ELNS1_11target_archE1200ELNS1_3gpuE4ELNS1_3repE0EEENS1_30default_config_static_selectorELNS0_4arch9wavefront6targetE0EEEvSO_
; %bb.0:
	.section	.rodata,"a",@progbits
	.p2align	6, 0x0
	.amdhsa_kernel _ZN7rocprim17ROCPRIM_400000_NS6detail17trampoline_kernelINS0_14default_configENS1_27upper_bound_config_selectorIxlEEZNS1_14transform_implILb0ES3_S5_N6thrust23THRUST_200600_302600_NS17counting_iteratorIxNS8_11use_defaultESA_SA_EEPlZNS1_13binary_searchIS3_S5_PxSB_SC_NS1_21upper_bound_search_opENS8_6detail16wrapped_functionINS0_4lessIvEEbEEEE10hipError_tPvRmT1_T2_T3_mmT4_T5_P12ihipStream_tbEUlRKxE_EESL_SP_SQ_mSR_SU_bEUlT_E_NS1_11comp_targetILNS1_3genE10ELNS1_11target_archE1200ELNS1_3gpuE4ELNS1_3repE0EEENS1_30default_config_static_selectorELNS0_4arch9wavefront6targetE0EEEvSO_
		.amdhsa_group_segment_fixed_size 0
		.amdhsa_private_segment_fixed_size 0
		.amdhsa_kernarg_size 56
		.amdhsa_user_sgpr_count 15
		.amdhsa_user_sgpr_dispatch_ptr 0
		.amdhsa_user_sgpr_queue_ptr 0
		.amdhsa_user_sgpr_kernarg_segment_ptr 1
		.amdhsa_user_sgpr_dispatch_id 0
		.amdhsa_user_sgpr_private_segment_size 0
		.amdhsa_wavefront_size32 1
		.amdhsa_uses_dynamic_stack 0
		.amdhsa_enable_private_segment 0
		.amdhsa_system_sgpr_workgroup_id_x 1
		.amdhsa_system_sgpr_workgroup_id_y 0
		.amdhsa_system_sgpr_workgroup_id_z 0
		.amdhsa_system_sgpr_workgroup_info 0
		.amdhsa_system_vgpr_workitem_id 0
		.amdhsa_next_free_vgpr 1
		.amdhsa_next_free_sgpr 1
		.amdhsa_reserve_vcc 0
		.amdhsa_float_round_mode_32 0
		.amdhsa_float_round_mode_16_64 0
		.amdhsa_float_denorm_mode_32 3
		.amdhsa_float_denorm_mode_16_64 3
		.amdhsa_dx10_clamp 1
		.amdhsa_ieee_mode 1
		.amdhsa_fp16_overflow 0
		.amdhsa_workgroup_processor_mode 1
		.amdhsa_memory_ordered 1
		.amdhsa_forward_progress 0
		.amdhsa_shared_vgpr_count 0
		.amdhsa_exception_fp_ieee_invalid_op 0
		.amdhsa_exception_fp_denorm_src 0
		.amdhsa_exception_fp_ieee_div_zero 0
		.amdhsa_exception_fp_ieee_overflow 0
		.amdhsa_exception_fp_ieee_underflow 0
		.amdhsa_exception_fp_ieee_inexact 0
		.amdhsa_exception_int_div_zero 0
	.end_amdhsa_kernel
	.section	.text._ZN7rocprim17ROCPRIM_400000_NS6detail17trampoline_kernelINS0_14default_configENS1_27upper_bound_config_selectorIxlEEZNS1_14transform_implILb0ES3_S5_N6thrust23THRUST_200600_302600_NS17counting_iteratorIxNS8_11use_defaultESA_SA_EEPlZNS1_13binary_searchIS3_S5_PxSB_SC_NS1_21upper_bound_search_opENS8_6detail16wrapped_functionINS0_4lessIvEEbEEEE10hipError_tPvRmT1_T2_T3_mmT4_T5_P12ihipStream_tbEUlRKxE_EESL_SP_SQ_mSR_SU_bEUlT_E_NS1_11comp_targetILNS1_3genE10ELNS1_11target_archE1200ELNS1_3gpuE4ELNS1_3repE0EEENS1_30default_config_static_selectorELNS0_4arch9wavefront6targetE0EEEvSO_,"axG",@progbits,_ZN7rocprim17ROCPRIM_400000_NS6detail17trampoline_kernelINS0_14default_configENS1_27upper_bound_config_selectorIxlEEZNS1_14transform_implILb0ES3_S5_N6thrust23THRUST_200600_302600_NS17counting_iteratorIxNS8_11use_defaultESA_SA_EEPlZNS1_13binary_searchIS3_S5_PxSB_SC_NS1_21upper_bound_search_opENS8_6detail16wrapped_functionINS0_4lessIvEEbEEEE10hipError_tPvRmT1_T2_T3_mmT4_T5_P12ihipStream_tbEUlRKxE_EESL_SP_SQ_mSR_SU_bEUlT_E_NS1_11comp_targetILNS1_3genE10ELNS1_11target_archE1200ELNS1_3gpuE4ELNS1_3repE0EEENS1_30default_config_static_selectorELNS0_4arch9wavefront6targetE0EEEvSO_,comdat
.Lfunc_end145:
	.size	_ZN7rocprim17ROCPRIM_400000_NS6detail17trampoline_kernelINS0_14default_configENS1_27upper_bound_config_selectorIxlEEZNS1_14transform_implILb0ES3_S5_N6thrust23THRUST_200600_302600_NS17counting_iteratorIxNS8_11use_defaultESA_SA_EEPlZNS1_13binary_searchIS3_S5_PxSB_SC_NS1_21upper_bound_search_opENS8_6detail16wrapped_functionINS0_4lessIvEEbEEEE10hipError_tPvRmT1_T2_T3_mmT4_T5_P12ihipStream_tbEUlRKxE_EESL_SP_SQ_mSR_SU_bEUlT_E_NS1_11comp_targetILNS1_3genE10ELNS1_11target_archE1200ELNS1_3gpuE4ELNS1_3repE0EEENS1_30default_config_static_selectorELNS0_4arch9wavefront6targetE0EEEvSO_, .Lfunc_end145-_ZN7rocprim17ROCPRIM_400000_NS6detail17trampoline_kernelINS0_14default_configENS1_27upper_bound_config_selectorIxlEEZNS1_14transform_implILb0ES3_S5_N6thrust23THRUST_200600_302600_NS17counting_iteratorIxNS8_11use_defaultESA_SA_EEPlZNS1_13binary_searchIS3_S5_PxSB_SC_NS1_21upper_bound_search_opENS8_6detail16wrapped_functionINS0_4lessIvEEbEEEE10hipError_tPvRmT1_T2_T3_mmT4_T5_P12ihipStream_tbEUlRKxE_EESL_SP_SQ_mSR_SU_bEUlT_E_NS1_11comp_targetILNS1_3genE10ELNS1_11target_archE1200ELNS1_3gpuE4ELNS1_3repE0EEENS1_30default_config_static_selectorELNS0_4arch9wavefront6targetE0EEEvSO_
                                        ; -- End function
	.section	.AMDGPU.csdata,"",@progbits
; Kernel info:
; codeLenInByte = 0
; NumSgprs: 0
; NumVgprs: 0
; ScratchSize: 0
; MemoryBound: 0
; FloatMode: 240
; IeeeMode: 1
; LDSByteSize: 0 bytes/workgroup (compile time only)
; SGPRBlocks: 0
; VGPRBlocks: 0
; NumSGPRsForWavesPerEU: 1
; NumVGPRsForWavesPerEU: 1
; Occupancy: 16
; WaveLimiterHint : 0
; COMPUTE_PGM_RSRC2:SCRATCH_EN: 0
; COMPUTE_PGM_RSRC2:USER_SGPR: 15
; COMPUTE_PGM_RSRC2:TRAP_HANDLER: 0
; COMPUTE_PGM_RSRC2:TGID_X_EN: 1
; COMPUTE_PGM_RSRC2:TGID_Y_EN: 0
; COMPUTE_PGM_RSRC2:TGID_Z_EN: 0
; COMPUTE_PGM_RSRC2:TIDIG_COMP_CNT: 0
	.section	.text._ZN7rocprim17ROCPRIM_400000_NS6detail17trampoline_kernelINS0_14default_configENS1_27upper_bound_config_selectorIxlEEZNS1_14transform_implILb0ES3_S5_N6thrust23THRUST_200600_302600_NS17counting_iteratorIxNS8_11use_defaultESA_SA_EEPlZNS1_13binary_searchIS3_S5_PxSB_SC_NS1_21upper_bound_search_opENS8_6detail16wrapped_functionINS0_4lessIvEEbEEEE10hipError_tPvRmT1_T2_T3_mmT4_T5_P12ihipStream_tbEUlRKxE_EESL_SP_SQ_mSR_SU_bEUlT_E_NS1_11comp_targetILNS1_3genE9ELNS1_11target_archE1100ELNS1_3gpuE3ELNS1_3repE0EEENS1_30default_config_static_selectorELNS0_4arch9wavefront6targetE0EEEvSO_,"axG",@progbits,_ZN7rocprim17ROCPRIM_400000_NS6detail17trampoline_kernelINS0_14default_configENS1_27upper_bound_config_selectorIxlEEZNS1_14transform_implILb0ES3_S5_N6thrust23THRUST_200600_302600_NS17counting_iteratorIxNS8_11use_defaultESA_SA_EEPlZNS1_13binary_searchIS3_S5_PxSB_SC_NS1_21upper_bound_search_opENS8_6detail16wrapped_functionINS0_4lessIvEEbEEEE10hipError_tPvRmT1_T2_T3_mmT4_T5_P12ihipStream_tbEUlRKxE_EESL_SP_SQ_mSR_SU_bEUlT_E_NS1_11comp_targetILNS1_3genE9ELNS1_11target_archE1100ELNS1_3gpuE3ELNS1_3repE0EEENS1_30default_config_static_selectorELNS0_4arch9wavefront6targetE0EEEvSO_,comdat
	.protected	_ZN7rocprim17ROCPRIM_400000_NS6detail17trampoline_kernelINS0_14default_configENS1_27upper_bound_config_selectorIxlEEZNS1_14transform_implILb0ES3_S5_N6thrust23THRUST_200600_302600_NS17counting_iteratorIxNS8_11use_defaultESA_SA_EEPlZNS1_13binary_searchIS3_S5_PxSB_SC_NS1_21upper_bound_search_opENS8_6detail16wrapped_functionINS0_4lessIvEEbEEEE10hipError_tPvRmT1_T2_T3_mmT4_T5_P12ihipStream_tbEUlRKxE_EESL_SP_SQ_mSR_SU_bEUlT_E_NS1_11comp_targetILNS1_3genE9ELNS1_11target_archE1100ELNS1_3gpuE3ELNS1_3repE0EEENS1_30default_config_static_selectorELNS0_4arch9wavefront6targetE0EEEvSO_ ; -- Begin function _ZN7rocprim17ROCPRIM_400000_NS6detail17trampoline_kernelINS0_14default_configENS1_27upper_bound_config_selectorIxlEEZNS1_14transform_implILb0ES3_S5_N6thrust23THRUST_200600_302600_NS17counting_iteratorIxNS8_11use_defaultESA_SA_EEPlZNS1_13binary_searchIS3_S5_PxSB_SC_NS1_21upper_bound_search_opENS8_6detail16wrapped_functionINS0_4lessIvEEbEEEE10hipError_tPvRmT1_T2_T3_mmT4_T5_P12ihipStream_tbEUlRKxE_EESL_SP_SQ_mSR_SU_bEUlT_E_NS1_11comp_targetILNS1_3genE9ELNS1_11target_archE1100ELNS1_3gpuE3ELNS1_3repE0EEENS1_30default_config_static_selectorELNS0_4arch9wavefront6targetE0EEEvSO_
	.globl	_ZN7rocprim17ROCPRIM_400000_NS6detail17trampoline_kernelINS0_14default_configENS1_27upper_bound_config_selectorIxlEEZNS1_14transform_implILb0ES3_S5_N6thrust23THRUST_200600_302600_NS17counting_iteratorIxNS8_11use_defaultESA_SA_EEPlZNS1_13binary_searchIS3_S5_PxSB_SC_NS1_21upper_bound_search_opENS8_6detail16wrapped_functionINS0_4lessIvEEbEEEE10hipError_tPvRmT1_T2_T3_mmT4_T5_P12ihipStream_tbEUlRKxE_EESL_SP_SQ_mSR_SU_bEUlT_E_NS1_11comp_targetILNS1_3genE9ELNS1_11target_archE1100ELNS1_3gpuE3ELNS1_3repE0EEENS1_30default_config_static_selectorELNS0_4arch9wavefront6targetE0EEEvSO_
	.p2align	8
	.type	_ZN7rocprim17ROCPRIM_400000_NS6detail17trampoline_kernelINS0_14default_configENS1_27upper_bound_config_selectorIxlEEZNS1_14transform_implILb0ES3_S5_N6thrust23THRUST_200600_302600_NS17counting_iteratorIxNS8_11use_defaultESA_SA_EEPlZNS1_13binary_searchIS3_S5_PxSB_SC_NS1_21upper_bound_search_opENS8_6detail16wrapped_functionINS0_4lessIvEEbEEEE10hipError_tPvRmT1_T2_T3_mmT4_T5_P12ihipStream_tbEUlRKxE_EESL_SP_SQ_mSR_SU_bEUlT_E_NS1_11comp_targetILNS1_3genE9ELNS1_11target_archE1100ELNS1_3gpuE3ELNS1_3repE0EEENS1_30default_config_static_selectorELNS0_4arch9wavefront6targetE0EEEvSO_,@function
_ZN7rocprim17ROCPRIM_400000_NS6detail17trampoline_kernelINS0_14default_configENS1_27upper_bound_config_selectorIxlEEZNS1_14transform_implILb0ES3_S5_N6thrust23THRUST_200600_302600_NS17counting_iteratorIxNS8_11use_defaultESA_SA_EEPlZNS1_13binary_searchIS3_S5_PxSB_SC_NS1_21upper_bound_search_opENS8_6detail16wrapped_functionINS0_4lessIvEEbEEEE10hipError_tPvRmT1_T2_T3_mmT4_T5_P12ihipStream_tbEUlRKxE_EESL_SP_SQ_mSR_SU_bEUlT_E_NS1_11comp_targetILNS1_3genE9ELNS1_11target_archE1100ELNS1_3gpuE3ELNS1_3repE0EEENS1_30default_config_static_selectorELNS0_4arch9wavefront6targetE0EEEvSO_: ; @_ZN7rocprim17ROCPRIM_400000_NS6detail17trampoline_kernelINS0_14default_configENS1_27upper_bound_config_selectorIxlEEZNS1_14transform_implILb0ES3_S5_N6thrust23THRUST_200600_302600_NS17counting_iteratorIxNS8_11use_defaultESA_SA_EEPlZNS1_13binary_searchIS3_S5_PxSB_SC_NS1_21upper_bound_search_opENS8_6detail16wrapped_functionINS0_4lessIvEEbEEEE10hipError_tPvRmT1_T2_T3_mmT4_T5_P12ihipStream_tbEUlRKxE_EESL_SP_SQ_mSR_SU_bEUlT_E_NS1_11comp_targetILNS1_3genE9ELNS1_11target_archE1100ELNS1_3gpuE3ELNS1_3repE0EEENS1_30default_config_static_selectorELNS0_4arch9wavefront6targetE0EEEvSO_
; %bb.0:
	s_clause 0x3
	s_load_b128 s[8:11], s[0:1], 0x0
	s_load_b32 s2, s[0:1], 0x38
	s_load_b64 s[12:13], s[0:1], 0x28
	s_load_b128 s[4:7], s[0:1], 0x18
	s_waitcnt lgkmcnt(0)
	s_add_u32 s3, s10, s8
	s_addc_u32 s14, s11, s9
	s_add_i32 s2, s2, -1
	s_lshl_b32 s8, s15, 8
	s_mov_b32 s9, 0
	s_cmp_lg_u32 s15, s2
	s_mov_b32 s15, -1
	s_cbranch_scc0 .LBB146_6
; %bb.1:
	v_dual_mov_b32 v2, 0 :: v_dual_mov_b32 v1, 0
	v_mov_b32_e32 v3, 0
	s_cmp_eq_u64 s[12:13], 0
	s_cbranch_scc1 .LBB146_5
; %bb.2:
	s_add_u32 s2, s3, s8
	s_addc_u32 s15, s14, 0
	v_add_co_u32 v4, s2, s2, v0
	v_mov_b32_e32 v2, 0
	v_dual_mov_b32 v3, 0 :: v_dual_mov_b32 v6, s12
	v_add_co_ci_u32_e64 v5, null, s15, 0, s2
	v_mov_b32_e32 v7, s13
	s_mov_b32 s15, 0
	s_set_inst_prefetch_distance 0x1
	.p2align	6
.LBB146_3:                              ; =>This Inner Loop Header: Depth=1
	v_sub_co_u32 v8, vcc_lo, v6, v2
	s_delay_alu instid0(VALU_DEP_2) | instskip(NEXT) | instid1(VALU_DEP_1)
	v_sub_co_ci_u32_e32 v9, vcc_lo, v7, v3, vcc_lo
	v_lshrrev_b64 v[10:11], 1, v[8:9]
	v_lshrrev_b64 v[8:9], 6, v[8:9]
	s_delay_alu instid0(VALU_DEP_2) | instskip(NEXT) | instid1(VALU_DEP_3)
	v_add_co_u32 v10, vcc_lo, v10, v2
	v_add_co_ci_u32_e32 v11, vcc_lo, v11, v3, vcc_lo
	s_delay_alu instid0(VALU_DEP_2) | instskip(NEXT) | instid1(VALU_DEP_2)
	v_add_co_u32 v8, vcc_lo, v10, v8
	v_add_co_ci_u32_e32 v9, vcc_lo, v11, v9, vcc_lo
	s_delay_alu instid0(VALU_DEP_1) | instskip(NEXT) | instid1(VALU_DEP_1)
	v_lshlrev_b64 v[10:11], 3, v[8:9]
	v_add_co_u32 v10, vcc_lo, s6, v10
	s_delay_alu instid0(VALU_DEP_2)
	v_add_co_ci_u32_e32 v11, vcc_lo, s7, v11, vcc_lo
	v_add_co_u32 v12, vcc_lo, v8, 1
	global_load_b64 v[10:11], v[10:11], off
	s_waitcnt vmcnt(0)
	v_cmp_gt_i64_e64 s2, v[10:11], v[4:5]
	v_add_co_ci_u32_e32 v10, vcc_lo, 0, v9, vcc_lo
	s_delay_alu instid0(VALU_DEP_2) | instskip(SKIP_1) | instid1(VALU_DEP_3)
	v_cndmask_b32_e64 v7, v7, v9, s2
	v_cndmask_b32_e64 v6, v6, v8, s2
	;; [unrolled: 1-line block ×4, first 2 shown]
	s_delay_alu instid0(VALU_DEP_1) | instskip(SKIP_1) | instid1(SALU_CYCLE_1)
	v_cmp_ge_u64_e32 vcc_lo, v[2:3], v[6:7]
	s_or_b32 s15, vcc_lo, s15
	s_and_not1_b32 exec_lo, exec_lo, s15
	s_cbranch_execnz .LBB146_3
; %bb.4:
	s_set_inst_prefetch_distance 0x2
	s_or_b32 exec_lo, exec_lo, s15
.LBB146_5:
	s_mov_b32 s2, -1
	s_cbranch_execz .LBB146_7
	s_branch .LBB146_13
.LBB146_6:
	s_mov_b32 s2, s9
                                        ; implicit-def: $vgpr2_vgpr3
	s_and_not1_b32 vcc_lo, exec_lo, s15
	s_cbranch_vccnz .LBB146_13
.LBB146_7:
	s_load_b32 s0, s[0:1], 0x10
	v_mov_b32_e32 v1, 0
                                        ; implicit-def: $vgpr2_vgpr3
	s_waitcnt lgkmcnt(0)
	s_sub_i32 s0, s0, s8
	s_delay_alu instid0(SALU_CYCLE_1) | instskip(NEXT) | instid1(VALU_DEP_1)
	v_cmp_gt_u32_e64 s2, s0, v0
	s_and_saveexec_b32 s1, s2
	s_cbranch_execz .LBB146_12
; %bb.8:
	v_mov_b32_e32 v2, 0
	v_mov_b32_e32 v3, 0
	s_cmp_eq_u64 s[12:13], 0
	s_cbranch_scc1 .LBB146_12
; %bb.9:
	s_add_u32 s0, s3, s8
	s_addc_u32 s3, s14, 0
	v_add_co_u32 v4, s0, s0, v0
	v_mov_b32_e32 v2, 0
	v_dual_mov_b32 v3, 0 :: v_dual_mov_b32 v6, s12
	v_add_co_ci_u32_e64 v5, null, s3, 0, s0
	v_mov_b32_e32 v7, s13
	s_mov_b32 s3, 0
	s_set_inst_prefetch_distance 0x1
	.p2align	6
.LBB146_10:                             ; =>This Inner Loop Header: Depth=1
	v_sub_co_u32 v8, vcc_lo, v6, v2
	s_delay_alu instid0(VALU_DEP_2) | instskip(NEXT) | instid1(VALU_DEP_1)
	v_sub_co_ci_u32_e32 v9, vcc_lo, v7, v3, vcc_lo
	v_lshrrev_b64 v[10:11], 1, v[8:9]
	v_lshrrev_b64 v[8:9], 6, v[8:9]
	s_delay_alu instid0(VALU_DEP_2) | instskip(NEXT) | instid1(VALU_DEP_3)
	v_add_co_u32 v10, vcc_lo, v10, v2
	v_add_co_ci_u32_e32 v11, vcc_lo, v11, v3, vcc_lo
	s_delay_alu instid0(VALU_DEP_2) | instskip(NEXT) | instid1(VALU_DEP_2)
	v_add_co_u32 v8, vcc_lo, v10, v8
	v_add_co_ci_u32_e32 v9, vcc_lo, v11, v9, vcc_lo
	s_delay_alu instid0(VALU_DEP_1) | instskip(NEXT) | instid1(VALU_DEP_1)
	v_lshlrev_b64 v[10:11], 3, v[8:9]
	v_add_co_u32 v10, vcc_lo, s6, v10
	s_delay_alu instid0(VALU_DEP_2)
	v_add_co_ci_u32_e32 v11, vcc_lo, s7, v11, vcc_lo
	v_add_co_u32 v12, vcc_lo, v8, 1
	global_load_b64 v[10:11], v[10:11], off
	s_waitcnt vmcnt(0)
	v_cmp_gt_i64_e64 s0, v[10:11], v[4:5]
	v_add_co_ci_u32_e32 v10, vcc_lo, 0, v9, vcc_lo
	s_delay_alu instid0(VALU_DEP_2) | instskip(SKIP_1) | instid1(VALU_DEP_3)
	v_cndmask_b32_e64 v7, v7, v9, s0
	v_cndmask_b32_e64 v6, v6, v8, s0
	;; [unrolled: 1-line block ×4, first 2 shown]
	s_delay_alu instid0(VALU_DEP_1) | instskip(SKIP_1) | instid1(SALU_CYCLE_1)
	v_cmp_ge_u64_e32 vcc_lo, v[2:3], v[6:7]
	s_or_b32 s3, vcc_lo, s3
	s_and_not1_b32 exec_lo, exec_lo, s3
	s_cbranch_execnz .LBB146_10
; %bb.11:
	s_set_inst_prefetch_distance 0x2
	s_or_b32 exec_lo, exec_lo, s3
.LBB146_12:
	s_delay_alu instid0(SALU_CYCLE_1)
	s_or_b32 exec_lo, exec_lo, s1
.LBB146_13:
	s_and_saveexec_b32 s0, s2
	s_cbranch_execnz .LBB146_15
; %bb.14:
	s_endpgm
.LBB146_15:
	s_lshl_b64 s[0:1], s[10:11], 3
	v_lshlrev_b64 v[0:1], 3, v[0:1]
	s_add_u32 s2, s4, s0
	s_addc_u32 s3, s5, s1
	s_lshl_b64 s[0:1], s[8:9], 3
	s_delay_alu instid0(SALU_CYCLE_1)
	s_add_u32 s0, s2, s0
	s_addc_u32 s1, s3, s1
	v_add_co_u32 v0, vcc_lo, s0, v0
	v_add_co_ci_u32_e32 v1, vcc_lo, s1, v1, vcc_lo
	global_store_b64 v[0:1], v[2:3], off
	s_nop 0
	s_sendmsg sendmsg(MSG_DEALLOC_VGPRS)
	s_endpgm
	.section	.rodata,"a",@progbits
	.p2align	6, 0x0
	.amdhsa_kernel _ZN7rocprim17ROCPRIM_400000_NS6detail17trampoline_kernelINS0_14default_configENS1_27upper_bound_config_selectorIxlEEZNS1_14transform_implILb0ES3_S5_N6thrust23THRUST_200600_302600_NS17counting_iteratorIxNS8_11use_defaultESA_SA_EEPlZNS1_13binary_searchIS3_S5_PxSB_SC_NS1_21upper_bound_search_opENS8_6detail16wrapped_functionINS0_4lessIvEEbEEEE10hipError_tPvRmT1_T2_T3_mmT4_T5_P12ihipStream_tbEUlRKxE_EESL_SP_SQ_mSR_SU_bEUlT_E_NS1_11comp_targetILNS1_3genE9ELNS1_11target_archE1100ELNS1_3gpuE3ELNS1_3repE0EEENS1_30default_config_static_selectorELNS0_4arch9wavefront6targetE0EEEvSO_
		.amdhsa_group_segment_fixed_size 0
		.amdhsa_private_segment_fixed_size 0
		.amdhsa_kernarg_size 312
		.amdhsa_user_sgpr_count 15
		.amdhsa_user_sgpr_dispatch_ptr 0
		.amdhsa_user_sgpr_queue_ptr 0
		.amdhsa_user_sgpr_kernarg_segment_ptr 1
		.amdhsa_user_sgpr_dispatch_id 0
		.amdhsa_user_sgpr_private_segment_size 0
		.amdhsa_wavefront_size32 1
		.amdhsa_uses_dynamic_stack 0
		.amdhsa_enable_private_segment 0
		.amdhsa_system_sgpr_workgroup_id_x 1
		.amdhsa_system_sgpr_workgroup_id_y 0
		.amdhsa_system_sgpr_workgroup_id_z 0
		.amdhsa_system_sgpr_workgroup_info 0
		.amdhsa_system_vgpr_workitem_id 0
		.amdhsa_next_free_vgpr 13
		.amdhsa_next_free_sgpr 16
		.amdhsa_reserve_vcc 1
		.amdhsa_float_round_mode_32 0
		.amdhsa_float_round_mode_16_64 0
		.amdhsa_float_denorm_mode_32 3
		.amdhsa_float_denorm_mode_16_64 3
		.amdhsa_dx10_clamp 1
		.amdhsa_ieee_mode 1
		.amdhsa_fp16_overflow 0
		.amdhsa_workgroup_processor_mode 1
		.amdhsa_memory_ordered 1
		.amdhsa_forward_progress 0
		.amdhsa_shared_vgpr_count 0
		.amdhsa_exception_fp_ieee_invalid_op 0
		.amdhsa_exception_fp_denorm_src 0
		.amdhsa_exception_fp_ieee_div_zero 0
		.amdhsa_exception_fp_ieee_overflow 0
		.amdhsa_exception_fp_ieee_underflow 0
		.amdhsa_exception_fp_ieee_inexact 0
		.amdhsa_exception_int_div_zero 0
	.end_amdhsa_kernel
	.section	.text._ZN7rocprim17ROCPRIM_400000_NS6detail17trampoline_kernelINS0_14default_configENS1_27upper_bound_config_selectorIxlEEZNS1_14transform_implILb0ES3_S5_N6thrust23THRUST_200600_302600_NS17counting_iteratorIxNS8_11use_defaultESA_SA_EEPlZNS1_13binary_searchIS3_S5_PxSB_SC_NS1_21upper_bound_search_opENS8_6detail16wrapped_functionINS0_4lessIvEEbEEEE10hipError_tPvRmT1_T2_T3_mmT4_T5_P12ihipStream_tbEUlRKxE_EESL_SP_SQ_mSR_SU_bEUlT_E_NS1_11comp_targetILNS1_3genE9ELNS1_11target_archE1100ELNS1_3gpuE3ELNS1_3repE0EEENS1_30default_config_static_selectorELNS0_4arch9wavefront6targetE0EEEvSO_,"axG",@progbits,_ZN7rocprim17ROCPRIM_400000_NS6detail17trampoline_kernelINS0_14default_configENS1_27upper_bound_config_selectorIxlEEZNS1_14transform_implILb0ES3_S5_N6thrust23THRUST_200600_302600_NS17counting_iteratorIxNS8_11use_defaultESA_SA_EEPlZNS1_13binary_searchIS3_S5_PxSB_SC_NS1_21upper_bound_search_opENS8_6detail16wrapped_functionINS0_4lessIvEEbEEEE10hipError_tPvRmT1_T2_T3_mmT4_T5_P12ihipStream_tbEUlRKxE_EESL_SP_SQ_mSR_SU_bEUlT_E_NS1_11comp_targetILNS1_3genE9ELNS1_11target_archE1100ELNS1_3gpuE3ELNS1_3repE0EEENS1_30default_config_static_selectorELNS0_4arch9wavefront6targetE0EEEvSO_,comdat
.Lfunc_end146:
	.size	_ZN7rocprim17ROCPRIM_400000_NS6detail17trampoline_kernelINS0_14default_configENS1_27upper_bound_config_selectorIxlEEZNS1_14transform_implILb0ES3_S5_N6thrust23THRUST_200600_302600_NS17counting_iteratorIxNS8_11use_defaultESA_SA_EEPlZNS1_13binary_searchIS3_S5_PxSB_SC_NS1_21upper_bound_search_opENS8_6detail16wrapped_functionINS0_4lessIvEEbEEEE10hipError_tPvRmT1_T2_T3_mmT4_T5_P12ihipStream_tbEUlRKxE_EESL_SP_SQ_mSR_SU_bEUlT_E_NS1_11comp_targetILNS1_3genE9ELNS1_11target_archE1100ELNS1_3gpuE3ELNS1_3repE0EEENS1_30default_config_static_selectorELNS0_4arch9wavefront6targetE0EEEvSO_, .Lfunc_end146-_ZN7rocprim17ROCPRIM_400000_NS6detail17trampoline_kernelINS0_14default_configENS1_27upper_bound_config_selectorIxlEEZNS1_14transform_implILb0ES3_S5_N6thrust23THRUST_200600_302600_NS17counting_iteratorIxNS8_11use_defaultESA_SA_EEPlZNS1_13binary_searchIS3_S5_PxSB_SC_NS1_21upper_bound_search_opENS8_6detail16wrapped_functionINS0_4lessIvEEbEEEE10hipError_tPvRmT1_T2_T3_mmT4_T5_P12ihipStream_tbEUlRKxE_EESL_SP_SQ_mSR_SU_bEUlT_E_NS1_11comp_targetILNS1_3genE9ELNS1_11target_archE1100ELNS1_3gpuE3ELNS1_3repE0EEENS1_30default_config_static_selectorELNS0_4arch9wavefront6targetE0EEEvSO_
                                        ; -- End function
	.section	.AMDGPU.csdata,"",@progbits
; Kernel info:
; codeLenInByte = 732
; NumSgprs: 18
; NumVgprs: 13
; ScratchSize: 0
; MemoryBound: 0
; FloatMode: 240
; IeeeMode: 1
; LDSByteSize: 0 bytes/workgroup (compile time only)
; SGPRBlocks: 2
; VGPRBlocks: 1
; NumSGPRsForWavesPerEU: 18
; NumVGPRsForWavesPerEU: 13
; Occupancy: 16
; WaveLimiterHint : 0
; COMPUTE_PGM_RSRC2:SCRATCH_EN: 0
; COMPUTE_PGM_RSRC2:USER_SGPR: 15
; COMPUTE_PGM_RSRC2:TRAP_HANDLER: 0
; COMPUTE_PGM_RSRC2:TGID_X_EN: 1
; COMPUTE_PGM_RSRC2:TGID_Y_EN: 0
; COMPUTE_PGM_RSRC2:TGID_Z_EN: 0
; COMPUTE_PGM_RSRC2:TIDIG_COMP_CNT: 0
	.section	.text._ZN7rocprim17ROCPRIM_400000_NS6detail17trampoline_kernelINS0_14default_configENS1_27upper_bound_config_selectorIxlEEZNS1_14transform_implILb0ES3_S5_N6thrust23THRUST_200600_302600_NS17counting_iteratorIxNS8_11use_defaultESA_SA_EEPlZNS1_13binary_searchIS3_S5_PxSB_SC_NS1_21upper_bound_search_opENS8_6detail16wrapped_functionINS0_4lessIvEEbEEEE10hipError_tPvRmT1_T2_T3_mmT4_T5_P12ihipStream_tbEUlRKxE_EESL_SP_SQ_mSR_SU_bEUlT_E_NS1_11comp_targetILNS1_3genE8ELNS1_11target_archE1030ELNS1_3gpuE2ELNS1_3repE0EEENS1_30default_config_static_selectorELNS0_4arch9wavefront6targetE0EEEvSO_,"axG",@progbits,_ZN7rocprim17ROCPRIM_400000_NS6detail17trampoline_kernelINS0_14default_configENS1_27upper_bound_config_selectorIxlEEZNS1_14transform_implILb0ES3_S5_N6thrust23THRUST_200600_302600_NS17counting_iteratorIxNS8_11use_defaultESA_SA_EEPlZNS1_13binary_searchIS3_S5_PxSB_SC_NS1_21upper_bound_search_opENS8_6detail16wrapped_functionINS0_4lessIvEEbEEEE10hipError_tPvRmT1_T2_T3_mmT4_T5_P12ihipStream_tbEUlRKxE_EESL_SP_SQ_mSR_SU_bEUlT_E_NS1_11comp_targetILNS1_3genE8ELNS1_11target_archE1030ELNS1_3gpuE2ELNS1_3repE0EEENS1_30default_config_static_selectorELNS0_4arch9wavefront6targetE0EEEvSO_,comdat
	.protected	_ZN7rocprim17ROCPRIM_400000_NS6detail17trampoline_kernelINS0_14default_configENS1_27upper_bound_config_selectorIxlEEZNS1_14transform_implILb0ES3_S5_N6thrust23THRUST_200600_302600_NS17counting_iteratorIxNS8_11use_defaultESA_SA_EEPlZNS1_13binary_searchIS3_S5_PxSB_SC_NS1_21upper_bound_search_opENS8_6detail16wrapped_functionINS0_4lessIvEEbEEEE10hipError_tPvRmT1_T2_T3_mmT4_T5_P12ihipStream_tbEUlRKxE_EESL_SP_SQ_mSR_SU_bEUlT_E_NS1_11comp_targetILNS1_3genE8ELNS1_11target_archE1030ELNS1_3gpuE2ELNS1_3repE0EEENS1_30default_config_static_selectorELNS0_4arch9wavefront6targetE0EEEvSO_ ; -- Begin function _ZN7rocprim17ROCPRIM_400000_NS6detail17trampoline_kernelINS0_14default_configENS1_27upper_bound_config_selectorIxlEEZNS1_14transform_implILb0ES3_S5_N6thrust23THRUST_200600_302600_NS17counting_iteratorIxNS8_11use_defaultESA_SA_EEPlZNS1_13binary_searchIS3_S5_PxSB_SC_NS1_21upper_bound_search_opENS8_6detail16wrapped_functionINS0_4lessIvEEbEEEE10hipError_tPvRmT1_T2_T3_mmT4_T5_P12ihipStream_tbEUlRKxE_EESL_SP_SQ_mSR_SU_bEUlT_E_NS1_11comp_targetILNS1_3genE8ELNS1_11target_archE1030ELNS1_3gpuE2ELNS1_3repE0EEENS1_30default_config_static_selectorELNS0_4arch9wavefront6targetE0EEEvSO_
	.globl	_ZN7rocprim17ROCPRIM_400000_NS6detail17trampoline_kernelINS0_14default_configENS1_27upper_bound_config_selectorIxlEEZNS1_14transform_implILb0ES3_S5_N6thrust23THRUST_200600_302600_NS17counting_iteratorIxNS8_11use_defaultESA_SA_EEPlZNS1_13binary_searchIS3_S5_PxSB_SC_NS1_21upper_bound_search_opENS8_6detail16wrapped_functionINS0_4lessIvEEbEEEE10hipError_tPvRmT1_T2_T3_mmT4_T5_P12ihipStream_tbEUlRKxE_EESL_SP_SQ_mSR_SU_bEUlT_E_NS1_11comp_targetILNS1_3genE8ELNS1_11target_archE1030ELNS1_3gpuE2ELNS1_3repE0EEENS1_30default_config_static_selectorELNS0_4arch9wavefront6targetE0EEEvSO_
	.p2align	8
	.type	_ZN7rocprim17ROCPRIM_400000_NS6detail17trampoline_kernelINS0_14default_configENS1_27upper_bound_config_selectorIxlEEZNS1_14transform_implILb0ES3_S5_N6thrust23THRUST_200600_302600_NS17counting_iteratorIxNS8_11use_defaultESA_SA_EEPlZNS1_13binary_searchIS3_S5_PxSB_SC_NS1_21upper_bound_search_opENS8_6detail16wrapped_functionINS0_4lessIvEEbEEEE10hipError_tPvRmT1_T2_T3_mmT4_T5_P12ihipStream_tbEUlRKxE_EESL_SP_SQ_mSR_SU_bEUlT_E_NS1_11comp_targetILNS1_3genE8ELNS1_11target_archE1030ELNS1_3gpuE2ELNS1_3repE0EEENS1_30default_config_static_selectorELNS0_4arch9wavefront6targetE0EEEvSO_,@function
_ZN7rocprim17ROCPRIM_400000_NS6detail17trampoline_kernelINS0_14default_configENS1_27upper_bound_config_selectorIxlEEZNS1_14transform_implILb0ES3_S5_N6thrust23THRUST_200600_302600_NS17counting_iteratorIxNS8_11use_defaultESA_SA_EEPlZNS1_13binary_searchIS3_S5_PxSB_SC_NS1_21upper_bound_search_opENS8_6detail16wrapped_functionINS0_4lessIvEEbEEEE10hipError_tPvRmT1_T2_T3_mmT4_T5_P12ihipStream_tbEUlRKxE_EESL_SP_SQ_mSR_SU_bEUlT_E_NS1_11comp_targetILNS1_3genE8ELNS1_11target_archE1030ELNS1_3gpuE2ELNS1_3repE0EEENS1_30default_config_static_selectorELNS0_4arch9wavefront6targetE0EEEvSO_: ; @_ZN7rocprim17ROCPRIM_400000_NS6detail17trampoline_kernelINS0_14default_configENS1_27upper_bound_config_selectorIxlEEZNS1_14transform_implILb0ES3_S5_N6thrust23THRUST_200600_302600_NS17counting_iteratorIxNS8_11use_defaultESA_SA_EEPlZNS1_13binary_searchIS3_S5_PxSB_SC_NS1_21upper_bound_search_opENS8_6detail16wrapped_functionINS0_4lessIvEEbEEEE10hipError_tPvRmT1_T2_T3_mmT4_T5_P12ihipStream_tbEUlRKxE_EESL_SP_SQ_mSR_SU_bEUlT_E_NS1_11comp_targetILNS1_3genE8ELNS1_11target_archE1030ELNS1_3gpuE2ELNS1_3repE0EEENS1_30default_config_static_selectorELNS0_4arch9wavefront6targetE0EEEvSO_
; %bb.0:
	.section	.rodata,"a",@progbits
	.p2align	6, 0x0
	.amdhsa_kernel _ZN7rocprim17ROCPRIM_400000_NS6detail17trampoline_kernelINS0_14default_configENS1_27upper_bound_config_selectorIxlEEZNS1_14transform_implILb0ES3_S5_N6thrust23THRUST_200600_302600_NS17counting_iteratorIxNS8_11use_defaultESA_SA_EEPlZNS1_13binary_searchIS3_S5_PxSB_SC_NS1_21upper_bound_search_opENS8_6detail16wrapped_functionINS0_4lessIvEEbEEEE10hipError_tPvRmT1_T2_T3_mmT4_T5_P12ihipStream_tbEUlRKxE_EESL_SP_SQ_mSR_SU_bEUlT_E_NS1_11comp_targetILNS1_3genE8ELNS1_11target_archE1030ELNS1_3gpuE2ELNS1_3repE0EEENS1_30default_config_static_selectorELNS0_4arch9wavefront6targetE0EEEvSO_
		.amdhsa_group_segment_fixed_size 0
		.amdhsa_private_segment_fixed_size 0
		.amdhsa_kernarg_size 56
		.amdhsa_user_sgpr_count 15
		.amdhsa_user_sgpr_dispatch_ptr 0
		.amdhsa_user_sgpr_queue_ptr 0
		.amdhsa_user_sgpr_kernarg_segment_ptr 1
		.amdhsa_user_sgpr_dispatch_id 0
		.amdhsa_user_sgpr_private_segment_size 0
		.amdhsa_wavefront_size32 1
		.amdhsa_uses_dynamic_stack 0
		.amdhsa_enable_private_segment 0
		.amdhsa_system_sgpr_workgroup_id_x 1
		.amdhsa_system_sgpr_workgroup_id_y 0
		.amdhsa_system_sgpr_workgroup_id_z 0
		.amdhsa_system_sgpr_workgroup_info 0
		.amdhsa_system_vgpr_workitem_id 0
		.amdhsa_next_free_vgpr 1
		.amdhsa_next_free_sgpr 1
		.amdhsa_reserve_vcc 0
		.amdhsa_float_round_mode_32 0
		.amdhsa_float_round_mode_16_64 0
		.amdhsa_float_denorm_mode_32 3
		.amdhsa_float_denorm_mode_16_64 3
		.amdhsa_dx10_clamp 1
		.amdhsa_ieee_mode 1
		.amdhsa_fp16_overflow 0
		.amdhsa_workgroup_processor_mode 1
		.amdhsa_memory_ordered 1
		.amdhsa_forward_progress 0
		.amdhsa_shared_vgpr_count 0
		.amdhsa_exception_fp_ieee_invalid_op 0
		.amdhsa_exception_fp_denorm_src 0
		.amdhsa_exception_fp_ieee_div_zero 0
		.amdhsa_exception_fp_ieee_overflow 0
		.amdhsa_exception_fp_ieee_underflow 0
		.amdhsa_exception_fp_ieee_inexact 0
		.amdhsa_exception_int_div_zero 0
	.end_amdhsa_kernel
	.section	.text._ZN7rocprim17ROCPRIM_400000_NS6detail17trampoline_kernelINS0_14default_configENS1_27upper_bound_config_selectorIxlEEZNS1_14transform_implILb0ES3_S5_N6thrust23THRUST_200600_302600_NS17counting_iteratorIxNS8_11use_defaultESA_SA_EEPlZNS1_13binary_searchIS3_S5_PxSB_SC_NS1_21upper_bound_search_opENS8_6detail16wrapped_functionINS0_4lessIvEEbEEEE10hipError_tPvRmT1_T2_T3_mmT4_T5_P12ihipStream_tbEUlRKxE_EESL_SP_SQ_mSR_SU_bEUlT_E_NS1_11comp_targetILNS1_3genE8ELNS1_11target_archE1030ELNS1_3gpuE2ELNS1_3repE0EEENS1_30default_config_static_selectorELNS0_4arch9wavefront6targetE0EEEvSO_,"axG",@progbits,_ZN7rocprim17ROCPRIM_400000_NS6detail17trampoline_kernelINS0_14default_configENS1_27upper_bound_config_selectorIxlEEZNS1_14transform_implILb0ES3_S5_N6thrust23THRUST_200600_302600_NS17counting_iteratorIxNS8_11use_defaultESA_SA_EEPlZNS1_13binary_searchIS3_S5_PxSB_SC_NS1_21upper_bound_search_opENS8_6detail16wrapped_functionINS0_4lessIvEEbEEEE10hipError_tPvRmT1_T2_T3_mmT4_T5_P12ihipStream_tbEUlRKxE_EESL_SP_SQ_mSR_SU_bEUlT_E_NS1_11comp_targetILNS1_3genE8ELNS1_11target_archE1030ELNS1_3gpuE2ELNS1_3repE0EEENS1_30default_config_static_selectorELNS0_4arch9wavefront6targetE0EEEvSO_,comdat
.Lfunc_end147:
	.size	_ZN7rocprim17ROCPRIM_400000_NS6detail17trampoline_kernelINS0_14default_configENS1_27upper_bound_config_selectorIxlEEZNS1_14transform_implILb0ES3_S5_N6thrust23THRUST_200600_302600_NS17counting_iteratorIxNS8_11use_defaultESA_SA_EEPlZNS1_13binary_searchIS3_S5_PxSB_SC_NS1_21upper_bound_search_opENS8_6detail16wrapped_functionINS0_4lessIvEEbEEEE10hipError_tPvRmT1_T2_T3_mmT4_T5_P12ihipStream_tbEUlRKxE_EESL_SP_SQ_mSR_SU_bEUlT_E_NS1_11comp_targetILNS1_3genE8ELNS1_11target_archE1030ELNS1_3gpuE2ELNS1_3repE0EEENS1_30default_config_static_selectorELNS0_4arch9wavefront6targetE0EEEvSO_, .Lfunc_end147-_ZN7rocprim17ROCPRIM_400000_NS6detail17trampoline_kernelINS0_14default_configENS1_27upper_bound_config_selectorIxlEEZNS1_14transform_implILb0ES3_S5_N6thrust23THRUST_200600_302600_NS17counting_iteratorIxNS8_11use_defaultESA_SA_EEPlZNS1_13binary_searchIS3_S5_PxSB_SC_NS1_21upper_bound_search_opENS8_6detail16wrapped_functionINS0_4lessIvEEbEEEE10hipError_tPvRmT1_T2_T3_mmT4_T5_P12ihipStream_tbEUlRKxE_EESL_SP_SQ_mSR_SU_bEUlT_E_NS1_11comp_targetILNS1_3genE8ELNS1_11target_archE1030ELNS1_3gpuE2ELNS1_3repE0EEENS1_30default_config_static_selectorELNS0_4arch9wavefront6targetE0EEEvSO_
                                        ; -- End function
	.section	.AMDGPU.csdata,"",@progbits
; Kernel info:
; codeLenInByte = 0
; NumSgprs: 0
; NumVgprs: 0
; ScratchSize: 0
; MemoryBound: 0
; FloatMode: 240
; IeeeMode: 1
; LDSByteSize: 0 bytes/workgroup (compile time only)
; SGPRBlocks: 0
; VGPRBlocks: 0
; NumSGPRsForWavesPerEU: 1
; NumVGPRsForWavesPerEU: 1
; Occupancy: 16
; WaveLimiterHint : 0
; COMPUTE_PGM_RSRC2:SCRATCH_EN: 0
; COMPUTE_PGM_RSRC2:USER_SGPR: 15
; COMPUTE_PGM_RSRC2:TRAP_HANDLER: 0
; COMPUTE_PGM_RSRC2:TGID_X_EN: 1
; COMPUTE_PGM_RSRC2:TGID_Y_EN: 0
; COMPUTE_PGM_RSRC2:TGID_Z_EN: 0
; COMPUTE_PGM_RSRC2:TIDIG_COMP_CNT: 0
	.section	.text._Z18upper_bound_kernelIiEvmPT_Pl,"axG",@progbits,_Z18upper_bound_kernelIiEvmPT_Pl,comdat
	.protected	_Z18upper_bound_kernelIiEvmPT_Pl ; -- Begin function _Z18upper_bound_kernelIiEvmPT_Pl
	.globl	_Z18upper_bound_kernelIiEvmPT_Pl
	.p2align	8
	.type	_Z18upper_bound_kernelIiEvmPT_Pl,@function
_Z18upper_bound_kernelIiEvmPT_Pl:       ; @_Z18upper_bound_kernelIiEvmPT_Pl
; %bb.0:
	s_clause 0x1
	s_load_b128 s[4:7], s[0:1], 0x0
	s_load_b64 s[2:3], s[0:1], 0x10
	s_mov_b64 s[8:9], 0
	s_waitcnt lgkmcnt(0)
	v_cmp_lt_i64_e64 s0, s[4:5], 1
	s_delay_alu instid0(VALU_DEP_1) | instskip(NEXT) | instid1(SALU_CYCLE_1)
	s_and_b32 s0, exec_lo, s0
	s_mov_b32 vcc_lo, s0
	s_cbranch_vccnz .LBB148_3
; %bb.1:
	s_mov_b64 s[10:11], s[4:5]
	.p2align	6
.LBB148_2:                              ; =>This Inner Loop Header: Depth=1
	s_delay_alu instid0(SALU_CYCLE_1) | instskip(SKIP_1) | instid1(SALU_CYCLE_1)
	s_sub_u32 s1, s10, s8
	s_subb_u32 s13, s11, s9
	s_lshr_b32 s12, s13, 31
	s_delay_alu instid0(SALU_CYCLE_1) | instskip(SKIP_1) | instid1(SALU_CYCLE_1)
	s_add_u32 s12, s1, s12
	s_addc_u32 s13, s13, 0
	s_ashr_i64 s[12:13], s[12:13], 1
	s_delay_alu instid0(SALU_CYCLE_1) | instskip(SKIP_1) | instid1(SALU_CYCLE_1)
	s_add_u32 s12, s12, s8
	s_addc_u32 s13, s13, s9
	s_lshl_b64 s[14:15], s[12:13], 2
	s_delay_alu instid0(SALU_CYCLE_1)
	s_add_u32 s14, s6, s14
	s_addc_u32 s15, s7, s15
	s_load_b32 s1, s[14:15], 0x0
	s_add_u32 s14, s12, 1
	s_addc_u32 s15, s13, 0
	s_waitcnt lgkmcnt(0)
	s_cmp_gt_i32 s1, 0
	s_cselect_b32 s9, s9, s15
	s_cselect_b32 s8, s8, s14
	;; [unrolled: 1-line block ×4, first 2 shown]
	s_delay_alu instid0(SALU_CYCLE_1) | instskip(NEXT) | instid1(VALU_DEP_1)
	v_cmp_lt_i64_e64 s1, s[8:9], s[10:11]
	s_and_b32 vcc_lo, exec_lo, s1
	s_cbranch_vccnz .LBB148_2
.LBB148_3:
	v_cmp_gt_i64_e64 s10, s[4:5], 0
	v_mov_b32_e32 v2, 0
	s_delay_alu instid0(VALU_DEP_2) | instskip(SKIP_1) | instid1(VALU_DEP_1)
	v_cndmask_b32_e64 v0, 0, 1, s10
	s_and_not1_b32 vcc_lo, exec_lo, s10
	v_cmp_ne_u32_e64 s1, 1, v0
	v_dual_mov_b32 v0, s8 :: v_dual_mov_b32 v1, s9
	s_mov_b64 s[8:9], 0
	global_store_b64 v2, v[0:1], s[2:3]
	s_cbranch_vccnz .LBB148_6
; %bb.4:
	s_mov_b64 s[10:11], s[4:5]
	.p2align	6
.LBB148_5:                              ; =>This Inner Loop Header: Depth=1
	s_delay_alu instid0(SALU_CYCLE_1) | instskip(SKIP_1) | instid1(SALU_CYCLE_1)
	s_sub_u32 s12, s10, s8
	s_subb_u32 s13, s11, s9
	s_lshr_b32 s14, s13, 31
	s_delay_alu instid0(SALU_CYCLE_1) | instskip(SKIP_1) | instid1(SALU_CYCLE_1)
	s_add_u32 s12, s12, s14
	s_addc_u32 s13, s13, 0
	s_ashr_i64 s[12:13], s[12:13], 1
	s_delay_alu instid0(SALU_CYCLE_1) | instskip(SKIP_1) | instid1(SALU_CYCLE_1)
	s_add_u32 s12, s12, s8
	s_addc_u32 s13, s13, s9
	s_lshl_b64 s[14:15], s[12:13], 2
	s_delay_alu instid0(SALU_CYCLE_1)
	s_add_u32 s14, s6, s14
	s_addc_u32 s15, s7, s15
	s_load_b32 s14, s[14:15], 0x0
	s_add_u32 s15, s12, 1
	s_addc_u32 s16, s13, 0
	s_waitcnt lgkmcnt(0)
	s_cmp_gt_i32 s14, 1
	s_cselect_b32 s9, s9, s16
	s_cselect_b32 s8, s8, s15
	;; [unrolled: 1-line block ×4, first 2 shown]
	s_delay_alu instid0(SALU_CYCLE_1) | instskip(NEXT) | instid1(VALU_DEP_1)
	v_cmp_lt_i64_e64 s12, s[8:9], s[10:11]
	s_and_b32 vcc_lo, exec_lo, s12
	s_cbranch_vccnz .LBB148_5
.LBB148_6:
	v_mov_b32_e32 v0, s8
	v_dual_mov_b32 v2, 0 :: v_dual_mov_b32 v1, s9
	s_and_b32 vcc_lo, exec_lo, s1
	s_mov_b64 s[8:9], 0
	global_store_b64 v2, v[0:1], s[2:3] offset:8
	s_cbranch_vccnz .LBB148_9
; %bb.7:
	s_mov_b64 s[10:11], s[4:5]
	.p2align	6
.LBB148_8:                              ; =>This Inner Loop Header: Depth=1
	s_delay_alu instid0(SALU_CYCLE_1) | instskip(SKIP_1) | instid1(SALU_CYCLE_1)
	s_sub_u32 s12, s10, s8
	s_subb_u32 s13, s11, s9
	s_lshr_b32 s14, s13, 31
	s_delay_alu instid0(SALU_CYCLE_1) | instskip(SKIP_1) | instid1(SALU_CYCLE_1)
	s_add_u32 s12, s12, s14
	s_addc_u32 s13, s13, 0
	s_ashr_i64 s[12:13], s[12:13], 1
	s_delay_alu instid0(SALU_CYCLE_1) | instskip(SKIP_1) | instid1(SALU_CYCLE_1)
	s_add_u32 s12, s12, s8
	s_addc_u32 s13, s13, s9
	s_lshl_b64 s[14:15], s[12:13], 2
	s_delay_alu instid0(SALU_CYCLE_1)
	s_add_u32 s14, s6, s14
	s_addc_u32 s15, s7, s15
	s_load_b32 s14, s[14:15], 0x0
	s_add_u32 s15, s12, 1
	s_addc_u32 s16, s13, 0
	s_waitcnt lgkmcnt(0)
	s_cmp_gt_i32 s14, 2
	s_cselect_b32 s9, s9, s16
	s_cselect_b32 s8, s8, s15
	;; [unrolled: 1-line block ×4, first 2 shown]
	s_delay_alu instid0(SALU_CYCLE_1) | instskip(NEXT) | instid1(VALU_DEP_1)
	v_cmp_lt_i64_e64 s12, s[8:9], s[10:11]
	s_and_b32 vcc_lo, exec_lo, s12
	s_cbranch_vccnz .LBB148_8
.LBB148_9:
	v_mov_b32_e32 v0, s8
	v_dual_mov_b32 v2, 0 :: v_dual_mov_b32 v1, s9
	s_and_b32 vcc_lo, exec_lo, s1
	s_mov_b64 s[8:9], 0
	global_store_b64 v2, v[0:1], s[2:3] offset:16
	s_cbranch_vccnz .LBB148_12
; %bb.10:
	s_mov_b64 s[10:11], s[4:5]
	.p2align	6
.LBB148_11:                             ; =>This Inner Loop Header: Depth=1
	s_delay_alu instid0(SALU_CYCLE_1) | instskip(SKIP_1) | instid1(SALU_CYCLE_1)
	s_sub_u32 s12, s10, s8
	s_subb_u32 s13, s11, s9
	s_lshr_b32 s14, s13, 31
	s_delay_alu instid0(SALU_CYCLE_1) | instskip(SKIP_1) | instid1(SALU_CYCLE_1)
	s_add_u32 s12, s12, s14
	s_addc_u32 s13, s13, 0
	s_ashr_i64 s[12:13], s[12:13], 1
	s_delay_alu instid0(SALU_CYCLE_1) | instskip(SKIP_1) | instid1(SALU_CYCLE_1)
	s_add_u32 s12, s12, s8
	s_addc_u32 s13, s13, s9
	s_lshl_b64 s[14:15], s[12:13], 2
	s_delay_alu instid0(SALU_CYCLE_1)
	s_add_u32 s14, s6, s14
	s_addc_u32 s15, s7, s15
	s_load_b32 s14, s[14:15], 0x0
	s_add_u32 s15, s12, 1
	s_addc_u32 s16, s13, 0
	s_waitcnt lgkmcnt(0)
	s_cmp_gt_i32 s14, 3
	s_cselect_b32 s9, s9, s16
	s_cselect_b32 s8, s8, s15
	;; [unrolled: 1-line block ×4, first 2 shown]
	s_delay_alu instid0(SALU_CYCLE_1) | instskip(NEXT) | instid1(VALU_DEP_1)
	v_cmp_lt_i64_e64 s12, s[8:9], s[10:11]
	s_and_b32 vcc_lo, exec_lo, s12
	s_cbranch_vccnz .LBB148_11
.LBB148_12:
	v_mov_b32_e32 v0, s8
	v_dual_mov_b32 v2, 0 :: v_dual_mov_b32 v1, s9
	s_and_b32 vcc_lo, exec_lo, s1
	s_mov_b64 s[8:9], 0
	global_store_b64 v2, v[0:1], s[2:3] offset:24
	s_cbranch_vccnz .LBB148_15
; %bb.13:
	s_mov_b64 s[10:11], s[4:5]
	.p2align	6
.LBB148_14:                             ; =>This Inner Loop Header: Depth=1
	s_delay_alu instid0(SALU_CYCLE_1) | instskip(SKIP_1) | instid1(SALU_CYCLE_1)
	s_sub_u32 s12, s10, s8
	s_subb_u32 s13, s11, s9
	s_lshr_b32 s14, s13, 31
	s_delay_alu instid0(SALU_CYCLE_1) | instskip(SKIP_1) | instid1(SALU_CYCLE_1)
	s_add_u32 s12, s12, s14
	s_addc_u32 s13, s13, 0
	s_ashr_i64 s[12:13], s[12:13], 1
	s_delay_alu instid0(SALU_CYCLE_1) | instskip(SKIP_1) | instid1(SALU_CYCLE_1)
	s_add_u32 s12, s12, s8
	s_addc_u32 s13, s13, s9
	s_lshl_b64 s[14:15], s[12:13], 2
	s_delay_alu instid0(SALU_CYCLE_1)
	s_add_u32 s14, s6, s14
	s_addc_u32 s15, s7, s15
	s_load_b32 s14, s[14:15], 0x0
	s_add_u32 s15, s12, 1
	s_addc_u32 s16, s13, 0
	s_waitcnt lgkmcnt(0)
	s_cmp_gt_i32 s14, 4
	s_cselect_b32 s9, s9, s16
	s_cselect_b32 s8, s8, s15
	;; [unrolled: 1-line block ×4, first 2 shown]
	s_delay_alu instid0(SALU_CYCLE_1) | instskip(NEXT) | instid1(VALU_DEP_1)
	v_cmp_lt_i64_e64 s12, s[8:9], s[10:11]
	s_and_b32 vcc_lo, exec_lo, s12
	s_cbranch_vccnz .LBB148_14
.LBB148_15:
	v_mov_b32_e32 v0, s8
	v_dual_mov_b32 v2, 0 :: v_dual_mov_b32 v1, s9
	s_and_b32 vcc_lo, exec_lo, s1
	s_mov_b64 s[8:9], 0
	global_store_b64 v2, v[0:1], s[2:3] offset:32
	s_cbranch_vccnz .LBB148_18
; %bb.16:
	s_mov_b64 s[10:11], s[4:5]
	.p2align	6
.LBB148_17:                             ; =>This Inner Loop Header: Depth=1
	s_delay_alu instid0(SALU_CYCLE_1) | instskip(SKIP_1) | instid1(SALU_CYCLE_1)
	s_sub_u32 s12, s10, s8
	s_subb_u32 s13, s11, s9
	s_lshr_b32 s14, s13, 31
	s_delay_alu instid0(SALU_CYCLE_1) | instskip(SKIP_1) | instid1(SALU_CYCLE_1)
	s_add_u32 s12, s12, s14
	s_addc_u32 s13, s13, 0
	s_ashr_i64 s[12:13], s[12:13], 1
	s_delay_alu instid0(SALU_CYCLE_1) | instskip(SKIP_1) | instid1(SALU_CYCLE_1)
	s_add_u32 s12, s12, s8
	s_addc_u32 s13, s13, s9
	s_lshl_b64 s[14:15], s[12:13], 2
	s_delay_alu instid0(SALU_CYCLE_1)
	s_add_u32 s14, s6, s14
	s_addc_u32 s15, s7, s15
	s_load_b32 s14, s[14:15], 0x0
	s_add_u32 s15, s12, 1
	s_addc_u32 s16, s13, 0
	s_waitcnt lgkmcnt(0)
	s_cmp_gt_i32 s14, 5
	s_cselect_b32 s9, s9, s16
	s_cselect_b32 s8, s8, s15
	;; [unrolled: 1-line block ×4, first 2 shown]
	s_delay_alu instid0(SALU_CYCLE_1) | instskip(NEXT) | instid1(VALU_DEP_1)
	v_cmp_lt_i64_e64 s12, s[8:9], s[10:11]
	s_and_b32 vcc_lo, exec_lo, s12
	s_cbranch_vccnz .LBB148_17
.LBB148_18:
	v_mov_b32_e32 v0, s8
	v_dual_mov_b32 v2, 0 :: v_dual_mov_b32 v1, s9
	s_and_b32 vcc_lo, exec_lo, s1
	s_mov_b64 s[8:9], 0
	global_store_b64 v2, v[0:1], s[2:3] offset:40
	s_cbranch_vccnz .LBB148_21
; %bb.19:
	s_mov_b64 s[10:11], s[4:5]
	.p2align	6
.LBB148_20:                             ; =>This Inner Loop Header: Depth=1
	s_delay_alu instid0(SALU_CYCLE_1) | instskip(SKIP_1) | instid1(SALU_CYCLE_1)
	s_sub_u32 s12, s10, s8
	s_subb_u32 s13, s11, s9
	s_lshr_b32 s14, s13, 31
	s_delay_alu instid0(SALU_CYCLE_1) | instskip(SKIP_1) | instid1(SALU_CYCLE_1)
	s_add_u32 s12, s12, s14
	s_addc_u32 s13, s13, 0
	s_ashr_i64 s[12:13], s[12:13], 1
	s_delay_alu instid0(SALU_CYCLE_1) | instskip(SKIP_1) | instid1(SALU_CYCLE_1)
	s_add_u32 s12, s12, s8
	s_addc_u32 s13, s13, s9
	s_lshl_b64 s[14:15], s[12:13], 2
	s_delay_alu instid0(SALU_CYCLE_1)
	s_add_u32 s14, s6, s14
	s_addc_u32 s15, s7, s15
	s_load_b32 s14, s[14:15], 0x0
	s_add_u32 s15, s12, 1
	s_addc_u32 s16, s13, 0
	s_waitcnt lgkmcnt(0)
	s_cmp_gt_i32 s14, 6
	s_cselect_b32 s9, s9, s16
	s_cselect_b32 s8, s8, s15
	;; [unrolled: 1-line block ×4, first 2 shown]
	s_delay_alu instid0(SALU_CYCLE_1) | instskip(NEXT) | instid1(VALU_DEP_1)
	v_cmp_lt_i64_e64 s12, s[8:9], s[10:11]
	s_and_b32 vcc_lo, exec_lo, s12
	s_cbranch_vccnz .LBB148_20
.LBB148_21:
	v_mov_b32_e32 v0, s8
	v_dual_mov_b32 v2, 0 :: v_dual_mov_b32 v1, s9
	s_and_b32 vcc_lo, exec_lo, s1
	s_mov_b64 s[8:9], 0
	global_store_b64 v2, v[0:1], s[2:3] offset:48
	s_cbranch_vccnz .LBB148_24
; %bb.22:
	s_mov_b64 s[10:11], s[4:5]
	.p2align	6
.LBB148_23:                             ; =>This Inner Loop Header: Depth=1
	s_delay_alu instid0(SALU_CYCLE_1) | instskip(SKIP_1) | instid1(SALU_CYCLE_1)
	s_sub_u32 s1, s10, s8
	s_subb_u32 s13, s11, s9
	s_lshr_b32 s12, s13, 31
	s_delay_alu instid0(SALU_CYCLE_1) | instskip(SKIP_1) | instid1(SALU_CYCLE_1)
	s_add_u32 s12, s1, s12
	s_addc_u32 s13, s13, 0
	s_ashr_i64 s[12:13], s[12:13], 1
	s_delay_alu instid0(SALU_CYCLE_1) | instskip(SKIP_1) | instid1(SALU_CYCLE_1)
	s_add_u32 s12, s12, s8
	s_addc_u32 s13, s13, s9
	s_lshl_b64 s[14:15], s[12:13], 2
	s_delay_alu instid0(SALU_CYCLE_1)
	s_add_u32 s14, s6, s14
	s_addc_u32 s15, s7, s15
	s_load_b32 s1, s[14:15], 0x0
	s_add_u32 s14, s12, 1
	s_addc_u32 s15, s13, 0
	s_waitcnt lgkmcnt(0)
	s_cmp_gt_i32 s1, 7
	s_cselect_b32 s9, s9, s15
	s_cselect_b32 s8, s8, s14
	;; [unrolled: 1-line block ×4, first 2 shown]
	s_delay_alu instid0(SALU_CYCLE_1) | instskip(NEXT) | instid1(VALU_DEP_1)
	v_cmp_lt_i64_e64 s1, s[8:9], s[10:11]
	s_and_b32 vcc_lo, exec_lo, s1
	s_cbranch_vccnz .LBB148_23
.LBB148_24:
	v_dual_mov_b32 v0, 0 :: v_dual_mov_b32 v1, s8
	v_mov_b32_e32 v2, s9
	s_mov_b32 vcc_lo, s0
	global_store_b64 v0, v[1:2], s[2:3] offset:56
	s_cbranch_vccz .LBB148_26
; %bb.25:
	v_mov_b32_e32 v1, v0
	s_mov_b64 s[0:1], 0
	global_store_b64 v0, v[0:1], s[2:3] offset:64
	s_cbranch_execz .LBB148_27
	s_branch .LBB148_31
.LBB148_26:
                                        ; implicit-def: $sgpr0_sgpr1
.LBB148_27:
	s_mov_b64 s[0:1], 0
	s_mov_b64 s[8:9], s[4:5]
	.p2align	6
.LBB148_28:                             ; =>This Inner Loop Header: Depth=1
	s_delay_alu instid0(SALU_CYCLE_1) | instskip(SKIP_1) | instid1(SALU_CYCLE_1)
	s_sub_u32 s10, s8, s0
	s_subb_u32 s11, s9, s1
	s_lshr_b32 s12, s11, 31
	s_delay_alu instid0(SALU_CYCLE_1) | instskip(SKIP_1) | instid1(SALU_CYCLE_1)
	s_add_u32 s10, s10, s12
	s_addc_u32 s11, s11, 0
	s_ashr_i64 s[10:11], s[10:11], 1
	s_delay_alu instid0(SALU_CYCLE_1) | instskip(SKIP_1) | instid1(SALU_CYCLE_1)
	s_add_u32 s10, s10, s0
	s_addc_u32 s11, s11, s1
	s_lshl_b64 s[12:13], s[10:11], 2
	s_delay_alu instid0(SALU_CYCLE_1)
	s_add_u32 s12, s6, s12
	s_addc_u32 s13, s7, s13
	s_load_b32 s12, s[12:13], 0x0
	s_add_u32 s13, s10, 1
	s_addc_u32 s14, s11, 0
	s_waitcnt lgkmcnt(0)
	s_cmp_gt_i32 s12, 8
	s_cselect_b32 s1, s1, s14
	s_cselect_b32 s0, s0, s13
	s_cselect_b32 s9, s11, s9
	s_cselect_b32 s8, s10, s8
	s_delay_alu instid0(SALU_CYCLE_1) | instskip(NEXT) | instid1(VALU_DEP_1)
	v_cmp_lt_i64_e64 s10, s[0:1], s[8:9]
	s_and_b32 vcc_lo, exec_lo, s10
	s_cbranch_vccnz .LBB148_28
; %bb.29:
	v_mov_b32_e32 v0, s0
	v_dual_mov_b32 v2, 0 :: v_dual_mov_b32 v1, s1
	s_mov_b64 s[0:1], 0
	global_store_b64 v2, v[0:1], s[2:3] offset:64
	.p2align	6
.LBB148_30:                             ; =>This Inner Loop Header: Depth=1
	s_sub_u32 s8, s4, s0
	s_subb_u32 s9, s5, s1
	s_delay_alu instid0(SALU_CYCLE_1) | instskip(NEXT) | instid1(SALU_CYCLE_1)
	s_lshr_b32 s10, s9, 31
	s_add_u32 s8, s8, s10
	s_addc_u32 s9, s9, 0
	s_delay_alu instid0(SALU_CYCLE_1) | instskip(NEXT) | instid1(SALU_CYCLE_1)
	s_ashr_i64 s[8:9], s[8:9], 1
	s_add_u32 s8, s8, s0
	s_addc_u32 s9, s9, s1
	s_delay_alu instid0(SALU_CYCLE_1) | instskip(NEXT) | instid1(SALU_CYCLE_1)
	s_lshl_b64 s[10:11], s[8:9], 2
	s_add_u32 s10, s6, s10
	s_addc_u32 s11, s7, s11
	s_load_b32 s10, s[10:11], 0x0
	s_add_u32 s11, s8, 1
	s_addc_u32 s12, s9, 0
	s_waitcnt lgkmcnt(0)
	s_cmp_gt_i32 s10, 9
	s_cselect_b32 s1, s1, s12
	s_cselect_b32 s0, s0, s11
	s_cselect_b32 s5, s9, s5
	s_cselect_b32 s4, s8, s4
	s_delay_alu instid0(SALU_CYCLE_1) | instskip(NEXT) | instid1(VALU_DEP_1)
	v_cmp_ge_i64_e64 s8, s[0:1], s[4:5]
	s_and_b32 vcc_lo, exec_lo, s8
	s_cbranch_vccz .LBB148_30
.LBB148_31:
	v_mov_b32_e32 v0, s0
	v_dual_mov_b32 v2, 0 :: v_dual_mov_b32 v1, s1
	global_store_b64 v2, v[0:1], s[2:3] offset:72
	s_nop 0
	s_sendmsg sendmsg(MSG_DEALLOC_VGPRS)
	s_endpgm
	.section	.rodata,"a",@progbits
	.p2align	6, 0x0
	.amdhsa_kernel _Z18upper_bound_kernelIiEvmPT_Pl
		.amdhsa_group_segment_fixed_size 0
		.amdhsa_private_segment_fixed_size 0
		.amdhsa_kernarg_size 24
		.amdhsa_user_sgpr_count 15
		.amdhsa_user_sgpr_dispatch_ptr 0
		.amdhsa_user_sgpr_queue_ptr 0
		.amdhsa_user_sgpr_kernarg_segment_ptr 1
		.amdhsa_user_sgpr_dispatch_id 0
		.amdhsa_user_sgpr_private_segment_size 0
		.amdhsa_wavefront_size32 1
		.amdhsa_uses_dynamic_stack 0
		.amdhsa_enable_private_segment 0
		.amdhsa_system_sgpr_workgroup_id_x 1
		.amdhsa_system_sgpr_workgroup_id_y 0
		.amdhsa_system_sgpr_workgroup_id_z 0
		.amdhsa_system_sgpr_workgroup_info 0
		.amdhsa_system_vgpr_workitem_id 0
		.amdhsa_next_free_vgpr 3
		.amdhsa_next_free_sgpr 17
		.amdhsa_reserve_vcc 1
		.amdhsa_float_round_mode_32 0
		.amdhsa_float_round_mode_16_64 0
		.amdhsa_float_denorm_mode_32 3
		.amdhsa_float_denorm_mode_16_64 3
		.amdhsa_dx10_clamp 1
		.amdhsa_ieee_mode 1
		.amdhsa_fp16_overflow 0
		.amdhsa_workgroup_processor_mode 1
		.amdhsa_memory_ordered 1
		.amdhsa_forward_progress 0
		.amdhsa_shared_vgpr_count 0
		.amdhsa_exception_fp_ieee_invalid_op 0
		.amdhsa_exception_fp_denorm_src 0
		.amdhsa_exception_fp_ieee_div_zero 0
		.amdhsa_exception_fp_ieee_overflow 0
		.amdhsa_exception_fp_ieee_underflow 0
		.amdhsa_exception_fp_ieee_inexact 0
		.amdhsa_exception_int_div_zero 0
	.end_amdhsa_kernel
	.section	.text._Z18upper_bound_kernelIiEvmPT_Pl,"axG",@progbits,_Z18upper_bound_kernelIiEvmPT_Pl,comdat
.Lfunc_end148:
	.size	_Z18upper_bound_kernelIiEvmPT_Pl, .Lfunc_end148-_Z18upper_bound_kernelIiEvmPT_Pl
                                        ; -- End function
	.section	.AMDGPU.csdata,"",@progbits
; Kernel info:
; codeLenInByte = 1648
; NumSgprs: 19
; NumVgprs: 3
; ScratchSize: 0
; MemoryBound: 0
; FloatMode: 240
; IeeeMode: 1
; LDSByteSize: 0 bytes/workgroup (compile time only)
; SGPRBlocks: 2
; VGPRBlocks: 0
; NumSGPRsForWavesPerEU: 19
; NumVGPRsForWavesPerEU: 3
; Occupancy: 16
; WaveLimiterHint : 0
; COMPUTE_PGM_RSRC2:SCRATCH_EN: 0
; COMPUTE_PGM_RSRC2:USER_SGPR: 15
; COMPUTE_PGM_RSRC2:TRAP_HANDLER: 0
; COMPUTE_PGM_RSRC2:TGID_X_EN: 1
; COMPUTE_PGM_RSRC2:TGID_Y_EN: 0
; COMPUTE_PGM_RSRC2:TGID_Z_EN: 0
; COMPUTE_PGM_RSRC2:TIDIG_COMP_CNT: 0
	.section	.text._ZN7rocprim17ROCPRIM_400000_NS6detail17trampoline_kernelINS0_14default_configENS1_27upper_bound_config_selectorIilEEZNS1_14transform_implILb0ES3_S5_N6thrust23THRUST_200600_302600_NS17counting_iteratorIiNS8_11use_defaultESA_SA_EEPlZNS1_13binary_searchIS3_S5_PiSB_SC_NS1_21upper_bound_search_opENS8_6detail16wrapped_functionINS0_4lessIvEEbEEEE10hipError_tPvRmT1_T2_T3_mmT4_T5_P12ihipStream_tbEUlRKiE_EESL_SP_SQ_mSR_SU_bEUlT_E_NS1_11comp_targetILNS1_3genE0ELNS1_11target_archE4294967295ELNS1_3gpuE0ELNS1_3repE0EEENS1_30default_config_static_selectorELNS0_4arch9wavefront6targetE0EEEvSO_,"axG",@progbits,_ZN7rocprim17ROCPRIM_400000_NS6detail17trampoline_kernelINS0_14default_configENS1_27upper_bound_config_selectorIilEEZNS1_14transform_implILb0ES3_S5_N6thrust23THRUST_200600_302600_NS17counting_iteratorIiNS8_11use_defaultESA_SA_EEPlZNS1_13binary_searchIS3_S5_PiSB_SC_NS1_21upper_bound_search_opENS8_6detail16wrapped_functionINS0_4lessIvEEbEEEE10hipError_tPvRmT1_T2_T3_mmT4_T5_P12ihipStream_tbEUlRKiE_EESL_SP_SQ_mSR_SU_bEUlT_E_NS1_11comp_targetILNS1_3genE0ELNS1_11target_archE4294967295ELNS1_3gpuE0ELNS1_3repE0EEENS1_30default_config_static_selectorELNS0_4arch9wavefront6targetE0EEEvSO_,comdat
	.protected	_ZN7rocprim17ROCPRIM_400000_NS6detail17trampoline_kernelINS0_14default_configENS1_27upper_bound_config_selectorIilEEZNS1_14transform_implILb0ES3_S5_N6thrust23THRUST_200600_302600_NS17counting_iteratorIiNS8_11use_defaultESA_SA_EEPlZNS1_13binary_searchIS3_S5_PiSB_SC_NS1_21upper_bound_search_opENS8_6detail16wrapped_functionINS0_4lessIvEEbEEEE10hipError_tPvRmT1_T2_T3_mmT4_T5_P12ihipStream_tbEUlRKiE_EESL_SP_SQ_mSR_SU_bEUlT_E_NS1_11comp_targetILNS1_3genE0ELNS1_11target_archE4294967295ELNS1_3gpuE0ELNS1_3repE0EEENS1_30default_config_static_selectorELNS0_4arch9wavefront6targetE0EEEvSO_ ; -- Begin function _ZN7rocprim17ROCPRIM_400000_NS6detail17trampoline_kernelINS0_14default_configENS1_27upper_bound_config_selectorIilEEZNS1_14transform_implILb0ES3_S5_N6thrust23THRUST_200600_302600_NS17counting_iteratorIiNS8_11use_defaultESA_SA_EEPlZNS1_13binary_searchIS3_S5_PiSB_SC_NS1_21upper_bound_search_opENS8_6detail16wrapped_functionINS0_4lessIvEEbEEEE10hipError_tPvRmT1_T2_T3_mmT4_T5_P12ihipStream_tbEUlRKiE_EESL_SP_SQ_mSR_SU_bEUlT_E_NS1_11comp_targetILNS1_3genE0ELNS1_11target_archE4294967295ELNS1_3gpuE0ELNS1_3repE0EEENS1_30default_config_static_selectorELNS0_4arch9wavefront6targetE0EEEvSO_
	.globl	_ZN7rocprim17ROCPRIM_400000_NS6detail17trampoline_kernelINS0_14default_configENS1_27upper_bound_config_selectorIilEEZNS1_14transform_implILb0ES3_S5_N6thrust23THRUST_200600_302600_NS17counting_iteratorIiNS8_11use_defaultESA_SA_EEPlZNS1_13binary_searchIS3_S5_PiSB_SC_NS1_21upper_bound_search_opENS8_6detail16wrapped_functionINS0_4lessIvEEbEEEE10hipError_tPvRmT1_T2_T3_mmT4_T5_P12ihipStream_tbEUlRKiE_EESL_SP_SQ_mSR_SU_bEUlT_E_NS1_11comp_targetILNS1_3genE0ELNS1_11target_archE4294967295ELNS1_3gpuE0ELNS1_3repE0EEENS1_30default_config_static_selectorELNS0_4arch9wavefront6targetE0EEEvSO_
	.p2align	8
	.type	_ZN7rocprim17ROCPRIM_400000_NS6detail17trampoline_kernelINS0_14default_configENS1_27upper_bound_config_selectorIilEEZNS1_14transform_implILb0ES3_S5_N6thrust23THRUST_200600_302600_NS17counting_iteratorIiNS8_11use_defaultESA_SA_EEPlZNS1_13binary_searchIS3_S5_PiSB_SC_NS1_21upper_bound_search_opENS8_6detail16wrapped_functionINS0_4lessIvEEbEEEE10hipError_tPvRmT1_T2_T3_mmT4_T5_P12ihipStream_tbEUlRKiE_EESL_SP_SQ_mSR_SU_bEUlT_E_NS1_11comp_targetILNS1_3genE0ELNS1_11target_archE4294967295ELNS1_3gpuE0ELNS1_3repE0EEENS1_30default_config_static_selectorELNS0_4arch9wavefront6targetE0EEEvSO_,@function
_ZN7rocprim17ROCPRIM_400000_NS6detail17trampoline_kernelINS0_14default_configENS1_27upper_bound_config_selectorIilEEZNS1_14transform_implILb0ES3_S5_N6thrust23THRUST_200600_302600_NS17counting_iteratorIiNS8_11use_defaultESA_SA_EEPlZNS1_13binary_searchIS3_S5_PiSB_SC_NS1_21upper_bound_search_opENS8_6detail16wrapped_functionINS0_4lessIvEEbEEEE10hipError_tPvRmT1_T2_T3_mmT4_T5_P12ihipStream_tbEUlRKiE_EESL_SP_SQ_mSR_SU_bEUlT_E_NS1_11comp_targetILNS1_3genE0ELNS1_11target_archE4294967295ELNS1_3gpuE0ELNS1_3repE0EEENS1_30default_config_static_selectorELNS0_4arch9wavefront6targetE0EEEvSO_: ; @_ZN7rocprim17ROCPRIM_400000_NS6detail17trampoline_kernelINS0_14default_configENS1_27upper_bound_config_selectorIilEEZNS1_14transform_implILb0ES3_S5_N6thrust23THRUST_200600_302600_NS17counting_iteratorIiNS8_11use_defaultESA_SA_EEPlZNS1_13binary_searchIS3_S5_PiSB_SC_NS1_21upper_bound_search_opENS8_6detail16wrapped_functionINS0_4lessIvEEbEEEE10hipError_tPvRmT1_T2_T3_mmT4_T5_P12ihipStream_tbEUlRKiE_EESL_SP_SQ_mSR_SU_bEUlT_E_NS1_11comp_targetILNS1_3genE0ELNS1_11target_archE4294967295ELNS1_3gpuE0ELNS1_3repE0EEENS1_30default_config_static_selectorELNS0_4arch9wavefront6targetE0EEEvSO_
; %bb.0:
	.section	.rodata,"a",@progbits
	.p2align	6, 0x0
	.amdhsa_kernel _ZN7rocprim17ROCPRIM_400000_NS6detail17trampoline_kernelINS0_14default_configENS1_27upper_bound_config_selectorIilEEZNS1_14transform_implILb0ES3_S5_N6thrust23THRUST_200600_302600_NS17counting_iteratorIiNS8_11use_defaultESA_SA_EEPlZNS1_13binary_searchIS3_S5_PiSB_SC_NS1_21upper_bound_search_opENS8_6detail16wrapped_functionINS0_4lessIvEEbEEEE10hipError_tPvRmT1_T2_T3_mmT4_T5_P12ihipStream_tbEUlRKiE_EESL_SP_SQ_mSR_SU_bEUlT_E_NS1_11comp_targetILNS1_3genE0ELNS1_11target_archE4294967295ELNS1_3gpuE0ELNS1_3repE0EEENS1_30default_config_static_selectorELNS0_4arch9wavefront6targetE0EEEvSO_
		.amdhsa_group_segment_fixed_size 0
		.amdhsa_private_segment_fixed_size 0
		.amdhsa_kernarg_size 56
		.amdhsa_user_sgpr_count 15
		.amdhsa_user_sgpr_dispatch_ptr 0
		.amdhsa_user_sgpr_queue_ptr 0
		.amdhsa_user_sgpr_kernarg_segment_ptr 1
		.amdhsa_user_sgpr_dispatch_id 0
		.amdhsa_user_sgpr_private_segment_size 0
		.amdhsa_wavefront_size32 1
		.amdhsa_uses_dynamic_stack 0
		.amdhsa_enable_private_segment 0
		.amdhsa_system_sgpr_workgroup_id_x 1
		.amdhsa_system_sgpr_workgroup_id_y 0
		.amdhsa_system_sgpr_workgroup_id_z 0
		.amdhsa_system_sgpr_workgroup_info 0
		.amdhsa_system_vgpr_workitem_id 0
		.amdhsa_next_free_vgpr 1
		.amdhsa_next_free_sgpr 1
		.amdhsa_reserve_vcc 0
		.amdhsa_float_round_mode_32 0
		.amdhsa_float_round_mode_16_64 0
		.amdhsa_float_denorm_mode_32 3
		.amdhsa_float_denorm_mode_16_64 3
		.amdhsa_dx10_clamp 1
		.amdhsa_ieee_mode 1
		.amdhsa_fp16_overflow 0
		.amdhsa_workgroup_processor_mode 1
		.amdhsa_memory_ordered 1
		.amdhsa_forward_progress 0
		.amdhsa_shared_vgpr_count 0
		.amdhsa_exception_fp_ieee_invalid_op 0
		.amdhsa_exception_fp_denorm_src 0
		.amdhsa_exception_fp_ieee_div_zero 0
		.amdhsa_exception_fp_ieee_overflow 0
		.amdhsa_exception_fp_ieee_underflow 0
		.amdhsa_exception_fp_ieee_inexact 0
		.amdhsa_exception_int_div_zero 0
	.end_amdhsa_kernel
	.section	.text._ZN7rocprim17ROCPRIM_400000_NS6detail17trampoline_kernelINS0_14default_configENS1_27upper_bound_config_selectorIilEEZNS1_14transform_implILb0ES3_S5_N6thrust23THRUST_200600_302600_NS17counting_iteratorIiNS8_11use_defaultESA_SA_EEPlZNS1_13binary_searchIS3_S5_PiSB_SC_NS1_21upper_bound_search_opENS8_6detail16wrapped_functionINS0_4lessIvEEbEEEE10hipError_tPvRmT1_T2_T3_mmT4_T5_P12ihipStream_tbEUlRKiE_EESL_SP_SQ_mSR_SU_bEUlT_E_NS1_11comp_targetILNS1_3genE0ELNS1_11target_archE4294967295ELNS1_3gpuE0ELNS1_3repE0EEENS1_30default_config_static_selectorELNS0_4arch9wavefront6targetE0EEEvSO_,"axG",@progbits,_ZN7rocprim17ROCPRIM_400000_NS6detail17trampoline_kernelINS0_14default_configENS1_27upper_bound_config_selectorIilEEZNS1_14transform_implILb0ES3_S5_N6thrust23THRUST_200600_302600_NS17counting_iteratorIiNS8_11use_defaultESA_SA_EEPlZNS1_13binary_searchIS3_S5_PiSB_SC_NS1_21upper_bound_search_opENS8_6detail16wrapped_functionINS0_4lessIvEEbEEEE10hipError_tPvRmT1_T2_T3_mmT4_T5_P12ihipStream_tbEUlRKiE_EESL_SP_SQ_mSR_SU_bEUlT_E_NS1_11comp_targetILNS1_3genE0ELNS1_11target_archE4294967295ELNS1_3gpuE0ELNS1_3repE0EEENS1_30default_config_static_selectorELNS0_4arch9wavefront6targetE0EEEvSO_,comdat
.Lfunc_end149:
	.size	_ZN7rocprim17ROCPRIM_400000_NS6detail17trampoline_kernelINS0_14default_configENS1_27upper_bound_config_selectorIilEEZNS1_14transform_implILb0ES3_S5_N6thrust23THRUST_200600_302600_NS17counting_iteratorIiNS8_11use_defaultESA_SA_EEPlZNS1_13binary_searchIS3_S5_PiSB_SC_NS1_21upper_bound_search_opENS8_6detail16wrapped_functionINS0_4lessIvEEbEEEE10hipError_tPvRmT1_T2_T3_mmT4_T5_P12ihipStream_tbEUlRKiE_EESL_SP_SQ_mSR_SU_bEUlT_E_NS1_11comp_targetILNS1_3genE0ELNS1_11target_archE4294967295ELNS1_3gpuE0ELNS1_3repE0EEENS1_30default_config_static_selectorELNS0_4arch9wavefront6targetE0EEEvSO_, .Lfunc_end149-_ZN7rocprim17ROCPRIM_400000_NS6detail17trampoline_kernelINS0_14default_configENS1_27upper_bound_config_selectorIilEEZNS1_14transform_implILb0ES3_S5_N6thrust23THRUST_200600_302600_NS17counting_iteratorIiNS8_11use_defaultESA_SA_EEPlZNS1_13binary_searchIS3_S5_PiSB_SC_NS1_21upper_bound_search_opENS8_6detail16wrapped_functionINS0_4lessIvEEbEEEE10hipError_tPvRmT1_T2_T3_mmT4_T5_P12ihipStream_tbEUlRKiE_EESL_SP_SQ_mSR_SU_bEUlT_E_NS1_11comp_targetILNS1_3genE0ELNS1_11target_archE4294967295ELNS1_3gpuE0ELNS1_3repE0EEENS1_30default_config_static_selectorELNS0_4arch9wavefront6targetE0EEEvSO_
                                        ; -- End function
	.section	.AMDGPU.csdata,"",@progbits
; Kernel info:
; codeLenInByte = 0
; NumSgprs: 0
; NumVgprs: 0
; ScratchSize: 0
; MemoryBound: 0
; FloatMode: 240
; IeeeMode: 1
; LDSByteSize: 0 bytes/workgroup (compile time only)
; SGPRBlocks: 0
; VGPRBlocks: 0
; NumSGPRsForWavesPerEU: 1
; NumVGPRsForWavesPerEU: 1
; Occupancy: 16
; WaveLimiterHint : 0
; COMPUTE_PGM_RSRC2:SCRATCH_EN: 0
; COMPUTE_PGM_RSRC2:USER_SGPR: 15
; COMPUTE_PGM_RSRC2:TRAP_HANDLER: 0
; COMPUTE_PGM_RSRC2:TGID_X_EN: 1
; COMPUTE_PGM_RSRC2:TGID_Y_EN: 0
; COMPUTE_PGM_RSRC2:TGID_Z_EN: 0
; COMPUTE_PGM_RSRC2:TIDIG_COMP_CNT: 0
	.section	.text._ZN7rocprim17ROCPRIM_400000_NS6detail17trampoline_kernelINS0_14default_configENS1_27upper_bound_config_selectorIilEEZNS1_14transform_implILb0ES3_S5_N6thrust23THRUST_200600_302600_NS17counting_iteratorIiNS8_11use_defaultESA_SA_EEPlZNS1_13binary_searchIS3_S5_PiSB_SC_NS1_21upper_bound_search_opENS8_6detail16wrapped_functionINS0_4lessIvEEbEEEE10hipError_tPvRmT1_T2_T3_mmT4_T5_P12ihipStream_tbEUlRKiE_EESL_SP_SQ_mSR_SU_bEUlT_E_NS1_11comp_targetILNS1_3genE5ELNS1_11target_archE942ELNS1_3gpuE9ELNS1_3repE0EEENS1_30default_config_static_selectorELNS0_4arch9wavefront6targetE0EEEvSO_,"axG",@progbits,_ZN7rocprim17ROCPRIM_400000_NS6detail17trampoline_kernelINS0_14default_configENS1_27upper_bound_config_selectorIilEEZNS1_14transform_implILb0ES3_S5_N6thrust23THRUST_200600_302600_NS17counting_iteratorIiNS8_11use_defaultESA_SA_EEPlZNS1_13binary_searchIS3_S5_PiSB_SC_NS1_21upper_bound_search_opENS8_6detail16wrapped_functionINS0_4lessIvEEbEEEE10hipError_tPvRmT1_T2_T3_mmT4_T5_P12ihipStream_tbEUlRKiE_EESL_SP_SQ_mSR_SU_bEUlT_E_NS1_11comp_targetILNS1_3genE5ELNS1_11target_archE942ELNS1_3gpuE9ELNS1_3repE0EEENS1_30default_config_static_selectorELNS0_4arch9wavefront6targetE0EEEvSO_,comdat
	.protected	_ZN7rocprim17ROCPRIM_400000_NS6detail17trampoline_kernelINS0_14default_configENS1_27upper_bound_config_selectorIilEEZNS1_14transform_implILb0ES3_S5_N6thrust23THRUST_200600_302600_NS17counting_iteratorIiNS8_11use_defaultESA_SA_EEPlZNS1_13binary_searchIS3_S5_PiSB_SC_NS1_21upper_bound_search_opENS8_6detail16wrapped_functionINS0_4lessIvEEbEEEE10hipError_tPvRmT1_T2_T3_mmT4_T5_P12ihipStream_tbEUlRKiE_EESL_SP_SQ_mSR_SU_bEUlT_E_NS1_11comp_targetILNS1_3genE5ELNS1_11target_archE942ELNS1_3gpuE9ELNS1_3repE0EEENS1_30default_config_static_selectorELNS0_4arch9wavefront6targetE0EEEvSO_ ; -- Begin function _ZN7rocprim17ROCPRIM_400000_NS6detail17trampoline_kernelINS0_14default_configENS1_27upper_bound_config_selectorIilEEZNS1_14transform_implILb0ES3_S5_N6thrust23THRUST_200600_302600_NS17counting_iteratorIiNS8_11use_defaultESA_SA_EEPlZNS1_13binary_searchIS3_S5_PiSB_SC_NS1_21upper_bound_search_opENS8_6detail16wrapped_functionINS0_4lessIvEEbEEEE10hipError_tPvRmT1_T2_T3_mmT4_T5_P12ihipStream_tbEUlRKiE_EESL_SP_SQ_mSR_SU_bEUlT_E_NS1_11comp_targetILNS1_3genE5ELNS1_11target_archE942ELNS1_3gpuE9ELNS1_3repE0EEENS1_30default_config_static_selectorELNS0_4arch9wavefront6targetE0EEEvSO_
	.globl	_ZN7rocprim17ROCPRIM_400000_NS6detail17trampoline_kernelINS0_14default_configENS1_27upper_bound_config_selectorIilEEZNS1_14transform_implILb0ES3_S5_N6thrust23THRUST_200600_302600_NS17counting_iteratorIiNS8_11use_defaultESA_SA_EEPlZNS1_13binary_searchIS3_S5_PiSB_SC_NS1_21upper_bound_search_opENS8_6detail16wrapped_functionINS0_4lessIvEEbEEEE10hipError_tPvRmT1_T2_T3_mmT4_T5_P12ihipStream_tbEUlRKiE_EESL_SP_SQ_mSR_SU_bEUlT_E_NS1_11comp_targetILNS1_3genE5ELNS1_11target_archE942ELNS1_3gpuE9ELNS1_3repE0EEENS1_30default_config_static_selectorELNS0_4arch9wavefront6targetE0EEEvSO_
	.p2align	8
	.type	_ZN7rocprim17ROCPRIM_400000_NS6detail17trampoline_kernelINS0_14default_configENS1_27upper_bound_config_selectorIilEEZNS1_14transform_implILb0ES3_S5_N6thrust23THRUST_200600_302600_NS17counting_iteratorIiNS8_11use_defaultESA_SA_EEPlZNS1_13binary_searchIS3_S5_PiSB_SC_NS1_21upper_bound_search_opENS8_6detail16wrapped_functionINS0_4lessIvEEbEEEE10hipError_tPvRmT1_T2_T3_mmT4_T5_P12ihipStream_tbEUlRKiE_EESL_SP_SQ_mSR_SU_bEUlT_E_NS1_11comp_targetILNS1_3genE5ELNS1_11target_archE942ELNS1_3gpuE9ELNS1_3repE0EEENS1_30default_config_static_selectorELNS0_4arch9wavefront6targetE0EEEvSO_,@function
_ZN7rocprim17ROCPRIM_400000_NS6detail17trampoline_kernelINS0_14default_configENS1_27upper_bound_config_selectorIilEEZNS1_14transform_implILb0ES3_S5_N6thrust23THRUST_200600_302600_NS17counting_iteratorIiNS8_11use_defaultESA_SA_EEPlZNS1_13binary_searchIS3_S5_PiSB_SC_NS1_21upper_bound_search_opENS8_6detail16wrapped_functionINS0_4lessIvEEbEEEE10hipError_tPvRmT1_T2_T3_mmT4_T5_P12ihipStream_tbEUlRKiE_EESL_SP_SQ_mSR_SU_bEUlT_E_NS1_11comp_targetILNS1_3genE5ELNS1_11target_archE942ELNS1_3gpuE9ELNS1_3repE0EEENS1_30default_config_static_selectorELNS0_4arch9wavefront6targetE0EEEvSO_: ; @_ZN7rocprim17ROCPRIM_400000_NS6detail17trampoline_kernelINS0_14default_configENS1_27upper_bound_config_selectorIilEEZNS1_14transform_implILb0ES3_S5_N6thrust23THRUST_200600_302600_NS17counting_iteratorIiNS8_11use_defaultESA_SA_EEPlZNS1_13binary_searchIS3_S5_PiSB_SC_NS1_21upper_bound_search_opENS8_6detail16wrapped_functionINS0_4lessIvEEbEEEE10hipError_tPvRmT1_T2_T3_mmT4_T5_P12ihipStream_tbEUlRKiE_EESL_SP_SQ_mSR_SU_bEUlT_E_NS1_11comp_targetILNS1_3genE5ELNS1_11target_archE942ELNS1_3gpuE9ELNS1_3repE0EEENS1_30default_config_static_selectorELNS0_4arch9wavefront6targetE0EEEvSO_
; %bb.0:
	.section	.rodata,"a",@progbits
	.p2align	6, 0x0
	.amdhsa_kernel _ZN7rocprim17ROCPRIM_400000_NS6detail17trampoline_kernelINS0_14default_configENS1_27upper_bound_config_selectorIilEEZNS1_14transform_implILb0ES3_S5_N6thrust23THRUST_200600_302600_NS17counting_iteratorIiNS8_11use_defaultESA_SA_EEPlZNS1_13binary_searchIS3_S5_PiSB_SC_NS1_21upper_bound_search_opENS8_6detail16wrapped_functionINS0_4lessIvEEbEEEE10hipError_tPvRmT1_T2_T3_mmT4_T5_P12ihipStream_tbEUlRKiE_EESL_SP_SQ_mSR_SU_bEUlT_E_NS1_11comp_targetILNS1_3genE5ELNS1_11target_archE942ELNS1_3gpuE9ELNS1_3repE0EEENS1_30default_config_static_selectorELNS0_4arch9wavefront6targetE0EEEvSO_
		.amdhsa_group_segment_fixed_size 0
		.amdhsa_private_segment_fixed_size 0
		.amdhsa_kernarg_size 56
		.amdhsa_user_sgpr_count 15
		.amdhsa_user_sgpr_dispatch_ptr 0
		.amdhsa_user_sgpr_queue_ptr 0
		.amdhsa_user_sgpr_kernarg_segment_ptr 1
		.amdhsa_user_sgpr_dispatch_id 0
		.amdhsa_user_sgpr_private_segment_size 0
		.amdhsa_wavefront_size32 1
		.amdhsa_uses_dynamic_stack 0
		.amdhsa_enable_private_segment 0
		.amdhsa_system_sgpr_workgroup_id_x 1
		.amdhsa_system_sgpr_workgroup_id_y 0
		.amdhsa_system_sgpr_workgroup_id_z 0
		.amdhsa_system_sgpr_workgroup_info 0
		.amdhsa_system_vgpr_workitem_id 0
		.amdhsa_next_free_vgpr 1
		.amdhsa_next_free_sgpr 1
		.amdhsa_reserve_vcc 0
		.amdhsa_float_round_mode_32 0
		.amdhsa_float_round_mode_16_64 0
		.amdhsa_float_denorm_mode_32 3
		.amdhsa_float_denorm_mode_16_64 3
		.amdhsa_dx10_clamp 1
		.amdhsa_ieee_mode 1
		.amdhsa_fp16_overflow 0
		.amdhsa_workgroup_processor_mode 1
		.amdhsa_memory_ordered 1
		.amdhsa_forward_progress 0
		.amdhsa_shared_vgpr_count 0
		.amdhsa_exception_fp_ieee_invalid_op 0
		.amdhsa_exception_fp_denorm_src 0
		.amdhsa_exception_fp_ieee_div_zero 0
		.amdhsa_exception_fp_ieee_overflow 0
		.amdhsa_exception_fp_ieee_underflow 0
		.amdhsa_exception_fp_ieee_inexact 0
		.amdhsa_exception_int_div_zero 0
	.end_amdhsa_kernel
	.section	.text._ZN7rocprim17ROCPRIM_400000_NS6detail17trampoline_kernelINS0_14default_configENS1_27upper_bound_config_selectorIilEEZNS1_14transform_implILb0ES3_S5_N6thrust23THRUST_200600_302600_NS17counting_iteratorIiNS8_11use_defaultESA_SA_EEPlZNS1_13binary_searchIS3_S5_PiSB_SC_NS1_21upper_bound_search_opENS8_6detail16wrapped_functionINS0_4lessIvEEbEEEE10hipError_tPvRmT1_T2_T3_mmT4_T5_P12ihipStream_tbEUlRKiE_EESL_SP_SQ_mSR_SU_bEUlT_E_NS1_11comp_targetILNS1_3genE5ELNS1_11target_archE942ELNS1_3gpuE9ELNS1_3repE0EEENS1_30default_config_static_selectorELNS0_4arch9wavefront6targetE0EEEvSO_,"axG",@progbits,_ZN7rocprim17ROCPRIM_400000_NS6detail17trampoline_kernelINS0_14default_configENS1_27upper_bound_config_selectorIilEEZNS1_14transform_implILb0ES3_S5_N6thrust23THRUST_200600_302600_NS17counting_iteratorIiNS8_11use_defaultESA_SA_EEPlZNS1_13binary_searchIS3_S5_PiSB_SC_NS1_21upper_bound_search_opENS8_6detail16wrapped_functionINS0_4lessIvEEbEEEE10hipError_tPvRmT1_T2_T3_mmT4_T5_P12ihipStream_tbEUlRKiE_EESL_SP_SQ_mSR_SU_bEUlT_E_NS1_11comp_targetILNS1_3genE5ELNS1_11target_archE942ELNS1_3gpuE9ELNS1_3repE0EEENS1_30default_config_static_selectorELNS0_4arch9wavefront6targetE0EEEvSO_,comdat
.Lfunc_end150:
	.size	_ZN7rocprim17ROCPRIM_400000_NS6detail17trampoline_kernelINS0_14default_configENS1_27upper_bound_config_selectorIilEEZNS1_14transform_implILb0ES3_S5_N6thrust23THRUST_200600_302600_NS17counting_iteratorIiNS8_11use_defaultESA_SA_EEPlZNS1_13binary_searchIS3_S5_PiSB_SC_NS1_21upper_bound_search_opENS8_6detail16wrapped_functionINS0_4lessIvEEbEEEE10hipError_tPvRmT1_T2_T3_mmT4_T5_P12ihipStream_tbEUlRKiE_EESL_SP_SQ_mSR_SU_bEUlT_E_NS1_11comp_targetILNS1_3genE5ELNS1_11target_archE942ELNS1_3gpuE9ELNS1_3repE0EEENS1_30default_config_static_selectorELNS0_4arch9wavefront6targetE0EEEvSO_, .Lfunc_end150-_ZN7rocprim17ROCPRIM_400000_NS6detail17trampoline_kernelINS0_14default_configENS1_27upper_bound_config_selectorIilEEZNS1_14transform_implILb0ES3_S5_N6thrust23THRUST_200600_302600_NS17counting_iteratorIiNS8_11use_defaultESA_SA_EEPlZNS1_13binary_searchIS3_S5_PiSB_SC_NS1_21upper_bound_search_opENS8_6detail16wrapped_functionINS0_4lessIvEEbEEEE10hipError_tPvRmT1_T2_T3_mmT4_T5_P12ihipStream_tbEUlRKiE_EESL_SP_SQ_mSR_SU_bEUlT_E_NS1_11comp_targetILNS1_3genE5ELNS1_11target_archE942ELNS1_3gpuE9ELNS1_3repE0EEENS1_30default_config_static_selectorELNS0_4arch9wavefront6targetE0EEEvSO_
                                        ; -- End function
	.section	.AMDGPU.csdata,"",@progbits
; Kernel info:
; codeLenInByte = 0
; NumSgprs: 0
; NumVgprs: 0
; ScratchSize: 0
; MemoryBound: 0
; FloatMode: 240
; IeeeMode: 1
; LDSByteSize: 0 bytes/workgroup (compile time only)
; SGPRBlocks: 0
; VGPRBlocks: 0
; NumSGPRsForWavesPerEU: 1
; NumVGPRsForWavesPerEU: 1
; Occupancy: 16
; WaveLimiterHint : 0
; COMPUTE_PGM_RSRC2:SCRATCH_EN: 0
; COMPUTE_PGM_RSRC2:USER_SGPR: 15
; COMPUTE_PGM_RSRC2:TRAP_HANDLER: 0
; COMPUTE_PGM_RSRC2:TGID_X_EN: 1
; COMPUTE_PGM_RSRC2:TGID_Y_EN: 0
; COMPUTE_PGM_RSRC2:TGID_Z_EN: 0
; COMPUTE_PGM_RSRC2:TIDIG_COMP_CNT: 0
	.section	.text._ZN7rocprim17ROCPRIM_400000_NS6detail17trampoline_kernelINS0_14default_configENS1_27upper_bound_config_selectorIilEEZNS1_14transform_implILb0ES3_S5_N6thrust23THRUST_200600_302600_NS17counting_iteratorIiNS8_11use_defaultESA_SA_EEPlZNS1_13binary_searchIS3_S5_PiSB_SC_NS1_21upper_bound_search_opENS8_6detail16wrapped_functionINS0_4lessIvEEbEEEE10hipError_tPvRmT1_T2_T3_mmT4_T5_P12ihipStream_tbEUlRKiE_EESL_SP_SQ_mSR_SU_bEUlT_E_NS1_11comp_targetILNS1_3genE4ELNS1_11target_archE910ELNS1_3gpuE8ELNS1_3repE0EEENS1_30default_config_static_selectorELNS0_4arch9wavefront6targetE0EEEvSO_,"axG",@progbits,_ZN7rocprim17ROCPRIM_400000_NS6detail17trampoline_kernelINS0_14default_configENS1_27upper_bound_config_selectorIilEEZNS1_14transform_implILb0ES3_S5_N6thrust23THRUST_200600_302600_NS17counting_iteratorIiNS8_11use_defaultESA_SA_EEPlZNS1_13binary_searchIS3_S5_PiSB_SC_NS1_21upper_bound_search_opENS8_6detail16wrapped_functionINS0_4lessIvEEbEEEE10hipError_tPvRmT1_T2_T3_mmT4_T5_P12ihipStream_tbEUlRKiE_EESL_SP_SQ_mSR_SU_bEUlT_E_NS1_11comp_targetILNS1_3genE4ELNS1_11target_archE910ELNS1_3gpuE8ELNS1_3repE0EEENS1_30default_config_static_selectorELNS0_4arch9wavefront6targetE0EEEvSO_,comdat
	.protected	_ZN7rocprim17ROCPRIM_400000_NS6detail17trampoline_kernelINS0_14default_configENS1_27upper_bound_config_selectorIilEEZNS1_14transform_implILb0ES3_S5_N6thrust23THRUST_200600_302600_NS17counting_iteratorIiNS8_11use_defaultESA_SA_EEPlZNS1_13binary_searchIS3_S5_PiSB_SC_NS1_21upper_bound_search_opENS8_6detail16wrapped_functionINS0_4lessIvEEbEEEE10hipError_tPvRmT1_T2_T3_mmT4_T5_P12ihipStream_tbEUlRKiE_EESL_SP_SQ_mSR_SU_bEUlT_E_NS1_11comp_targetILNS1_3genE4ELNS1_11target_archE910ELNS1_3gpuE8ELNS1_3repE0EEENS1_30default_config_static_selectorELNS0_4arch9wavefront6targetE0EEEvSO_ ; -- Begin function _ZN7rocprim17ROCPRIM_400000_NS6detail17trampoline_kernelINS0_14default_configENS1_27upper_bound_config_selectorIilEEZNS1_14transform_implILb0ES3_S5_N6thrust23THRUST_200600_302600_NS17counting_iteratorIiNS8_11use_defaultESA_SA_EEPlZNS1_13binary_searchIS3_S5_PiSB_SC_NS1_21upper_bound_search_opENS8_6detail16wrapped_functionINS0_4lessIvEEbEEEE10hipError_tPvRmT1_T2_T3_mmT4_T5_P12ihipStream_tbEUlRKiE_EESL_SP_SQ_mSR_SU_bEUlT_E_NS1_11comp_targetILNS1_3genE4ELNS1_11target_archE910ELNS1_3gpuE8ELNS1_3repE0EEENS1_30default_config_static_selectorELNS0_4arch9wavefront6targetE0EEEvSO_
	.globl	_ZN7rocprim17ROCPRIM_400000_NS6detail17trampoline_kernelINS0_14default_configENS1_27upper_bound_config_selectorIilEEZNS1_14transform_implILb0ES3_S5_N6thrust23THRUST_200600_302600_NS17counting_iteratorIiNS8_11use_defaultESA_SA_EEPlZNS1_13binary_searchIS3_S5_PiSB_SC_NS1_21upper_bound_search_opENS8_6detail16wrapped_functionINS0_4lessIvEEbEEEE10hipError_tPvRmT1_T2_T3_mmT4_T5_P12ihipStream_tbEUlRKiE_EESL_SP_SQ_mSR_SU_bEUlT_E_NS1_11comp_targetILNS1_3genE4ELNS1_11target_archE910ELNS1_3gpuE8ELNS1_3repE0EEENS1_30default_config_static_selectorELNS0_4arch9wavefront6targetE0EEEvSO_
	.p2align	8
	.type	_ZN7rocprim17ROCPRIM_400000_NS6detail17trampoline_kernelINS0_14default_configENS1_27upper_bound_config_selectorIilEEZNS1_14transform_implILb0ES3_S5_N6thrust23THRUST_200600_302600_NS17counting_iteratorIiNS8_11use_defaultESA_SA_EEPlZNS1_13binary_searchIS3_S5_PiSB_SC_NS1_21upper_bound_search_opENS8_6detail16wrapped_functionINS0_4lessIvEEbEEEE10hipError_tPvRmT1_T2_T3_mmT4_T5_P12ihipStream_tbEUlRKiE_EESL_SP_SQ_mSR_SU_bEUlT_E_NS1_11comp_targetILNS1_3genE4ELNS1_11target_archE910ELNS1_3gpuE8ELNS1_3repE0EEENS1_30default_config_static_selectorELNS0_4arch9wavefront6targetE0EEEvSO_,@function
_ZN7rocprim17ROCPRIM_400000_NS6detail17trampoline_kernelINS0_14default_configENS1_27upper_bound_config_selectorIilEEZNS1_14transform_implILb0ES3_S5_N6thrust23THRUST_200600_302600_NS17counting_iteratorIiNS8_11use_defaultESA_SA_EEPlZNS1_13binary_searchIS3_S5_PiSB_SC_NS1_21upper_bound_search_opENS8_6detail16wrapped_functionINS0_4lessIvEEbEEEE10hipError_tPvRmT1_T2_T3_mmT4_T5_P12ihipStream_tbEUlRKiE_EESL_SP_SQ_mSR_SU_bEUlT_E_NS1_11comp_targetILNS1_3genE4ELNS1_11target_archE910ELNS1_3gpuE8ELNS1_3repE0EEENS1_30default_config_static_selectorELNS0_4arch9wavefront6targetE0EEEvSO_: ; @_ZN7rocprim17ROCPRIM_400000_NS6detail17trampoline_kernelINS0_14default_configENS1_27upper_bound_config_selectorIilEEZNS1_14transform_implILb0ES3_S5_N6thrust23THRUST_200600_302600_NS17counting_iteratorIiNS8_11use_defaultESA_SA_EEPlZNS1_13binary_searchIS3_S5_PiSB_SC_NS1_21upper_bound_search_opENS8_6detail16wrapped_functionINS0_4lessIvEEbEEEE10hipError_tPvRmT1_T2_T3_mmT4_T5_P12ihipStream_tbEUlRKiE_EESL_SP_SQ_mSR_SU_bEUlT_E_NS1_11comp_targetILNS1_3genE4ELNS1_11target_archE910ELNS1_3gpuE8ELNS1_3repE0EEENS1_30default_config_static_selectorELNS0_4arch9wavefront6targetE0EEEvSO_
; %bb.0:
	.section	.rodata,"a",@progbits
	.p2align	6, 0x0
	.amdhsa_kernel _ZN7rocprim17ROCPRIM_400000_NS6detail17trampoline_kernelINS0_14default_configENS1_27upper_bound_config_selectorIilEEZNS1_14transform_implILb0ES3_S5_N6thrust23THRUST_200600_302600_NS17counting_iteratorIiNS8_11use_defaultESA_SA_EEPlZNS1_13binary_searchIS3_S5_PiSB_SC_NS1_21upper_bound_search_opENS8_6detail16wrapped_functionINS0_4lessIvEEbEEEE10hipError_tPvRmT1_T2_T3_mmT4_T5_P12ihipStream_tbEUlRKiE_EESL_SP_SQ_mSR_SU_bEUlT_E_NS1_11comp_targetILNS1_3genE4ELNS1_11target_archE910ELNS1_3gpuE8ELNS1_3repE0EEENS1_30default_config_static_selectorELNS0_4arch9wavefront6targetE0EEEvSO_
		.amdhsa_group_segment_fixed_size 0
		.amdhsa_private_segment_fixed_size 0
		.amdhsa_kernarg_size 56
		.amdhsa_user_sgpr_count 15
		.amdhsa_user_sgpr_dispatch_ptr 0
		.amdhsa_user_sgpr_queue_ptr 0
		.amdhsa_user_sgpr_kernarg_segment_ptr 1
		.amdhsa_user_sgpr_dispatch_id 0
		.amdhsa_user_sgpr_private_segment_size 0
		.amdhsa_wavefront_size32 1
		.amdhsa_uses_dynamic_stack 0
		.amdhsa_enable_private_segment 0
		.amdhsa_system_sgpr_workgroup_id_x 1
		.amdhsa_system_sgpr_workgroup_id_y 0
		.amdhsa_system_sgpr_workgroup_id_z 0
		.amdhsa_system_sgpr_workgroup_info 0
		.amdhsa_system_vgpr_workitem_id 0
		.amdhsa_next_free_vgpr 1
		.amdhsa_next_free_sgpr 1
		.amdhsa_reserve_vcc 0
		.amdhsa_float_round_mode_32 0
		.amdhsa_float_round_mode_16_64 0
		.amdhsa_float_denorm_mode_32 3
		.amdhsa_float_denorm_mode_16_64 3
		.amdhsa_dx10_clamp 1
		.amdhsa_ieee_mode 1
		.amdhsa_fp16_overflow 0
		.amdhsa_workgroup_processor_mode 1
		.amdhsa_memory_ordered 1
		.amdhsa_forward_progress 0
		.amdhsa_shared_vgpr_count 0
		.amdhsa_exception_fp_ieee_invalid_op 0
		.amdhsa_exception_fp_denorm_src 0
		.amdhsa_exception_fp_ieee_div_zero 0
		.amdhsa_exception_fp_ieee_overflow 0
		.amdhsa_exception_fp_ieee_underflow 0
		.amdhsa_exception_fp_ieee_inexact 0
		.amdhsa_exception_int_div_zero 0
	.end_amdhsa_kernel
	.section	.text._ZN7rocprim17ROCPRIM_400000_NS6detail17trampoline_kernelINS0_14default_configENS1_27upper_bound_config_selectorIilEEZNS1_14transform_implILb0ES3_S5_N6thrust23THRUST_200600_302600_NS17counting_iteratorIiNS8_11use_defaultESA_SA_EEPlZNS1_13binary_searchIS3_S5_PiSB_SC_NS1_21upper_bound_search_opENS8_6detail16wrapped_functionINS0_4lessIvEEbEEEE10hipError_tPvRmT1_T2_T3_mmT4_T5_P12ihipStream_tbEUlRKiE_EESL_SP_SQ_mSR_SU_bEUlT_E_NS1_11comp_targetILNS1_3genE4ELNS1_11target_archE910ELNS1_3gpuE8ELNS1_3repE0EEENS1_30default_config_static_selectorELNS0_4arch9wavefront6targetE0EEEvSO_,"axG",@progbits,_ZN7rocprim17ROCPRIM_400000_NS6detail17trampoline_kernelINS0_14default_configENS1_27upper_bound_config_selectorIilEEZNS1_14transform_implILb0ES3_S5_N6thrust23THRUST_200600_302600_NS17counting_iteratorIiNS8_11use_defaultESA_SA_EEPlZNS1_13binary_searchIS3_S5_PiSB_SC_NS1_21upper_bound_search_opENS8_6detail16wrapped_functionINS0_4lessIvEEbEEEE10hipError_tPvRmT1_T2_T3_mmT4_T5_P12ihipStream_tbEUlRKiE_EESL_SP_SQ_mSR_SU_bEUlT_E_NS1_11comp_targetILNS1_3genE4ELNS1_11target_archE910ELNS1_3gpuE8ELNS1_3repE0EEENS1_30default_config_static_selectorELNS0_4arch9wavefront6targetE0EEEvSO_,comdat
.Lfunc_end151:
	.size	_ZN7rocprim17ROCPRIM_400000_NS6detail17trampoline_kernelINS0_14default_configENS1_27upper_bound_config_selectorIilEEZNS1_14transform_implILb0ES3_S5_N6thrust23THRUST_200600_302600_NS17counting_iteratorIiNS8_11use_defaultESA_SA_EEPlZNS1_13binary_searchIS3_S5_PiSB_SC_NS1_21upper_bound_search_opENS8_6detail16wrapped_functionINS0_4lessIvEEbEEEE10hipError_tPvRmT1_T2_T3_mmT4_T5_P12ihipStream_tbEUlRKiE_EESL_SP_SQ_mSR_SU_bEUlT_E_NS1_11comp_targetILNS1_3genE4ELNS1_11target_archE910ELNS1_3gpuE8ELNS1_3repE0EEENS1_30default_config_static_selectorELNS0_4arch9wavefront6targetE0EEEvSO_, .Lfunc_end151-_ZN7rocprim17ROCPRIM_400000_NS6detail17trampoline_kernelINS0_14default_configENS1_27upper_bound_config_selectorIilEEZNS1_14transform_implILb0ES3_S5_N6thrust23THRUST_200600_302600_NS17counting_iteratorIiNS8_11use_defaultESA_SA_EEPlZNS1_13binary_searchIS3_S5_PiSB_SC_NS1_21upper_bound_search_opENS8_6detail16wrapped_functionINS0_4lessIvEEbEEEE10hipError_tPvRmT1_T2_T3_mmT4_T5_P12ihipStream_tbEUlRKiE_EESL_SP_SQ_mSR_SU_bEUlT_E_NS1_11comp_targetILNS1_3genE4ELNS1_11target_archE910ELNS1_3gpuE8ELNS1_3repE0EEENS1_30default_config_static_selectorELNS0_4arch9wavefront6targetE0EEEvSO_
                                        ; -- End function
	.section	.AMDGPU.csdata,"",@progbits
; Kernel info:
; codeLenInByte = 0
; NumSgprs: 0
; NumVgprs: 0
; ScratchSize: 0
; MemoryBound: 0
; FloatMode: 240
; IeeeMode: 1
; LDSByteSize: 0 bytes/workgroup (compile time only)
; SGPRBlocks: 0
; VGPRBlocks: 0
; NumSGPRsForWavesPerEU: 1
; NumVGPRsForWavesPerEU: 1
; Occupancy: 16
; WaveLimiterHint : 0
; COMPUTE_PGM_RSRC2:SCRATCH_EN: 0
; COMPUTE_PGM_RSRC2:USER_SGPR: 15
; COMPUTE_PGM_RSRC2:TRAP_HANDLER: 0
; COMPUTE_PGM_RSRC2:TGID_X_EN: 1
; COMPUTE_PGM_RSRC2:TGID_Y_EN: 0
; COMPUTE_PGM_RSRC2:TGID_Z_EN: 0
; COMPUTE_PGM_RSRC2:TIDIG_COMP_CNT: 0
	.section	.text._ZN7rocprim17ROCPRIM_400000_NS6detail17trampoline_kernelINS0_14default_configENS1_27upper_bound_config_selectorIilEEZNS1_14transform_implILb0ES3_S5_N6thrust23THRUST_200600_302600_NS17counting_iteratorIiNS8_11use_defaultESA_SA_EEPlZNS1_13binary_searchIS3_S5_PiSB_SC_NS1_21upper_bound_search_opENS8_6detail16wrapped_functionINS0_4lessIvEEbEEEE10hipError_tPvRmT1_T2_T3_mmT4_T5_P12ihipStream_tbEUlRKiE_EESL_SP_SQ_mSR_SU_bEUlT_E_NS1_11comp_targetILNS1_3genE3ELNS1_11target_archE908ELNS1_3gpuE7ELNS1_3repE0EEENS1_30default_config_static_selectorELNS0_4arch9wavefront6targetE0EEEvSO_,"axG",@progbits,_ZN7rocprim17ROCPRIM_400000_NS6detail17trampoline_kernelINS0_14default_configENS1_27upper_bound_config_selectorIilEEZNS1_14transform_implILb0ES3_S5_N6thrust23THRUST_200600_302600_NS17counting_iteratorIiNS8_11use_defaultESA_SA_EEPlZNS1_13binary_searchIS3_S5_PiSB_SC_NS1_21upper_bound_search_opENS8_6detail16wrapped_functionINS0_4lessIvEEbEEEE10hipError_tPvRmT1_T2_T3_mmT4_T5_P12ihipStream_tbEUlRKiE_EESL_SP_SQ_mSR_SU_bEUlT_E_NS1_11comp_targetILNS1_3genE3ELNS1_11target_archE908ELNS1_3gpuE7ELNS1_3repE0EEENS1_30default_config_static_selectorELNS0_4arch9wavefront6targetE0EEEvSO_,comdat
	.protected	_ZN7rocprim17ROCPRIM_400000_NS6detail17trampoline_kernelINS0_14default_configENS1_27upper_bound_config_selectorIilEEZNS1_14transform_implILb0ES3_S5_N6thrust23THRUST_200600_302600_NS17counting_iteratorIiNS8_11use_defaultESA_SA_EEPlZNS1_13binary_searchIS3_S5_PiSB_SC_NS1_21upper_bound_search_opENS8_6detail16wrapped_functionINS0_4lessIvEEbEEEE10hipError_tPvRmT1_T2_T3_mmT4_T5_P12ihipStream_tbEUlRKiE_EESL_SP_SQ_mSR_SU_bEUlT_E_NS1_11comp_targetILNS1_3genE3ELNS1_11target_archE908ELNS1_3gpuE7ELNS1_3repE0EEENS1_30default_config_static_selectorELNS0_4arch9wavefront6targetE0EEEvSO_ ; -- Begin function _ZN7rocprim17ROCPRIM_400000_NS6detail17trampoline_kernelINS0_14default_configENS1_27upper_bound_config_selectorIilEEZNS1_14transform_implILb0ES3_S5_N6thrust23THRUST_200600_302600_NS17counting_iteratorIiNS8_11use_defaultESA_SA_EEPlZNS1_13binary_searchIS3_S5_PiSB_SC_NS1_21upper_bound_search_opENS8_6detail16wrapped_functionINS0_4lessIvEEbEEEE10hipError_tPvRmT1_T2_T3_mmT4_T5_P12ihipStream_tbEUlRKiE_EESL_SP_SQ_mSR_SU_bEUlT_E_NS1_11comp_targetILNS1_3genE3ELNS1_11target_archE908ELNS1_3gpuE7ELNS1_3repE0EEENS1_30default_config_static_selectorELNS0_4arch9wavefront6targetE0EEEvSO_
	.globl	_ZN7rocprim17ROCPRIM_400000_NS6detail17trampoline_kernelINS0_14default_configENS1_27upper_bound_config_selectorIilEEZNS1_14transform_implILb0ES3_S5_N6thrust23THRUST_200600_302600_NS17counting_iteratorIiNS8_11use_defaultESA_SA_EEPlZNS1_13binary_searchIS3_S5_PiSB_SC_NS1_21upper_bound_search_opENS8_6detail16wrapped_functionINS0_4lessIvEEbEEEE10hipError_tPvRmT1_T2_T3_mmT4_T5_P12ihipStream_tbEUlRKiE_EESL_SP_SQ_mSR_SU_bEUlT_E_NS1_11comp_targetILNS1_3genE3ELNS1_11target_archE908ELNS1_3gpuE7ELNS1_3repE0EEENS1_30default_config_static_selectorELNS0_4arch9wavefront6targetE0EEEvSO_
	.p2align	8
	.type	_ZN7rocprim17ROCPRIM_400000_NS6detail17trampoline_kernelINS0_14default_configENS1_27upper_bound_config_selectorIilEEZNS1_14transform_implILb0ES3_S5_N6thrust23THRUST_200600_302600_NS17counting_iteratorIiNS8_11use_defaultESA_SA_EEPlZNS1_13binary_searchIS3_S5_PiSB_SC_NS1_21upper_bound_search_opENS8_6detail16wrapped_functionINS0_4lessIvEEbEEEE10hipError_tPvRmT1_T2_T3_mmT4_T5_P12ihipStream_tbEUlRKiE_EESL_SP_SQ_mSR_SU_bEUlT_E_NS1_11comp_targetILNS1_3genE3ELNS1_11target_archE908ELNS1_3gpuE7ELNS1_3repE0EEENS1_30default_config_static_selectorELNS0_4arch9wavefront6targetE0EEEvSO_,@function
_ZN7rocprim17ROCPRIM_400000_NS6detail17trampoline_kernelINS0_14default_configENS1_27upper_bound_config_selectorIilEEZNS1_14transform_implILb0ES3_S5_N6thrust23THRUST_200600_302600_NS17counting_iteratorIiNS8_11use_defaultESA_SA_EEPlZNS1_13binary_searchIS3_S5_PiSB_SC_NS1_21upper_bound_search_opENS8_6detail16wrapped_functionINS0_4lessIvEEbEEEE10hipError_tPvRmT1_T2_T3_mmT4_T5_P12ihipStream_tbEUlRKiE_EESL_SP_SQ_mSR_SU_bEUlT_E_NS1_11comp_targetILNS1_3genE3ELNS1_11target_archE908ELNS1_3gpuE7ELNS1_3repE0EEENS1_30default_config_static_selectorELNS0_4arch9wavefront6targetE0EEEvSO_: ; @_ZN7rocprim17ROCPRIM_400000_NS6detail17trampoline_kernelINS0_14default_configENS1_27upper_bound_config_selectorIilEEZNS1_14transform_implILb0ES3_S5_N6thrust23THRUST_200600_302600_NS17counting_iteratorIiNS8_11use_defaultESA_SA_EEPlZNS1_13binary_searchIS3_S5_PiSB_SC_NS1_21upper_bound_search_opENS8_6detail16wrapped_functionINS0_4lessIvEEbEEEE10hipError_tPvRmT1_T2_T3_mmT4_T5_P12ihipStream_tbEUlRKiE_EESL_SP_SQ_mSR_SU_bEUlT_E_NS1_11comp_targetILNS1_3genE3ELNS1_11target_archE908ELNS1_3gpuE7ELNS1_3repE0EEENS1_30default_config_static_selectorELNS0_4arch9wavefront6targetE0EEEvSO_
; %bb.0:
	.section	.rodata,"a",@progbits
	.p2align	6, 0x0
	.amdhsa_kernel _ZN7rocprim17ROCPRIM_400000_NS6detail17trampoline_kernelINS0_14default_configENS1_27upper_bound_config_selectorIilEEZNS1_14transform_implILb0ES3_S5_N6thrust23THRUST_200600_302600_NS17counting_iteratorIiNS8_11use_defaultESA_SA_EEPlZNS1_13binary_searchIS3_S5_PiSB_SC_NS1_21upper_bound_search_opENS8_6detail16wrapped_functionINS0_4lessIvEEbEEEE10hipError_tPvRmT1_T2_T3_mmT4_T5_P12ihipStream_tbEUlRKiE_EESL_SP_SQ_mSR_SU_bEUlT_E_NS1_11comp_targetILNS1_3genE3ELNS1_11target_archE908ELNS1_3gpuE7ELNS1_3repE0EEENS1_30default_config_static_selectorELNS0_4arch9wavefront6targetE0EEEvSO_
		.amdhsa_group_segment_fixed_size 0
		.amdhsa_private_segment_fixed_size 0
		.amdhsa_kernarg_size 56
		.amdhsa_user_sgpr_count 15
		.amdhsa_user_sgpr_dispatch_ptr 0
		.amdhsa_user_sgpr_queue_ptr 0
		.amdhsa_user_sgpr_kernarg_segment_ptr 1
		.amdhsa_user_sgpr_dispatch_id 0
		.amdhsa_user_sgpr_private_segment_size 0
		.amdhsa_wavefront_size32 1
		.amdhsa_uses_dynamic_stack 0
		.amdhsa_enable_private_segment 0
		.amdhsa_system_sgpr_workgroup_id_x 1
		.amdhsa_system_sgpr_workgroup_id_y 0
		.amdhsa_system_sgpr_workgroup_id_z 0
		.amdhsa_system_sgpr_workgroup_info 0
		.amdhsa_system_vgpr_workitem_id 0
		.amdhsa_next_free_vgpr 1
		.amdhsa_next_free_sgpr 1
		.amdhsa_reserve_vcc 0
		.amdhsa_float_round_mode_32 0
		.amdhsa_float_round_mode_16_64 0
		.amdhsa_float_denorm_mode_32 3
		.amdhsa_float_denorm_mode_16_64 3
		.amdhsa_dx10_clamp 1
		.amdhsa_ieee_mode 1
		.amdhsa_fp16_overflow 0
		.amdhsa_workgroup_processor_mode 1
		.amdhsa_memory_ordered 1
		.amdhsa_forward_progress 0
		.amdhsa_shared_vgpr_count 0
		.amdhsa_exception_fp_ieee_invalid_op 0
		.amdhsa_exception_fp_denorm_src 0
		.amdhsa_exception_fp_ieee_div_zero 0
		.amdhsa_exception_fp_ieee_overflow 0
		.amdhsa_exception_fp_ieee_underflow 0
		.amdhsa_exception_fp_ieee_inexact 0
		.amdhsa_exception_int_div_zero 0
	.end_amdhsa_kernel
	.section	.text._ZN7rocprim17ROCPRIM_400000_NS6detail17trampoline_kernelINS0_14default_configENS1_27upper_bound_config_selectorIilEEZNS1_14transform_implILb0ES3_S5_N6thrust23THRUST_200600_302600_NS17counting_iteratorIiNS8_11use_defaultESA_SA_EEPlZNS1_13binary_searchIS3_S5_PiSB_SC_NS1_21upper_bound_search_opENS8_6detail16wrapped_functionINS0_4lessIvEEbEEEE10hipError_tPvRmT1_T2_T3_mmT4_T5_P12ihipStream_tbEUlRKiE_EESL_SP_SQ_mSR_SU_bEUlT_E_NS1_11comp_targetILNS1_3genE3ELNS1_11target_archE908ELNS1_3gpuE7ELNS1_3repE0EEENS1_30default_config_static_selectorELNS0_4arch9wavefront6targetE0EEEvSO_,"axG",@progbits,_ZN7rocprim17ROCPRIM_400000_NS6detail17trampoline_kernelINS0_14default_configENS1_27upper_bound_config_selectorIilEEZNS1_14transform_implILb0ES3_S5_N6thrust23THRUST_200600_302600_NS17counting_iteratorIiNS8_11use_defaultESA_SA_EEPlZNS1_13binary_searchIS3_S5_PiSB_SC_NS1_21upper_bound_search_opENS8_6detail16wrapped_functionINS0_4lessIvEEbEEEE10hipError_tPvRmT1_T2_T3_mmT4_T5_P12ihipStream_tbEUlRKiE_EESL_SP_SQ_mSR_SU_bEUlT_E_NS1_11comp_targetILNS1_3genE3ELNS1_11target_archE908ELNS1_3gpuE7ELNS1_3repE0EEENS1_30default_config_static_selectorELNS0_4arch9wavefront6targetE0EEEvSO_,comdat
.Lfunc_end152:
	.size	_ZN7rocprim17ROCPRIM_400000_NS6detail17trampoline_kernelINS0_14default_configENS1_27upper_bound_config_selectorIilEEZNS1_14transform_implILb0ES3_S5_N6thrust23THRUST_200600_302600_NS17counting_iteratorIiNS8_11use_defaultESA_SA_EEPlZNS1_13binary_searchIS3_S5_PiSB_SC_NS1_21upper_bound_search_opENS8_6detail16wrapped_functionINS0_4lessIvEEbEEEE10hipError_tPvRmT1_T2_T3_mmT4_T5_P12ihipStream_tbEUlRKiE_EESL_SP_SQ_mSR_SU_bEUlT_E_NS1_11comp_targetILNS1_3genE3ELNS1_11target_archE908ELNS1_3gpuE7ELNS1_3repE0EEENS1_30default_config_static_selectorELNS0_4arch9wavefront6targetE0EEEvSO_, .Lfunc_end152-_ZN7rocprim17ROCPRIM_400000_NS6detail17trampoline_kernelINS0_14default_configENS1_27upper_bound_config_selectorIilEEZNS1_14transform_implILb0ES3_S5_N6thrust23THRUST_200600_302600_NS17counting_iteratorIiNS8_11use_defaultESA_SA_EEPlZNS1_13binary_searchIS3_S5_PiSB_SC_NS1_21upper_bound_search_opENS8_6detail16wrapped_functionINS0_4lessIvEEbEEEE10hipError_tPvRmT1_T2_T3_mmT4_T5_P12ihipStream_tbEUlRKiE_EESL_SP_SQ_mSR_SU_bEUlT_E_NS1_11comp_targetILNS1_3genE3ELNS1_11target_archE908ELNS1_3gpuE7ELNS1_3repE0EEENS1_30default_config_static_selectorELNS0_4arch9wavefront6targetE0EEEvSO_
                                        ; -- End function
	.section	.AMDGPU.csdata,"",@progbits
; Kernel info:
; codeLenInByte = 0
; NumSgprs: 0
; NumVgprs: 0
; ScratchSize: 0
; MemoryBound: 0
; FloatMode: 240
; IeeeMode: 1
; LDSByteSize: 0 bytes/workgroup (compile time only)
; SGPRBlocks: 0
; VGPRBlocks: 0
; NumSGPRsForWavesPerEU: 1
; NumVGPRsForWavesPerEU: 1
; Occupancy: 16
; WaveLimiterHint : 0
; COMPUTE_PGM_RSRC2:SCRATCH_EN: 0
; COMPUTE_PGM_RSRC2:USER_SGPR: 15
; COMPUTE_PGM_RSRC2:TRAP_HANDLER: 0
; COMPUTE_PGM_RSRC2:TGID_X_EN: 1
; COMPUTE_PGM_RSRC2:TGID_Y_EN: 0
; COMPUTE_PGM_RSRC2:TGID_Z_EN: 0
; COMPUTE_PGM_RSRC2:TIDIG_COMP_CNT: 0
	.section	.text._ZN7rocprim17ROCPRIM_400000_NS6detail17trampoline_kernelINS0_14default_configENS1_27upper_bound_config_selectorIilEEZNS1_14transform_implILb0ES3_S5_N6thrust23THRUST_200600_302600_NS17counting_iteratorIiNS8_11use_defaultESA_SA_EEPlZNS1_13binary_searchIS3_S5_PiSB_SC_NS1_21upper_bound_search_opENS8_6detail16wrapped_functionINS0_4lessIvEEbEEEE10hipError_tPvRmT1_T2_T3_mmT4_T5_P12ihipStream_tbEUlRKiE_EESL_SP_SQ_mSR_SU_bEUlT_E_NS1_11comp_targetILNS1_3genE2ELNS1_11target_archE906ELNS1_3gpuE6ELNS1_3repE0EEENS1_30default_config_static_selectorELNS0_4arch9wavefront6targetE0EEEvSO_,"axG",@progbits,_ZN7rocprim17ROCPRIM_400000_NS6detail17trampoline_kernelINS0_14default_configENS1_27upper_bound_config_selectorIilEEZNS1_14transform_implILb0ES3_S5_N6thrust23THRUST_200600_302600_NS17counting_iteratorIiNS8_11use_defaultESA_SA_EEPlZNS1_13binary_searchIS3_S5_PiSB_SC_NS1_21upper_bound_search_opENS8_6detail16wrapped_functionINS0_4lessIvEEbEEEE10hipError_tPvRmT1_T2_T3_mmT4_T5_P12ihipStream_tbEUlRKiE_EESL_SP_SQ_mSR_SU_bEUlT_E_NS1_11comp_targetILNS1_3genE2ELNS1_11target_archE906ELNS1_3gpuE6ELNS1_3repE0EEENS1_30default_config_static_selectorELNS0_4arch9wavefront6targetE0EEEvSO_,comdat
	.protected	_ZN7rocprim17ROCPRIM_400000_NS6detail17trampoline_kernelINS0_14default_configENS1_27upper_bound_config_selectorIilEEZNS1_14transform_implILb0ES3_S5_N6thrust23THRUST_200600_302600_NS17counting_iteratorIiNS8_11use_defaultESA_SA_EEPlZNS1_13binary_searchIS3_S5_PiSB_SC_NS1_21upper_bound_search_opENS8_6detail16wrapped_functionINS0_4lessIvEEbEEEE10hipError_tPvRmT1_T2_T3_mmT4_T5_P12ihipStream_tbEUlRKiE_EESL_SP_SQ_mSR_SU_bEUlT_E_NS1_11comp_targetILNS1_3genE2ELNS1_11target_archE906ELNS1_3gpuE6ELNS1_3repE0EEENS1_30default_config_static_selectorELNS0_4arch9wavefront6targetE0EEEvSO_ ; -- Begin function _ZN7rocprim17ROCPRIM_400000_NS6detail17trampoline_kernelINS0_14default_configENS1_27upper_bound_config_selectorIilEEZNS1_14transform_implILb0ES3_S5_N6thrust23THRUST_200600_302600_NS17counting_iteratorIiNS8_11use_defaultESA_SA_EEPlZNS1_13binary_searchIS3_S5_PiSB_SC_NS1_21upper_bound_search_opENS8_6detail16wrapped_functionINS0_4lessIvEEbEEEE10hipError_tPvRmT1_T2_T3_mmT4_T5_P12ihipStream_tbEUlRKiE_EESL_SP_SQ_mSR_SU_bEUlT_E_NS1_11comp_targetILNS1_3genE2ELNS1_11target_archE906ELNS1_3gpuE6ELNS1_3repE0EEENS1_30default_config_static_selectorELNS0_4arch9wavefront6targetE0EEEvSO_
	.globl	_ZN7rocprim17ROCPRIM_400000_NS6detail17trampoline_kernelINS0_14default_configENS1_27upper_bound_config_selectorIilEEZNS1_14transform_implILb0ES3_S5_N6thrust23THRUST_200600_302600_NS17counting_iteratorIiNS8_11use_defaultESA_SA_EEPlZNS1_13binary_searchIS3_S5_PiSB_SC_NS1_21upper_bound_search_opENS8_6detail16wrapped_functionINS0_4lessIvEEbEEEE10hipError_tPvRmT1_T2_T3_mmT4_T5_P12ihipStream_tbEUlRKiE_EESL_SP_SQ_mSR_SU_bEUlT_E_NS1_11comp_targetILNS1_3genE2ELNS1_11target_archE906ELNS1_3gpuE6ELNS1_3repE0EEENS1_30default_config_static_selectorELNS0_4arch9wavefront6targetE0EEEvSO_
	.p2align	8
	.type	_ZN7rocprim17ROCPRIM_400000_NS6detail17trampoline_kernelINS0_14default_configENS1_27upper_bound_config_selectorIilEEZNS1_14transform_implILb0ES3_S5_N6thrust23THRUST_200600_302600_NS17counting_iteratorIiNS8_11use_defaultESA_SA_EEPlZNS1_13binary_searchIS3_S5_PiSB_SC_NS1_21upper_bound_search_opENS8_6detail16wrapped_functionINS0_4lessIvEEbEEEE10hipError_tPvRmT1_T2_T3_mmT4_T5_P12ihipStream_tbEUlRKiE_EESL_SP_SQ_mSR_SU_bEUlT_E_NS1_11comp_targetILNS1_3genE2ELNS1_11target_archE906ELNS1_3gpuE6ELNS1_3repE0EEENS1_30default_config_static_selectorELNS0_4arch9wavefront6targetE0EEEvSO_,@function
_ZN7rocprim17ROCPRIM_400000_NS6detail17trampoline_kernelINS0_14default_configENS1_27upper_bound_config_selectorIilEEZNS1_14transform_implILb0ES3_S5_N6thrust23THRUST_200600_302600_NS17counting_iteratorIiNS8_11use_defaultESA_SA_EEPlZNS1_13binary_searchIS3_S5_PiSB_SC_NS1_21upper_bound_search_opENS8_6detail16wrapped_functionINS0_4lessIvEEbEEEE10hipError_tPvRmT1_T2_T3_mmT4_T5_P12ihipStream_tbEUlRKiE_EESL_SP_SQ_mSR_SU_bEUlT_E_NS1_11comp_targetILNS1_3genE2ELNS1_11target_archE906ELNS1_3gpuE6ELNS1_3repE0EEENS1_30default_config_static_selectorELNS0_4arch9wavefront6targetE0EEEvSO_: ; @_ZN7rocprim17ROCPRIM_400000_NS6detail17trampoline_kernelINS0_14default_configENS1_27upper_bound_config_selectorIilEEZNS1_14transform_implILb0ES3_S5_N6thrust23THRUST_200600_302600_NS17counting_iteratorIiNS8_11use_defaultESA_SA_EEPlZNS1_13binary_searchIS3_S5_PiSB_SC_NS1_21upper_bound_search_opENS8_6detail16wrapped_functionINS0_4lessIvEEbEEEE10hipError_tPvRmT1_T2_T3_mmT4_T5_P12ihipStream_tbEUlRKiE_EESL_SP_SQ_mSR_SU_bEUlT_E_NS1_11comp_targetILNS1_3genE2ELNS1_11target_archE906ELNS1_3gpuE6ELNS1_3repE0EEENS1_30default_config_static_selectorELNS0_4arch9wavefront6targetE0EEEvSO_
; %bb.0:
	.section	.rodata,"a",@progbits
	.p2align	6, 0x0
	.amdhsa_kernel _ZN7rocprim17ROCPRIM_400000_NS6detail17trampoline_kernelINS0_14default_configENS1_27upper_bound_config_selectorIilEEZNS1_14transform_implILb0ES3_S5_N6thrust23THRUST_200600_302600_NS17counting_iteratorIiNS8_11use_defaultESA_SA_EEPlZNS1_13binary_searchIS3_S5_PiSB_SC_NS1_21upper_bound_search_opENS8_6detail16wrapped_functionINS0_4lessIvEEbEEEE10hipError_tPvRmT1_T2_T3_mmT4_T5_P12ihipStream_tbEUlRKiE_EESL_SP_SQ_mSR_SU_bEUlT_E_NS1_11comp_targetILNS1_3genE2ELNS1_11target_archE906ELNS1_3gpuE6ELNS1_3repE0EEENS1_30default_config_static_selectorELNS0_4arch9wavefront6targetE0EEEvSO_
		.amdhsa_group_segment_fixed_size 0
		.amdhsa_private_segment_fixed_size 0
		.amdhsa_kernarg_size 56
		.amdhsa_user_sgpr_count 15
		.amdhsa_user_sgpr_dispatch_ptr 0
		.amdhsa_user_sgpr_queue_ptr 0
		.amdhsa_user_sgpr_kernarg_segment_ptr 1
		.amdhsa_user_sgpr_dispatch_id 0
		.amdhsa_user_sgpr_private_segment_size 0
		.amdhsa_wavefront_size32 1
		.amdhsa_uses_dynamic_stack 0
		.amdhsa_enable_private_segment 0
		.amdhsa_system_sgpr_workgroup_id_x 1
		.amdhsa_system_sgpr_workgroup_id_y 0
		.amdhsa_system_sgpr_workgroup_id_z 0
		.amdhsa_system_sgpr_workgroup_info 0
		.amdhsa_system_vgpr_workitem_id 0
		.amdhsa_next_free_vgpr 1
		.amdhsa_next_free_sgpr 1
		.amdhsa_reserve_vcc 0
		.amdhsa_float_round_mode_32 0
		.amdhsa_float_round_mode_16_64 0
		.amdhsa_float_denorm_mode_32 3
		.amdhsa_float_denorm_mode_16_64 3
		.amdhsa_dx10_clamp 1
		.amdhsa_ieee_mode 1
		.amdhsa_fp16_overflow 0
		.amdhsa_workgroup_processor_mode 1
		.amdhsa_memory_ordered 1
		.amdhsa_forward_progress 0
		.amdhsa_shared_vgpr_count 0
		.amdhsa_exception_fp_ieee_invalid_op 0
		.amdhsa_exception_fp_denorm_src 0
		.amdhsa_exception_fp_ieee_div_zero 0
		.amdhsa_exception_fp_ieee_overflow 0
		.amdhsa_exception_fp_ieee_underflow 0
		.amdhsa_exception_fp_ieee_inexact 0
		.amdhsa_exception_int_div_zero 0
	.end_amdhsa_kernel
	.section	.text._ZN7rocprim17ROCPRIM_400000_NS6detail17trampoline_kernelINS0_14default_configENS1_27upper_bound_config_selectorIilEEZNS1_14transform_implILb0ES3_S5_N6thrust23THRUST_200600_302600_NS17counting_iteratorIiNS8_11use_defaultESA_SA_EEPlZNS1_13binary_searchIS3_S5_PiSB_SC_NS1_21upper_bound_search_opENS8_6detail16wrapped_functionINS0_4lessIvEEbEEEE10hipError_tPvRmT1_T2_T3_mmT4_T5_P12ihipStream_tbEUlRKiE_EESL_SP_SQ_mSR_SU_bEUlT_E_NS1_11comp_targetILNS1_3genE2ELNS1_11target_archE906ELNS1_3gpuE6ELNS1_3repE0EEENS1_30default_config_static_selectorELNS0_4arch9wavefront6targetE0EEEvSO_,"axG",@progbits,_ZN7rocprim17ROCPRIM_400000_NS6detail17trampoline_kernelINS0_14default_configENS1_27upper_bound_config_selectorIilEEZNS1_14transform_implILb0ES3_S5_N6thrust23THRUST_200600_302600_NS17counting_iteratorIiNS8_11use_defaultESA_SA_EEPlZNS1_13binary_searchIS3_S5_PiSB_SC_NS1_21upper_bound_search_opENS8_6detail16wrapped_functionINS0_4lessIvEEbEEEE10hipError_tPvRmT1_T2_T3_mmT4_T5_P12ihipStream_tbEUlRKiE_EESL_SP_SQ_mSR_SU_bEUlT_E_NS1_11comp_targetILNS1_3genE2ELNS1_11target_archE906ELNS1_3gpuE6ELNS1_3repE0EEENS1_30default_config_static_selectorELNS0_4arch9wavefront6targetE0EEEvSO_,comdat
.Lfunc_end153:
	.size	_ZN7rocprim17ROCPRIM_400000_NS6detail17trampoline_kernelINS0_14default_configENS1_27upper_bound_config_selectorIilEEZNS1_14transform_implILb0ES3_S5_N6thrust23THRUST_200600_302600_NS17counting_iteratorIiNS8_11use_defaultESA_SA_EEPlZNS1_13binary_searchIS3_S5_PiSB_SC_NS1_21upper_bound_search_opENS8_6detail16wrapped_functionINS0_4lessIvEEbEEEE10hipError_tPvRmT1_T2_T3_mmT4_T5_P12ihipStream_tbEUlRKiE_EESL_SP_SQ_mSR_SU_bEUlT_E_NS1_11comp_targetILNS1_3genE2ELNS1_11target_archE906ELNS1_3gpuE6ELNS1_3repE0EEENS1_30default_config_static_selectorELNS0_4arch9wavefront6targetE0EEEvSO_, .Lfunc_end153-_ZN7rocprim17ROCPRIM_400000_NS6detail17trampoline_kernelINS0_14default_configENS1_27upper_bound_config_selectorIilEEZNS1_14transform_implILb0ES3_S5_N6thrust23THRUST_200600_302600_NS17counting_iteratorIiNS8_11use_defaultESA_SA_EEPlZNS1_13binary_searchIS3_S5_PiSB_SC_NS1_21upper_bound_search_opENS8_6detail16wrapped_functionINS0_4lessIvEEbEEEE10hipError_tPvRmT1_T2_T3_mmT4_T5_P12ihipStream_tbEUlRKiE_EESL_SP_SQ_mSR_SU_bEUlT_E_NS1_11comp_targetILNS1_3genE2ELNS1_11target_archE906ELNS1_3gpuE6ELNS1_3repE0EEENS1_30default_config_static_selectorELNS0_4arch9wavefront6targetE0EEEvSO_
                                        ; -- End function
	.section	.AMDGPU.csdata,"",@progbits
; Kernel info:
; codeLenInByte = 0
; NumSgprs: 0
; NumVgprs: 0
; ScratchSize: 0
; MemoryBound: 0
; FloatMode: 240
; IeeeMode: 1
; LDSByteSize: 0 bytes/workgroup (compile time only)
; SGPRBlocks: 0
; VGPRBlocks: 0
; NumSGPRsForWavesPerEU: 1
; NumVGPRsForWavesPerEU: 1
; Occupancy: 16
; WaveLimiterHint : 0
; COMPUTE_PGM_RSRC2:SCRATCH_EN: 0
; COMPUTE_PGM_RSRC2:USER_SGPR: 15
; COMPUTE_PGM_RSRC2:TRAP_HANDLER: 0
; COMPUTE_PGM_RSRC2:TGID_X_EN: 1
; COMPUTE_PGM_RSRC2:TGID_Y_EN: 0
; COMPUTE_PGM_RSRC2:TGID_Z_EN: 0
; COMPUTE_PGM_RSRC2:TIDIG_COMP_CNT: 0
	.section	.text._ZN7rocprim17ROCPRIM_400000_NS6detail17trampoline_kernelINS0_14default_configENS1_27upper_bound_config_selectorIilEEZNS1_14transform_implILb0ES3_S5_N6thrust23THRUST_200600_302600_NS17counting_iteratorIiNS8_11use_defaultESA_SA_EEPlZNS1_13binary_searchIS3_S5_PiSB_SC_NS1_21upper_bound_search_opENS8_6detail16wrapped_functionINS0_4lessIvEEbEEEE10hipError_tPvRmT1_T2_T3_mmT4_T5_P12ihipStream_tbEUlRKiE_EESL_SP_SQ_mSR_SU_bEUlT_E_NS1_11comp_targetILNS1_3genE10ELNS1_11target_archE1201ELNS1_3gpuE5ELNS1_3repE0EEENS1_30default_config_static_selectorELNS0_4arch9wavefront6targetE0EEEvSO_,"axG",@progbits,_ZN7rocprim17ROCPRIM_400000_NS6detail17trampoline_kernelINS0_14default_configENS1_27upper_bound_config_selectorIilEEZNS1_14transform_implILb0ES3_S5_N6thrust23THRUST_200600_302600_NS17counting_iteratorIiNS8_11use_defaultESA_SA_EEPlZNS1_13binary_searchIS3_S5_PiSB_SC_NS1_21upper_bound_search_opENS8_6detail16wrapped_functionINS0_4lessIvEEbEEEE10hipError_tPvRmT1_T2_T3_mmT4_T5_P12ihipStream_tbEUlRKiE_EESL_SP_SQ_mSR_SU_bEUlT_E_NS1_11comp_targetILNS1_3genE10ELNS1_11target_archE1201ELNS1_3gpuE5ELNS1_3repE0EEENS1_30default_config_static_selectorELNS0_4arch9wavefront6targetE0EEEvSO_,comdat
	.protected	_ZN7rocprim17ROCPRIM_400000_NS6detail17trampoline_kernelINS0_14default_configENS1_27upper_bound_config_selectorIilEEZNS1_14transform_implILb0ES3_S5_N6thrust23THRUST_200600_302600_NS17counting_iteratorIiNS8_11use_defaultESA_SA_EEPlZNS1_13binary_searchIS3_S5_PiSB_SC_NS1_21upper_bound_search_opENS8_6detail16wrapped_functionINS0_4lessIvEEbEEEE10hipError_tPvRmT1_T2_T3_mmT4_T5_P12ihipStream_tbEUlRKiE_EESL_SP_SQ_mSR_SU_bEUlT_E_NS1_11comp_targetILNS1_3genE10ELNS1_11target_archE1201ELNS1_3gpuE5ELNS1_3repE0EEENS1_30default_config_static_selectorELNS0_4arch9wavefront6targetE0EEEvSO_ ; -- Begin function _ZN7rocprim17ROCPRIM_400000_NS6detail17trampoline_kernelINS0_14default_configENS1_27upper_bound_config_selectorIilEEZNS1_14transform_implILb0ES3_S5_N6thrust23THRUST_200600_302600_NS17counting_iteratorIiNS8_11use_defaultESA_SA_EEPlZNS1_13binary_searchIS3_S5_PiSB_SC_NS1_21upper_bound_search_opENS8_6detail16wrapped_functionINS0_4lessIvEEbEEEE10hipError_tPvRmT1_T2_T3_mmT4_T5_P12ihipStream_tbEUlRKiE_EESL_SP_SQ_mSR_SU_bEUlT_E_NS1_11comp_targetILNS1_3genE10ELNS1_11target_archE1201ELNS1_3gpuE5ELNS1_3repE0EEENS1_30default_config_static_selectorELNS0_4arch9wavefront6targetE0EEEvSO_
	.globl	_ZN7rocprim17ROCPRIM_400000_NS6detail17trampoline_kernelINS0_14default_configENS1_27upper_bound_config_selectorIilEEZNS1_14transform_implILb0ES3_S5_N6thrust23THRUST_200600_302600_NS17counting_iteratorIiNS8_11use_defaultESA_SA_EEPlZNS1_13binary_searchIS3_S5_PiSB_SC_NS1_21upper_bound_search_opENS8_6detail16wrapped_functionINS0_4lessIvEEbEEEE10hipError_tPvRmT1_T2_T3_mmT4_T5_P12ihipStream_tbEUlRKiE_EESL_SP_SQ_mSR_SU_bEUlT_E_NS1_11comp_targetILNS1_3genE10ELNS1_11target_archE1201ELNS1_3gpuE5ELNS1_3repE0EEENS1_30default_config_static_selectorELNS0_4arch9wavefront6targetE0EEEvSO_
	.p2align	8
	.type	_ZN7rocprim17ROCPRIM_400000_NS6detail17trampoline_kernelINS0_14default_configENS1_27upper_bound_config_selectorIilEEZNS1_14transform_implILb0ES3_S5_N6thrust23THRUST_200600_302600_NS17counting_iteratorIiNS8_11use_defaultESA_SA_EEPlZNS1_13binary_searchIS3_S5_PiSB_SC_NS1_21upper_bound_search_opENS8_6detail16wrapped_functionINS0_4lessIvEEbEEEE10hipError_tPvRmT1_T2_T3_mmT4_T5_P12ihipStream_tbEUlRKiE_EESL_SP_SQ_mSR_SU_bEUlT_E_NS1_11comp_targetILNS1_3genE10ELNS1_11target_archE1201ELNS1_3gpuE5ELNS1_3repE0EEENS1_30default_config_static_selectorELNS0_4arch9wavefront6targetE0EEEvSO_,@function
_ZN7rocprim17ROCPRIM_400000_NS6detail17trampoline_kernelINS0_14default_configENS1_27upper_bound_config_selectorIilEEZNS1_14transform_implILb0ES3_S5_N6thrust23THRUST_200600_302600_NS17counting_iteratorIiNS8_11use_defaultESA_SA_EEPlZNS1_13binary_searchIS3_S5_PiSB_SC_NS1_21upper_bound_search_opENS8_6detail16wrapped_functionINS0_4lessIvEEbEEEE10hipError_tPvRmT1_T2_T3_mmT4_T5_P12ihipStream_tbEUlRKiE_EESL_SP_SQ_mSR_SU_bEUlT_E_NS1_11comp_targetILNS1_3genE10ELNS1_11target_archE1201ELNS1_3gpuE5ELNS1_3repE0EEENS1_30default_config_static_selectorELNS0_4arch9wavefront6targetE0EEEvSO_: ; @_ZN7rocprim17ROCPRIM_400000_NS6detail17trampoline_kernelINS0_14default_configENS1_27upper_bound_config_selectorIilEEZNS1_14transform_implILb0ES3_S5_N6thrust23THRUST_200600_302600_NS17counting_iteratorIiNS8_11use_defaultESA_SA_EEPlZNS1_13binary_searchIS3_S5_PiSB_SC_NS1_21upper_bound_search_opENS8_6detail16wrapped_functionINS0_4lessIvEEbEEEE10hipError_tPvRmT1_T2_T3_mmT4_T5_P12ihipStream_tbEUlRKiE_EESL_SP_SQ_mSR_SU_bEUlT_E_NS1_11comp_targetILNS1_3genE10ELNS1_11target_archE1201ELNS1_3gpuE5ELNS1_3repE0EEENS1_30default_config_static_selectorELNS0_4arch9wavefront6targetE0EEEvSO_
; %bb.0:
	.section	.rodata,"a",@progbits
	.p2align	6, 0x0
	.amdhsa_kernel _ZN7rocprim17ROCPRIM_400000_NS6detail17trampoline_kernelINS0_14default_configENS1_27upper_bound_config_selectorIilEEZNS1_14transform_implILb0ES3_S5_N6thrust23THRUST_200600_302600_NS17counting_iteratorIiNS8_11use_defaultESA_SA_EEPlZNS1_13binary_searchIS3_S5_PiSB_SC_NS1_21upper_bound_search_opENS8_6detail16wrapped_functionINS0_4lessIvEEbEEEE10hipError_tPvRmT1_T2_T3_mmT4_T5_P12ihipStream_tbEUlRKiE_EESL_SP_SQ_mSR_SU_bEUlT_E_NS1_11comp_targetILNS1_3genE10ELNS1_11target_archE1201ELNS1_3gpuE5ELNS1_3repE0EEENS1_30default_config_static_selectorELNS0_4arch9wavefront6targetE0EEEvSO_
		.amdhsa_group_segment_fixed_size 0
		.amdhsa_private_segment_fixed_size 0
		.amdhsa_kernarg_size 56
		.amdhsa_user_sgpr_count 15
		.amdhsa_user_sgpr_dispatch_ptr 0
		.amdhsa_user_sgpr_queue_ptr 0
		.amdhsa_user_sgpr_kernarg_segment_ptr 1
		.amdhsa_user_sgpr_dispatch_id 0
		.amdhsa_user_sgpr_private_segment_size 0
		.amdhsa_wavefront_size32 1
		.amdhsa_uses_dynamic_stack 0
		.amdhsa_enable_private_segment 0
		.amdhsa_system_sgpr_workgroup_id_x 1
		.amdhsa_system_sgpr_workgroup_id_y 0
		.amdhsa_system_sgpr_workgroup_id_z 0
		.amdhsa_system_sgpr_workgroup_info 0
		.amdhsa_system_vgpr_workitem_id 0
		.amdhsa_next_free_vgpr 1
		.amdhsa_next_free_sgpr 1
		.amdhsa_reserve_vcc 0
		.amdhsa_float_round_mode_32 0
		.amdhsa_float_round_mode_16_64 0
		.amdhsa_float_denorm_mode_32 3
		.amdhsa_float_denorm_mode_16_64 3
		.amdhsa_dx10_clamp 1
		.amdhsa_ieee_mode 1
		.amdhsa_fp16_overflow 0
		.amdhsa_workgroup_processor_mode 1
		.amdhsa_memory_ordered 1
		.amdhsa_forward_progress 0
		.amdhsa_shared_vgpr_count 0
		.amdhsa_exception_fp_ieee_invalid_op 0
		.amdhsa_exception_fp_denorm_src 0
		.amdhsa_exception_fp_ieee_div_zero 0
		.amdhsa_exception_fp_ieee_overflow 0
		.amdhsa_exception_fp_ieee_underflow 0
		.amdhsa_exception_fp_ieee_inexact 0
		.amdhsa_exception_int_div_zero 0
	.end_amdhsa_kernel
	.section	.text._ZN7rocprim17ROCPRIM_400000_NS6detail17trampoline_kernelINS0_14default_configENS1_27upper_bound_config_selectorIilEEZNS1_14transform_implILb0ES3_S5_N6thrust23THRUST_200600_302600_NS17counting_iteratorIiNS8_11use_defaultESA_SA_EEPlZNS1_13binary_searchIS3_S5_PiSB_SC_NS1_21upper_bound_search_opENS8_6detail16wrapped_functionINS0_4lessIvEEbEEEE10hipError_tPvRmT1_T2_T3_mmT4_T5_P12ihipStream_tbEUlRKiE_EESL_SP_SQ_mSR_SU_bEUlT_E_NS1_11comp_targetILNS1_3genE10ELNS1_11target_archE1201ELNS1_3gpuE5ELNS1_3repE0EEENS1_30default_config_static_selectorELNS0_4arch9wavefront6targetE0EEEvSO_,"axG",@progbits,_ZN7rocprim17ROCPRIM_400000_NS6detail17trampoline_kernelINS0_14default_configENS1_27upper_bound_config_selectorIilEEZNS1_14transform_implILb0ES3_S5_N6thrust23THRUST_200600_302600_NS17counting_iteratorIiNS8_11use_defaultESA_SA_EEPlZNS1_13binary_searchIS3_S5_PiSB_SC_NS1_21upper_bound_search_opENS8_6detail16wrapped_functionINS0_4lessIvEEbEEEE10hipError_tPvRmT1_T2_T3_mmT4_T5_P12ihipStream_tbEUlRKiE_EESL_SP_SQ_mSR_SU_bEUlT_E_NS1_11comp_targetILNS1_3genE10ELNS1_11target_archE1201ELNS1_3gpuE5ELNS1_3repE0EEENS1_30default_config_static_selectorELNS0_4arch9wavefront6targetE0EEEvSO_,comdat
.Lfunc_end154:
	.size	_ZN7rocprim17ROCPRIM_400000_NS6detail17trampoline_kernelINS0_14default_configENS1_27upper_bound_config_selectorIilEEZNS1_14transform_implILb0ES3_S5_N6thrust23THRUST_200600_302600_NS17counting_iteratorIiNS8_11use_defaultESA_SA_EEPlZNS1_13binary_searchIS3_S5_PiSB_SC_NS1_21upper_bound_search_opENS8_6detail16wrapped_functionINS0_4lessIvEEbEEEE10hipError_tPvRmT1_T2_T3_mmT4_T5_P12ihipStream_tbEUlRKiE_EESL_SP_SQ_mSR_SU_bEUlT_E_NS1_11comp_targetILNS1_3genE10ELNS1_11target_archE1201ELNS1_3gpuE5ELNS1_3repE0EEENS1_30default_config_static_selectorELNS0_4arch9wavefront6targetE0EEEvSO_, .Lfunc_end154-_ZN7rocprim17ROCPRIM_400000_NS6detail17trampoline_kernelINS0_14default_configENS1_27upper_bound_config_selectorIilEEZNS1_14transform_implILb0ES3_S5_N6thrust23THRUST_200600_302600_NS17counting_iteratorIiNS8_11use_defaultESA_SA_EEPlZNS1_13binary_searchIS3_S5_PiSB_SC_NS1_21upper_bound_search_opENS8_6detail16wrapped_functionINS0_4lessIvEEbEEEE10hipError_tPvRmT1_T2_T3_mmT4_T5_P12ihipStream_tbEUlRKiE_EESL_SP_SQ_mSR_SU_bEUlT_E_NS1_11comp_targetILNS1_3genE10ELNS1_11target_archE1201ELNS1_3gpuE5ELNS1_3repE0EEENS1_30default_config_static_selectorELNS0_4arch9wavefront6targetE0EEEvSO_
                                        ; -- End function
	.section	.AMDGPU.csdata,"",@progbits
; Kernel info:
; codeLenInByte = 0
; NumSgprs: 0
; NumVgprs: 0
; ScratchSize: 0
; MemoryBound: 0
; FloatMode: 240
; IeeeMode: 1
; LDSByteSize: 0 bytes/workgroup (compile time only)
; SGPRBlocks: 0
; VGPRBlocks: 0
; NumSGPRsForWavesPerEU: 1
; NumVGPRsForWavesPerEU: 1
; Occupancy: 16
; WaveLimiterHint : 0
; COMPUTE_PGM_RSRC2:SCRATCH_EN: 0
; COMPUTE_PGM_RSRC2:USER_SGPR: 15
; COMPUTE_PGM_RSRC2:TRAP_HANDLER: 0
; COMPUTE_PGM_RSRC2:TGID_X_EN: 1
; COMPUTE_PGM_RSRC2:TGID_Y_EN: 0
; COMPUTE_PGM_RSRC2:TGID_Z_EN: 0
; COMPUTE_PGM_RSRC2:TIDIG_COMP_CNT: 0
	.section	.text._ZN7rocprim17ROCPRIM_400000_NS6detail17trampoline_kernelINS0_14default_configENS1_27upper_bound_config_selectorIilEEZNS1_14transform_implILb0ES3_S5_N6thrust23THRUST_200600_302600_NS17counting_iteratorIiNS8_11use_defaultESA_SA_EEPlZNS1_13binary_searchIS3_S5_PiSB_SC_NS1_21upper_bound_search_opENS8_6detail16wrapped_functionINS0_4lessIvEEbEEEE10hipError_tPvRmT1_T2_T3_mmT4_T5_P12ihipStream_tbEUlRKiE_EESL_SP_SQ_mSR_SU_bEUlT_E_NS1_11comp_targetILNS1_3genE10ELNS1_11target_archE1200ELNS1_3gpuE4ELNS1_3repE0EEENS1_30default_config_static_selectorELNS0_4arch9wavefront6targetE0EEEvSO_,"axG",@progbits,_ZN7rocprim17ROCPRIM_400000_NS6detail17trampoline_kernelINS0_14default_configENS1_27upper_bound_config_selectorIilEEZNS1_14transform_implILb0ES3_S5_N6thrust23THRUST_200600_302600_NS17counting_iteratorIiNS8_11use_defaultESA_SA_EEPlZNS1_13binary_searchIS3_S5_PiSB_SC_NS1_21upper_bound_search_opENS8_6detail16wrapped_functionINS0_4lessIvEEbEEEE10hipError_tPvRmT1_T2_T3_mmT4_T5_P12ihipStream_tbEUlRKiE_EESL_SP_SQ_mSR_SU_bEUlT_E_NS1_11comp_targetILNS1_3genE10ELNS1_11target_archE1200ELNS1_3gpuE4ELNS1_3repE0EEENS1_30default_config_static_selectorELNS0_4arch9wavefront6targetE0EEEvSO_,comdat
	.protected	_ZN7rocprim17ROCPRIM_400000_NS6detail17trampoline_kernelINS0_14default_configENS1_27upper_bound_config_selectorIilEEZNS1_14transform_implILb0ES3_S5_N6thrust23THRUST_200600_302600_NS17counting_iteratorIiNS8_11use_defaultESA_SA_EEPlZNS1_13binary_searchIS3_S5_PiSB_SC_NS1_21upper_bound_search_opENS8_6detail16wrapped_functionINS0_4lessIvEEbEEEE10hipError_tPvRmT1_T2_T3_mmT4_T5_P12ihipStream_tbEUlRKiE_EESL_SP_SQ_mSR_SU_bEUlT_E_NS1_11comp_targetILNS1_3genE10ELNS1_11target_archE1200ELNS1_3gpuE4ELNS1_3repE0EEENS1_30default_config_static_selectorELNS0_4arch9wavefront6targetE0EEEvSO_ ; -- Begin function _ZN7rocprim17ROCPRIM_400000_NS6detail17trampoline_kernelINS0_14default_configENS1_27upper_bound_config_selectorIilEEZNS1_14transform_implILb0ES3_S5_N6thrust23THRUST_200600_302600_NS17counting_iteratorIiNS8_11use_defaultESA_SA_EEPlZNS1_13binary_searchIS3_S5_PiSB_SC_NS1_21upper_bound_search_opENS8_6detail16wrapped_functionINS0_4lessIvEEbEEEE10hipError_tPvRmT1_T2_T3_mmT4_T5_P12ihipStream_tbEUlRKiE_EESL_SP_SQ_mSR_SU_bEUlT_E_NS1_11comp_targetILNS1_3genE10ELNS1_11target_archE1200ELNS1_3gpuE4ELNS1_3repE0EEENS1_30default_config_static_selectorELNS0_4arch9wavefront6targetE0EEEvSO_
	.globl	_ZN7rocprim17ROCPRIM_400000_NS6detail17trampoline_kernelINS0_14default_configENS1_27upper_bound_config_selectorIilEEZNS1_14transform_implILb0ES3_S5_N6thrust23THRUST_200600_302600_NS17counting_iteratorIiNS8_11use_defaultESA_SA_EEPlZNS1_13binary_searchIS3_S5_PiSB_SC_NS1_21upper_bound_search_opENS8_6detail16wrapped_functionINS0_4lessIvEEbEEEE10hipError_tPvRmT1_T2_T3_mmT4_T5_P12ihipStream_tbEUlRKiE_EESL_SP_SQ_mSR_SU_bEUlT_E_NS1_11comp_targetILNS1_3genE10ELNS1_11target_archE1200ELNS1_3gpuE4ELNS1_3repE0EEENS1_30default_config_static_selectorELNS0_4arch9wavefront6targetE0EEEvSO_
	.p2align	8
	.type	_ZN7rocprim17ROCPRIM_400000_NS6detail17trampoline_kernelINS0_14default_configENS1_27upper_bound_config_selectorIilEEZNS1_14transform_implILb0ES3_S5_N6thrust23THRUST_200600_302600_NS17counting_iteratorIiNS8_11use_defaultESA_SA_EEPlZNS1_13binary_searchIS3_S5_PiSB_SC_NS1_21upper_bound_search_opENS8_6detail16wrapped_functionINS0_4lessIvEEbEEEE10hipError_tPvRmT1_T2_T3_mmT4_T5_P12ihipStream_tbEUlRKiE_EESL_SP_SQ_mSR_SU_bEUlT_E_NS1_11comp_targetILNS1_3genE10ELNS1_11target_archE1200ELNS1_3gpuE4ELNS1_3repE0EEENS1_30default_config_static_selectorELNS0_4arch9wavefront6targetE0EEEvSO_,@function
_ZN7rocprim17ROCPRIM_400000_NS6detail17trampoline_kernelINS0_14default_configENS1_27upper_bound_config_selectorIilEEZNS1_14transform_implILb0ES3_S5_N6thrust23THRUST_200600_302600_NS17counting_iteratorIiNS8_11use_defaultESA_SA_EEPlZNS1_13binary_searchIS3_S5_PiSB_SC_NS1_21upper_bound_search_opENS8_6detail16wrapped_functionINS0_4lessIvEEbEEEE10hipError_tPvRmT1_T2_T3_mmT4_T5_P12ihipStream_tbEUlRKiE_EESL_SP_SQ_mSR_SU_bEUlT_E_NS1_11comp_targetILNS1_3genE10ELNS1_11target_archE1200ELNS1_3gpuE4ELNS1_3repE0EEENS1_30default_config_static_selectorELNS0_4arch9wavefront6targetE0EEEvSO_: ; @_ZN7rocprim17ROCPRIM_400000_NS6detail17trampoline_kernelINS0_14default_configENS1_27upper_bound_config_selectorIilEEZNS1_14transform_implILb0ES3_S5_N6thrust23THRUST_200600_302600_NS17counting_iteratorIiNS8_11use_defaultESA_SA_EEPlZNS1_13binary_searchIS3_S5_PiSB_SC_NS1_21upper_bound_search_opENS8_6detail16wrapped_functionINS0_4lessIvEEbEEEE10hipError_tPvRmT1_T2_T3_mmT4_T5_P12ihipStream_tbEUlRKiE_EESL_SP_SQ_mSR_SU_bEUlT_E_NS1_11comp_targetILNS1_3genE10ELNS1_11target_archE1200ELNS1_3gpuE4ELNS1_3repE0EEENS1_30default_config_static_selectorELNS0_4arch9wavefront6targetE0EEEvSO_
; %bb.0:
	.section	.rodata,"a",@progbits
	.p2align	6, 0x0
	.amdhsa_kernel _ZN7rocprim17ROCPRIM_400000_NS6detail17trampoline_kernelINS0_14default_configENS1_27upper_bound_config_selectorIilEEZNS1_14transform_implILb0ES3_S5_N6thrust23THRUST_200600_302600_NS17counting_iteratorIiNS8_11use_defaultESA_SA_EEPlZNS1_13binary_searchIS3_S5_PiSB_SC_NS1_21upper_bound_search_opENS8_6detail16wrapped_functionINS0_4lessIvEEbEEEE10hipError_tPvRmT1_T2_T3_mmT4_T5_P12ihipStream_tbEUlRKiE_EESL_SP_SQ_mSR_SU_bEUlT_E_NS1_11comp_targetILNS1_3genE10ELNS1_11target_archE1200ELNS1_3gpuE4ELNS1_3repE0EEENS1_30default_config_static_selectorELNS0_4arch9wavefront6targetE0EEEvSO_
		.amdhsa_group_segment_fixed_size 0
		.amdhsa_private_segment_fixed_size 0
		.amdhsa_kernarg_size 56
		.amdhsa_user_sgpr_count 15
		.amdhsa_user_sgpr_dispatch_ptr 0
		.amdhsa_user_sgpr_queue_ptr 0
		.amdhsa_user_sgpr_kernarg_segment_ptr 1
		.amdhsa_user_sgpr_dispatch_id 0
		.amdhsa_user_sgpr_private_segment_size 0
		.amdhsa_wavefront_size32 1
		.amdhsa_uses_dynamic_stack 0
		.amdhsa_enable_private_segment 0
		.amdhsa_system_sgpr_workgroup_id_x 1
		.amdhsa_system_sgpr_workgroup_id_y 0
		.amdhsa_system_sgpr_workgroup_id_z 0
		.amdhsa_system_sgpr_workgroup_info 0
		.amdhsa_system_vgpr_workitem_id 0
		.amdhsa_next_free_vgpr 1
		.amdhsa_next_free_sgpr 1
		.amdhsa_reserve_vcc 0
		.amdhsa_float_round_mode_32 0
		.amdhsa_float_round_mode_16_64 0
		.amdhsa_float_denorm_mode_32 3
		.amdhsa_float_denorm_mode_16_64 3
		.amdhsa_dx10_clamp 1
		.amdhsa_ieee_mode 1
		.amdhsa_fp16_overflow 0
		.amdhsa_workgroup_processor_mode 1
		.amdhsa_memory_ordered 1
		.amdhsa_forward_progress 0
		.amdhsa_shared_vgpr_count 0
		.amdhsa_exception_fp_ieee_invalid_op 0
		.amdhsa_exception_fp_denorm_src 0
		.amdhsa_exception_fp_ieee_div_zero 0
		.amdhsa_exception_fp_ieee_overflow 0
		.amdhsa_exception_fp_ieee_underflow 0
		.amdhsa_exception_fp_ieee_inexact 0
		.amdhsa_exception_int_div_zero 0
	.end_amdhsa_kernel
	.section	.text._ZN7rocprim17ROCPRIM_400000_NS6detail17trampoline_kernelINS0_14default_configENS1_27upper_bound_config_selectorIilEEZNS1_14transform_implILb0ES3_S5_N6thrust23THRUST_200600_302600_NS17counting_iteratorIiNS8_11use_defaultESA_SA_EEPlZNS1_13binary_searchIS3_S5_PiSB_SC_NS1_21upper_bound_search_opENS8_6detail16wrapped_functionINS0_4lessIvEEbEEEE10hipError_tPvRmT1_T2_T3_mmT4_T5_P12ihipStream_tbEUlRKiE_EESL_SP_SQ_mSR_SU_bEUlT_E_NS1_11comp_targetILNS1_3genE10ELNS1_11target_archE1200ELNS1_3gpuE4ELNS1_3repE0EEENS1_30default_config_static_selectorELNS0_4arch9wavefront6targetE0EEEvSO_,"axG",@progbits,_ZN7rocprim17ROCPRIM_400000_NS6detail17trampoline_kernelINS0_14default_configENS1_27upper_bound_config_selectorIilEEZNS1_14transform_implILb0ES3_S5_N6thrust23THRUST_200600_302600_NS17counting_iteratorIiNS8_11use_defaultESA_SA_EEPlZNS1_13binary_searchIS3_S5_PiSB_SC_NS1_21upper_bound_search_opENS8_6detail16wrapped_functionINS0_4lessIvEEbEEEE10hipError_tPvRmT1_T2_T3_mmT4_T5_P12ihipStream_tbEUlRKiE_EESL_SP_SQ_mSR_SU_bEUlT_E_NS1_11comp_targetILNS1_3genE10ELNS1_11target_archE1200ELNS1_3gpuE4ELNS1_3repE0EEENS1_30default_config_static_selectorELNS0_4arch9wavefront6targetE0EEEvSO_,comdat
.Lfunc_end155:
	.size	_ZN7rocprim17ROCPRIM_400000_NS6detail17trampoline_kernelINS0_14default_configENS1_27upper_bound_config_selectorIilEEZNS1_14transform_implILb0ES3_S5_N6thrust23THRUST_200600_302600_NS17counting_iteratorIiNS8_11use_defaultESA_SA_EEPlZNS1_13binary_searchIS3_S5_PiSB_SC_NS1_21upper_bound_search_opENS8_6detail16wrapped_functionINS0_4lessIvEEbEEEE10hipError_tPvRmT1_T2_T3_mmT4_T5_P12ihipStream_tbEUlRKiE_EESL_SP_SQ_mSR_SU_bEUlT_E_NS1_11comp_targetILNS1_3genE10ELNS1_11target_archE1200ELNS1_3gpuE4ELNS1_3repE0EEENS1_30default_config_static_selectorELNS0_4arch9wavefront6targetE0EEEvSO_, .Lfunc_end155-_ZN7rocprim17ROCPRIM_400000_NS6detail17trampoline_kernelINS0_14default_configENS1_27upper_bound_config_selectorIilEEZNS1_14transform_implILb0ES3_S5_N6thrust23THRUST_200600_302600_NS17counting_iteratorIiNS8_11use_defaultESA_SA_EEPlZNS1_13binary_searchIS3_S5_PiSB_SC_NS1_21upper_bound_search_opENS8_6detail16wrapped_functionINS0_4lessIvEEbEEEE10hipError_tPvRmT1_T2_T3_mmT4_T5_P12ihipStream_tbEUlRKiE_EESL_SP_SQ_mSR_SU_bEUlT_E_NS1_11comp_targetILNS1_3genE10ELNS1_11target_archE1200ELNS1_3gpuE4ELNS1_3repE0EEENS1_30default_config_static_selectorELNS0_4arch9wavefront6targetE0EEEvSO_
                                        ; -- End function
	.section	.AMDGPU.csdata,"",@progbits
; Kernel info:
; codeLenInByte = 0
; NumSgprs: 0
; NumVgprs: 0
; ScratchSize: 0
; MemoryBound: 0
; FloatMode: 240
; IeeeMode: 1
; LDSByteSize: 0 bytes/workgroup (compile time only)
; SGPRBlocks: 0
; VGPRBlocks: 0
; NumSGPRsForWavesPerEU: 1
; NumVGPRsForWavesPerEU: 1
; Occupancy: 16
; WaveLimiterHint : 0
; COMPUTE_PGM_RSRC2:SCRATCH_EN: 0
; COMPUTE_PGM_RSRC2:USER_SGPR: 15
; COMPUTE_PGM_RSRC2:TRAP_HANDLER: 0
; COMPUTE_PGM_RSRC2:TGID_X_EN: 1
; COMPUTE_PGM_RSRC2:TGID_Y_EN: 0
; COMPUTE_PGM_RSRC2:TGID_Z_EN: 0
; COMPUTE_PGM_RSRC2:TIDIG_COMP_CNT: 0
	.section	.text._ZN7rocprim17ROCPRIM_400000_NS6detail17trampoline_kernelINS0_14default_configENS1_27upper_bound_config_selectorIilEEZNS1_14transform_implILb0ES3_S5_N6thrust23THRUST_200600_302600_NS17counting_iteratorIiNS8_11use_defaultESA_SA_EEPlZNS1_13binary_searchIS3_S5_PiSB_SC_NS1_21upper_bound_search_opENS8_6detail16wrapped_functionINS0_4lessIvEEbEEEE10hipError_tPvRmT1_T2_T3_mmT4_T5_P12ihipStream_tbEUlRKiE_EESL_SP_SQ_mSR_SU_bEUlT_E_NS1_11comp_targetILNS1_3genE9ELNS1_11target_archE1100ELNS1_3gpuE3ELNS1_3repE0EEENS1_30default_config_static_selectorELNS0_4arch9wavefront6targetE0EEEvSO_,"axG",@progbits,_ZN7rocprim17ROCPRIM_400000_NS6detail17trampoline_kernelINS0_14default_configENS1_27upper_bound_config_selectorIilEEZNS1_14transform_implILb0ES3_S5_N6thrust23THRUST_200600_302600_NS17counting_iteratorIiNS8_11use_defaultESA_SA_EEPlZNS1_13binary_searchIS3_S5_PiSB_SC_NS1_21upper_bound_search_opENS8_6detail16wrapped_functionINS0_4lessIvEEbEEEE10hipError_tPvRmT1_T2_T3_mmT4_T5_P12ihipStream_tbEUlRKiE_EESL_SP_SQ_mSR_SU_bEUlT_E_NS1_11comp_targetILNS1_3genE9ELNS1_11target_archE1100ELNS1_3gpuE3ELNS1_3repE0EEENS1_30default_config_static_selectorELNS0_4arch9wavefront6targetE0EEEvSO_,comdat
	.protected	_ZN7rocprim17ROCPRIM_400000_NS6detail17trampoline_kernelINS0_14default_configENS1_27upper_bound_config_selectorIilEEZNS1_14transform_implILb0ES3_S5_N6thrust23THRUST_200600_302600_NS17counting_iteratorIiNS8_11use_defaultESA_SA_EEPlZNS1_13binary_searchIS3_S5_PiSB_SC_NS1_21upper_bound_search_opENS8_6detail16wrapped_functionINS0_4lessIvEEbEEEE10hipError_tPvRmT1_T2_T3_mmT4_T5_P12ihipStream_tbEUlRKiE_EESL_SP_SQ_mSR_SU_bEUlT_E_NS1_11comp_targetILNS1_3genE9ELNS1_11target_archE1100ELNS1_3gpuE3ELNS1_3repE0EEENS1_30default_config_static_selectorELNS0_4arch9wavefront6targetE0EEEvSO_ ; -- Begin function _ZN7rocprim17ROCPRIM_400000_NS6detail17trampoline_kernelINS0_14default_configENS1_27upper_bound_config_selectorIilEEZNS1_14transform_implILb0ES3_S5_N6thrust23THRUST_200600_302600_NS17counting_iteratorIiNS8_11use_defaultESA_SA_EEPlZNS1_13binary_searchIS3_S5_PiSB_SC_NS1_21upper_bound_search_opENS8_6detail16wrapped_functionINS0_4lessIvEEbEEEE10hipError_tPvRmT1_T2_T3_mmT4_T5_P12ihipStream_tbEUlRKiE_EESL_SP_SQ_mSR_SU_bEUlT_E_NS1_11comp_targetILNS1_3genE9ELNS1_11target_archE1100ELNS1_3gpuE3ELNS1_3repE0EEENS1_30default_config_static_selectorELNS0_4arch9wavefront6targetE0EEEvSO_
	.globl	_ZN7rocprim17ROCPRIM_400000_NS6detail17trampoline_kernelINS0_14default_configENS1_27upper_bound_config_selectorIilEEZNS1_14transform_implILb0ES3_S5_N6thrust23THRUST_200600_302600_NS17counting_iteratorIiNS8_11use_defaultESA_SA_EEPlZNS1_13binary_searchIS3_S5_PiSB_SC_NS1_21upper_bound_search_opENS8_6detail16wrapped_functionINS0_4lessIvEEbEEEE10hipError_tPvRmT1_T2_T3_mmT4_T5_P12ihipStream_tbEUlRKiE_EESL_SP_SQ_mSR_SU_bEUlT_E_NS1_11comp_targetILNS1_3genE9ELNS1_11target_archE1100ELNS1_3gpuE3ELNS1_3repE0EEENS1_30default_config_static_selectorELNS0_4arch9wavefront6targetE0EEEvSO_
	.p2align	8
	.type	_ZN7rocprim17ROCPRIM_400000_NS6detail17trampoline_kernelINS0_14default_configENS1_27upper_bound_config_selectorIilEEZNS1_14transform_implILb0ES3_S5_N6thrust23THRUST_200600_302600_NS17counting_iteratorIiNS8_11use_defaultESA_SA_EEPlZNS1_13binary_searchIS3_S5_PiSB_SC_NS1_21upper_bound_search_opENS8_6detail16wrapped_functionINS0_4lessIvEEbEEEE10hipError_tPvRmT1_T2_T3_mmT4_T5_P12ihipStream_tbEUlRKiE_EESL_SP_SQ_mSR_SU_bEUlT_E_NS1_11comp_targetILNS1_3genE9ELNS1_11target_archE1100ELNS1_3gpuE3ELNS1_3repE0EEENS1_30default_config_static_selectorELNS0_4arch9wavefront6targetE0EEEvSO_,@function
_ZN7rocprim17ROCPRIM_400000_NS6detail17trampoline_kernelINS0_14default_configENS1_27upper_bound_config_selectorIilEEZNS1_14transform_implILb0ES3_S5_N6thrust23THRUST_200600_302600_NS17counting_iteratorIiNS8_11use_defaultESA_SA_EEPlZNS1_13binary_searchIS3_S5_PiSB_SC_NS1_21upper_bound_search_opENS8_6detail16wrapped_functionINS0_4lessIvEEbEEEE10hipError_tPvRmT1_T2_T3_mmT4_T5_P12ihipStream_tbEUlRKiE_EESL_SP_SQ_mSR_SU_bEUlT_E_NS1_11comp_targetILNS1_3genE9ELNS1_11target_archE1100ELNS1_3gpuE3ELNS1_3repE0EEENS1_30default_config_static_selectorELNS0_4arch9wavefront6targetE0EEEvSO_: ; @_ZN7rocprim17ROCPRIM_400000_NS6detail17trampoline_kernelINS0_14default_configENS1_27upper_bound_config_selectorIilEEZNS1_14transform_implILb0ES3_S5_N6thrust23THRUST_200600_302600_NS17counting_iteratorIiNS8_11use_defaultESA_SA_EEPlZNS1_13binary_searchIS3_S5_PiSB_SC_NS1_21upper_bound_search_opENS8_6detail16wrapped_functionINS0_4lessIvEEbEEEE10hipError_tPvRmT1_T2_T3_mmT4_T5_P12ihipStream_tbEUlRKiE_EESL_SP_SQ_mSR_SU_bEUlT_E_NS1_11comp_targetILNS1_3genE9ELNS1_11target_archE1100ELNS1_3gpuE3ELNS1_3repE0EEENS1_30default_config_static_selectorELNS0_4arch9wavefront6targetE0EEEvSO_
; %bb.0:
	s_clause 0x4
	s_load_b32 s12, s[0:1], 0x0
	s_load_b64 s[2:3], s[0:1], 0x8
	s_load_b32 s9, s[0:1], 0x38
	s_load_b128 s[4:7], s[0:1], 0x18
	s_load_b64 s[10:11], s[0:1], 0x28
	s_lshl_b32 s8, s15, 8
	s_mov_b32 s14, -1
	s_waitcnt lgkmcnt(0)
	s_add_i32 s12, s12, s2
	s_add_i32 s13, s9, -1
	s_mov_b32 s9, 0
	s_cmp_lg_u32 s15, s13
	s_cbranch_scc0 .LBB156_6
; %bb.1:
	v_mov_b32_e32 v1, 0
	v_mov_b32_e32 v2, 0
	s_cmp_eq_u64 s[10:11], 0
	s_cbranch_scc1 .LBB156_5
; %bb.2:
	v_mov_b32_e32 v1, 0
	v_dual_mov_b32 v2, 0 :: v_dual_mov_b32 v3, s10
	v_add3_u32 v5, s12, s8, v0
	v_mov_b32_e32 v4, s11
	s_mov_b32 s13, 0
	.p2align	6
.LBB156_3:                              ; =>This Inner Loop Header: Depth=1
	s_delay_alu instid0(VALU_DEP_3) | instskip(NEXT) | instid1(VALU_DEP_2)
	v_sub_co_u32 v6, vcc_lo, v3, v1
	v_sub_co_ci_u32_e32 v7, vcc_lo, v4, v2, vcc_lo
	s_delay_alu instid0(VALU_DEP_1) | instskip(SKIP_1) | instid1(VALU_DEP_2)
	v_lshrrev_b64 v[8:9], 1, v[6:7]
	v_lshrrev_b64 v[6:7], 6, v[6:7]
	v_add_co_u32 v8, vcc_lo, v8, v1
	s_delay_alu instid0(VALU_DEP_3) | instskip(NEXT) | instid1(VALU_DEP_2)
	v_add_co_ci_u32_e32 v9, vcc_lo, v9, v2, vcc_lo
	v_add_co_u32 v6, vcc_lo, v8, v6
	s_delay_alu instid0(VALU_DEP_2) | instskip(NEXT) | instid1(VALU_DEP_1)
	v_add_co_ci_u32_e32 v7, vcc_lo, v9, v7, vcc_lo
	v_lshlrev_b64 v[8:9], 2, v[6:7]
	s_delay_alu instid0(VALU_DEP_1) | instskip(NEXT) | instid1(VALU_DEP_2)
	v_add_co_u32 v8, vcc_lo, s6, v8
	v_add_co_ci_u32_e32 v9, vcc_lo, s7, v9, vcc_lo
	global_load_b32 v8, v[8:9], off
	v_add_co_u32 v9, vcc_lo, v6, 1
	v_add_co_ci_u32_e32 v10, vcc_lo, 0, v7, vcc_lo
	s_waitcnt vmcnt(0)
	v_cmp_gt_i32_e32 vcc_lo, v8, v5
	v_dual_cndmask_b32 v4, v4, v7 :: v_dual_cndmask_b32 v3, v3, v6
	s_delay_alu instid0(VALU_DEP_3) | instskip(NEXT) | instid1(VALU_DEP_1)
	v_dual_cndmask_b32 v2, v10, v2 :: v_dual_cndmask_b32 v1, v9, v1
	v_cmp_ge_u64_e32 vcc_lo, v[1:2], v[3:4]
	s_or_b32 s13, vcc_lo, s13
	s_delay_alu instid0(SALU_CYCLE_1)
	s_and_not1_b32 exec_lo, exec_lo, s13
	s_cbranch_execnz .LBB156_3
; %bb.4:
	s_or_b32 exec_lo, exec_lo, s13
.LBB156_5:
	s_mov_b32 s13, -1
	s_cbranch_execz .LBB156_7
	s_branch .LBB156_13
.LBB156_6:
	s_mov_b32 s13, s9
                                        ; implicit-def: $vgpr1_vgpr2
	s_and_not1_b32 vcc_lo, exec_lo, s14
	s_cbranch_vccnz .LBB156_13
.LBB156_7:
	s_load_b32 s0, s[0:1], 0x10
                                        ; implicit-def: $vgpr1_vgpr2
	s_waitcnt lgkmcnt(0)
	s_sub_i32 s0, s0, s8
	s_delay_alu instid0(SALU_CYCLE_1) | instskip(NEXT) | instid1(VALU_DEP_1)
	v_cmp_gt_u32_e64 s13, s0, v0
	s_and_saveexec_b32 s0, s13
	s_cbranch_execz .LBB156_12
; %bb.8:
	v_mov_b32_e32 v1, 0
	v_mov_b32_e32 v2, 0
	s_cmp_eq_u64 s[10:11], 0
	s_cbranch_scc1 .LBB156_12
; %bb.9:
	v_mov_b32_e32 v1, 0
	v_dual_mov_b32 v2, 0 :: v_dual_mov_b32 v3, s10
	v_add3_u32 v5, s12, s8, v0
	v_mov_b32_e32 v4, s11
	s_mov_b32 s1, 0
	.p2align	6
.LBB156_10:                             ; =>This Inner Loop Header: Depth=1
	s_delay_alu instid0(VALU_DEP_3) | instskip(NEXT) | instid1(VALU_DEP_2)
	v_sub_co_u32 v6, vcc_lo, v3, v1
	v_sub_co_ci_u32_e32 v7, vcc_lo, v4, v2, vcc_lo
	s_delay_alu instid0(VALU_DEP_1) | instskip(SKIP_1) | instid1(VALU_DEP_2)
	v_lshrrev_b64 v[8:9], 1, v[6:7]
	v_lshrrev_b64 v[6:7], 6, v[6:7]
	v_add_co_u32 v8, vcc_lo, v8, v1
	s_delay_alu instid0(VALU_DEP_3) | instskip(NEXT) | instid1(VALU_DEP_2)
	v_add_co_ci_u32_e32 v9, vcc_lo, v9, v2, vcc_lo
	v_add_co_u32 v6, vcc_lo, v8, v6
	s_delay_alu instid0(VALU_DEP_2) | instskip(NEXT) | instid1(VALU_DEP_1)
	v_add_co_ci_u32_e32 v7, vcc_lo, v9, v7, vcc_lo
	v_lshlrev_b64 v[8:9], 2, v[6:7]
	s_delay_alu instid0(VALU_DEP_1) | instskip(NEXT) | instid1(VALU_DEP_2)
	v_add_co_u32 v8, vcc_lo, s6, v8
	v_add_co_ci_u32_e32 v9, vcc_lo, s7, v9, vcc_lo
	global_load_b32 v8, v[8:9], off
	v_add_co_u32 v9, vcc_lo, v6, 1
	v_add_co_ci_u32_e32 v10, vcc_lo, 0, v7, vcc_lo
	s_waitcnt vmcnt(0)
	v_cmp_gt_i32_e32 vcc_lo, v8, v5
	v_dual_cndmask_b32 v4, v4, v7 :: v_dual_cndmask_b32 v3, v3, v6
	s_delay_alu instid0(VALU_DEP_3) | instskip(NEXT) | instid1(VALU_DEP_1)
	v_dual_cndmask_b32 v2, v10, v2 :: v_dual_cndmask_b32 v1, v9, v1
	v_cmp_ge_u64_e32 vcc_lo, v[1:2], v[3:4]
	s_or_b32 s1, vcc_lo, s1
	s_delay_alu instid0(SALU_CYCLE_1)
	s_and_not1_b32 exec_lo, exec_lo, s1
	s_cbranch_execnz .LBB156_10
; %bb.11:
	s_or_b32 exec_lo, exec_lo, s1
.LBB156_12:
	s_delay_alu instid0(SALU_CYCLE_1)
	s_or_b32 exec_lo, exec_lo, s0
.LBB156_13:
	s_and_saveexec_b32 s0, s13
	s_cbranch_execnz .LBB156_15
; %bb.14:
	s_endpgm
.LBB156_15:
	s_lshl_b64 s[0:1], s[2:3], 3
	v_lshlrev_b32_e32 v0, 3, v0
	s_add_u32 s2, s4, s0
	s_addc_u32 s3, s5, s1
	s_lshl_b64 s[0:1], s[8:9], 3
	s_delay_alu instid0(SALU_CYCLE_1)
	s_add_u32 s0, s2, s0
	s_addc_u32 s1, s3, s1
	global_store_b64 v0, v[1:2], s[0:1]
	s_nop 0
	s_sendmsg sendmsg(MSG_DEALLOC_VGPRS)
	s_endpgm
	.section	.rodata,"a",@progbits
	.p2align	6, 0x0
	.amdhsa_kernel _ZN7rocprim17ROCPRIM_400000_NS6detail17trampoline_kernelINS0_14default_configENS1_27upper_bound_config_selectorIilEEZNS1_14transform_implILb0ES3_S5_N6thrust23THRUST_200600_302600_NS17counting_iteratorIiNS8_11use_defaultESA_SA_EEPlZNS1_13binary_searchIS3_S5_PiSB_SC_NS1_21upper_bound_search_opENS8_6detail16wrapped_functionINS0_4lessIvEEbEEEE10hipError_tPvRmT1_T2_T3_mmT4_T5_P12ihipStream_tbEUlRKiE_EESL_SP_SQ_mSR_SU_bEUlT_E_NS1_11comp_targetILNS1_3genE9ELNS1_11target_archE1100ELNS1_3gpuE3ELNS1_3repE0EEENS1_30default_config_static_selectorELNS0_4arch9wavefront6targetE0EEEvSO_
		.amdhsa_group_segment_fixed_size 0
		.amdhsa_private_segment_fixed_size 0
		.amdhsa_kernarg_size 312
		.amdhsa_user_sgpr_count 15
		.amdhsa_user_sgpr_dispatch_ptr 0
		.amdhsa_user_sgpr_queue_ptr 0
		.amdhsa_user_sgpr_kernarg_segment_ptr 1
		.amdhsa_user_sgpr_dispatch_id 0
		.amdhsa_user_sgpr_private_segment_size 0
		.amdhsa_wavefront_size32 1
		.amdhsa_uses_dynamic_stack 0
		.amdhsa_enable_private_segment 0
		.amdhsa_system_sgpr_workgroup_id_x 1
		.amdhsa_system_sgpr_workgroup_id_y 0
		.amdhsa_system_sgpr_workgroup_id_z 0
		.amdhsa_system_sgpr_workgroup_info 0
		.amdhsa_system_vgpr_workitem_id 0
		.amdhsa_next_free_vgpr 11
		.amdhsa_next_free_sgpr 16
		.amdhsa_reserve_vcc 1
		.amdhsa_float_round_mode_32 0
		.amdhsa_float_round_mode_16_64 0
		.amdhsa_float_denorm_mode_32 3
		.amdhsa_float_denorm_mode_16_64 3
		.amdhsa_dx10_clamp 1
		.amdhsa_ieee_mode 1
		.amdhsa_fp16_overflow 0
		.amdhsa_workgroup_processor_mode 1
		.amdhsa_memory_ordered 1
		.amdhsa_forward_progress 0
		.amdhsa_shared_vgpr_count 0
		.amdhsa_exception_fp_ieee_invalid_op 0
		.amdhsa_exception_fp_denorm_src 0
		.amdhsa_exception_fp_ieee_div_zero 0
		.amdhsa_exception_fp_ieee_overflow 0
		.amdhsa_exception_fp_ieee_underflow 0
		.amdhsa_exception_fp_ieee_inexact 0
		.amdhsa_exception_int_div_zero 0
	.end_amdhsa_kernel
	.section	.text._ZN7rocprim17ROCPRIM_400000_NS6detail17trampoline_kernelINS0_14default_configENS1_27upper_bound_config_selectorIilEEZNS1_14transform_implILb0ES3_S5_N6thrust23THRUST_200600_302600_NS17counting_iteratorIiNS8_11use_defaultESA_SA_EEPlZNS1_13binary_searchIS3_S5_PiSB_SC_NS1_21upper_bound_search_opENS8_6detail16wrapped_functionINS0_4lessIvEEbEEEE10hipError_tPvRmT1_T2_T3_mmT4_T5_P12ihipStream_tbEUlRKiE_EESL_SP_SQ_mSR_SU_bEUlT_E_NS1_11comp_targetILNS1_3genE9ELNS1_11target_archE1100ELNS1_3gpuE3ELNS1_3repE0EEENS1_30default_config_static_selectorELNS0_4arch9wavefront6targetE0EEEvSO_,"axG",@progbits,_ZN7rocprim17ROCPRIM_400000_NS6detail17trampoline_kernelINS0_14default_configENS1_27upper_bound_config_selectorIilEEZNS1_14transform_implILb0ES3_S5_N6thrust23THRUST_200600_302600_NS17counting_iteratorIiNS8_11use_defaultESA_SA_EEPlZNS1_13binary_searchIS3_S5_PiSB_SC_NS1_21upper_bound_search_opENS8_6detail16wrapped_functionINS0_4lessIvEEbEEEE10hipError_tPvRmT1_T2_T3_mmT4_T5_P12ihipStream_tbEUlRKiE_EESL_SP_SQ_mSR_SU_bEUlT_E_NS1_11comp_targetILNS1_3genE9ELNS1_11target_archE1100ELNS1_3gpuE3ELNS1_3repE0EEENS1_30default_config_static_selectorELNS0_4arch9wavefront6targetE0EEEvSO_,comdat
.Lfunc_end156:
	.size	_ZN7rocprim17ROCPRIM_400000_NS6detail17trampoline_kernelINS0_14default_configENS1_27upper_bound_config_selectorIilEEZNS1_14transform_implILb0ES3_S5_N6thrust23THRUST_200600_302600_NS17counting_iteratorIiNS8_11use_defaultESA_SA_EEPlZNS1_13binary_searchIS3_S5_PiSB_SC_NS1_21upper_bound_search_opENS8_6detail16wrapped_functionINS0_4lessIvEEbEEEE10hipError_tPvRmT1_T2_T3_mmT4_T5_P12ihipStream_tbEUlRKiE_EESL_SP_SQ_mSR_SU_bEUlT_E_NS1_11comp_targetILNS1_3genE9ELNS1_11target_archE1100ELNS1_3gpuE3ELNS1_3repE0EEENS1_30default_config_static_selectorELNS0_4arch9wavefront6targetE0EEEvSO_, .Lfunc_end156-_ZN7rocprim17ROCPRIM_400000_NS6detail17trampoline_kernelINS0_14default_configENS1_27upper_bound_config_selectorIilEEZNS1_14transform_implILb0ES3_S5_N6thrust23THRUST_200600_302600_NS17counting_iteratorIiNS8_11use_defaultESA_SA_EEPlZNS1_13binary_searchIS3_S5_PiSB_SC_NS1_21upper_bound_search_opENS8_6detail16wrapped_functionINS0_4lessIvEEbEEEE10hipError_tPvRmT1_T2_T3_mmT4_T5_P12ihipStream_tbEUlRKiE_EESL_SP_SQ_mSR_SU_bEUlT_E_NS1_11comp_targetILNS1_3genE9ELNS1_11target_archE1100ELNS1_3gpuE3ELNS1_3repE0EEENS1_30default_config_static_selectorELNS0_4arch9wavefront6targetE0EEEvSO_
                                        ; -- End function
	.section	.AMDGPU.csdata,"",@progbits
; Kernel info:
; codeLenInByte = 624
; NumSgprs: 18
; NumVgprs: 11
; ScratchSize: 0
; MemoryBound: 0
; FloatMode: 240
; IeeeMode: 1
; LDSByteSize: 0 bytes/workgroup (compile time only)
; SGPRBlocks: 2
; VGPRBlocks: 1
; NumSGPRsForWavesPerEU: 18
; NumVGPRsForWavesPerEU: 11
; Occupancy: 16
; WaveLimiterHint : 0
; COMPUTE_PGM_RSRC2:SCRATCH_EN: 0
; COMPUTE_PGM_RSRC2:USER_SGPR: 15
; COMPUTE_PGM_RSRC2:TRAP_HANDLER: 0
; COMPUTE_PGM_RSRC2:TGID_X_EN: 1
; COMPUTE_PGM_RSRC2:TGID_Y_EN: 0
; COMPUTE_PGM_RSRC2:TGID_Z_EN: 0
; COMPUTE_PGM_RSRC2:TIDIG_COMP_CNT: 0
	.section	.text._ZN7rocprim17ROCPRIM_400000_NS6detail17trampoline_kernelINS0_14default_configENS1_27upper_bound_config_selectorIilEEZNS1_14transform_implILb0ES3_S5_N6thrust23THRUST_200600_302600_NS17counting_iteratorIiNS8_11use_defaultESA_SA_EEPlZNS1_13binary_searchIS3_S5_PiSB_SC_NS1_21upper_bound_search_opENS8_6detail16wrapped_functionINS0_4lessIvEEbEEEE10hipError_tPvRmT1_T2_T3_mmT4_T5_P12ihipStream_tbEUlRKiE_EESL_SP_SQ_mSR_SU_bEUlT_E_NS1_11comp_targetILNS1_3genE8ELNS1_11target_archE1030ELNS1_3gpuE2ELNS1_3repE0EEENS1_30default_config_static_selectorELNS0_4arch9wavefront6targetE0EEEvSO_,"axG",@progbits,_ZN7rocprim17ROCPRIM_400000_NS6detail17trampoline_kernelINS0_14default_configENS1_27upper_bound_config_selectorIilEEZNS1_14transform_implILb0ES3_S5_N6thrust23THRUST_200600_302600_NS17counting_iteratorIiNS8_11use_defaultESA_SA_EEPlZNS1_13binary_searchIS3_S5_PiSB_SC_NS1_21upper_bound_search_opENS8_6detail16wrapped_functionINS0_4lessIvEEbEEEE10hipError_tPvRmT1_T2_T3_mmT4_T5_P12ihipStream_tbEUlRKiE_EESL_SP_SQ_mSR_SU_bEUlT_E_NS1_11comp_targetILNS1_3genE8ELNS1_11target_archE1030ELNS1_3gpuE2ELNS1_3repE0EEENS1_30default_config_static_selectorELNS0_4arch9wavefront6targetE0EEEvSO_,comdat
	.protected	_ZN7rocprim17ROCPRIM_400000_NS6detail17trampoline_kernelINS0_14default_configENS1_27upper_bound_config_selectorIilEEZNS1_14transform_implILb0ES3_S5_N6thrust23THRUST_200600_302600_NS17counting_iteratorIiNS8_11use_defaultESA_SA_EEPlZNS1_13binary_searchIS3_S5_PiSB_SC_NS1_21upper_bound_search_opENS8_6detail16wrapped_functionINS0_4lessIvEEbEEEE10hipError_tPvRmT1_T2_T3_mmT4_T5_P12ihipStream_tbEUlRKiE_EESL_SP_SQ_mSR_SU_bEUlT_E_NS1_11comp_targetILNS1_3genE8ELNS1_11target_archE1030ELNS1_3gpuE2ELNS1_3repE0EEENS1_30default_config_static_selectorELNS0_4arch9wavefront6targetE0EEEvSO_ ; -- Begin function _ZN7rocprim17ROCPRIM_400000_NS6detail17trampoline_kernelINS0_14default_configENS1_27upper_bound_config_selectorIilEEZNS1_14transform_implILb0ES3_S5_N6thrust23THRUST_200600_302600_NS17counting_iteratorIiNS8_11use_defaultESA_SA_EEPlZNS1_13binary_searchIS3_S5_PiSB_SC_NS1_21upper_bound_search_opENS8_6detail16wrapped_functionINS0_4lessIvEEbEEEE10hipError_tPvRmT1_T2_T3_mmT4_T5_P12ihipStream_tbEUlRKiE_EESL_SP_SQ_mSR_SU_bEUlT_E_NS1_11comp_targetILNS1_3genE8ELNS1_11target_archE1030ELNS1_3gpuE2ELNS1_3repE0EEENS1_30default_config_static_selectorELNS0_4arch9wavefront6targetE0EEEvSO_
	.globl	_ZN7rocprim17ROCPRIM_400000_NS6detail17trampoline_kernelINS0_14default_configENS1_27upper_bound_config_selectorIilEEZNS1_14transform_implILb0ES3_S5_N6thrust23THRUST_200600_302600_NS17counting_iteratorIiNS8_11use_defaultESA_SA_EEPlZNS1_13binary_searchIS3_S5_PiSB_SC_NS1_21upper_bound_search_opENS8_6detail16wrapped_functionINS0_4lessIvEEbEEEE10hipError_tPvRmT1_T2_T3_mmT4_T5_P12ihipStream_tbEUlRKiE_EESL_SP_SQ_mSR_SU_bEUlT_E_NS1_11comp_targetILNS1_3genE8ELNS1_11target_archE1030ELNS1_3gpuE2ELNS1_3repE0EEENS1_30default_config_static_selectorELNS0_4arch9wavefront6targetE0EEEvSO_
	.p2align	8
	.type	_ZN7rocprim17ROCPRIM_400000_NS6detail17trampoline_kernelINS0_14default_configENS1_27upper_bound_config_selectorIilEEZNS1_14transform_implILb0ES3_S5_N6thrust23THRUST_200600_302600_NS17counting_iteratorIiNS8_11use_defaultESA_SA_EEPlZNS1_13binary_searchIS3_S5_PiSB_SC_NS1_21upper_bound_search_opENS8_6detail16wrapped_functionINS0_4lessIvEEbEEEE10hipError_tPvRmT1_T2_T3_mmT4_T5_P12ihipStream_tbEUlRKiE_EESL_SP_SQ_mSR_SU_bEUlT_E_NS1_11comp_targetILNS1_3genE8ELNS1_11target_archE1030ELNS1_3gpuE2ELNS1_3repE0EEENS1_30default_config_static_selectorELNS0_4arch9wavefront6targetE0EEEvSO_,@function
_ZN7rocprim17ROCPRIM_400000_NS6detail17trampoline_kernelINS0_14default_configENS1_27upper_bound_config_selectorIilEEZNS1_14transform_implILb0ES3_S5_N6thrust23THRUST_200600_302600_NS17counting_iteratorIiNS8_11use_defaultESA_SA_EEPlZNS1_13binary_searchIS3_S5_PiSB_SC_NS1_21upper_bound_search_opENS8_6detail16wrapped_functionINS0_4lessIvEEbEEEE10hipError_tPvRmT1_T2_T3_mmT4_T5_P12ihipStream_tbEUlRKiE_EESL_SP_SQ_mSR_SU_bEUlT_E_NS1_11comp_targetILNS1_3genE8ELNS1_11target_archE1030ELNS1_3gpuE2ELNS1_3repE0EEENS1_30default_config_static_selectorELNS0_4arch9wavefront6targetE0EEEvSO_: ; @_ZN7rocprim17ROCPRIM_400000_NS6detail17trampoline_kernelINS0_14default_configENS1_27upper_bound_config_selectorIilEEZNS1_14transform_implILb0ES3_S5_N6thrust23THRUST_200600_302600_NS17counting_iteratorIiNS8_11use_defaultESA_SA_EEPlZNS1_13binary_searchIS3_S5_PiSB_SC_NS1_21upper_bound_search_opENS8_6detail16wrapped_functionINS0_4lessIvEEbEEEE10hipError_tPvRmT1_T2_T3_mmT4_T5_P12ihipStream_tbEUlRKiE_EESL_SP_SQ_mSR_SU_bEUlT_E_NS1_11comp_targetILNS1_3genE8ELNS1_11target_archE1030ELNS1_3gpuE2ELNS1_3repE0EEENS1_30default_config_static_selectorELNS0_4arch9wavefront6targetE0EEEvSO_
; %bb.0:
	.section	.rodata,"a",@progbits
	.p2align	6, 0x0
	.amdhsa_kernel _ZN7rocprim17ROCPRIM_400000_NS6detail17trampoline_kernelINS0_14default_configENS1_27upper_bound_config_selectorIilEEZNS1_14transform_implILb0ES3_S5_N6thrust23THRUST_200600_302600_NS17counting_iteratorIiNS8_11use_defaultESA_SA_EEPlZNS1_13binary_searchIS3_S5_PiSB_SC_NS1_21upper_bound_search_opENS8_6detail16wrapped_functionINS0_4lessIvEEbEEEE10hipError_tPvRmT1_T2_T3_mmT4_T5_P12ihipStream_tbEUlRKiE_EESL_SP_SQ_mSR_SU_bEUlT_E_NS1_11comp_targetILNS1_3genE8ELNS1_11target_archE1030ELNS1_3gpuE2ELNS1_3repE0EEENS1_30default_config_static_selectorELNS0_4arch9wavefront6targetE0EEEvSO_
		.amdhsa_group_segment_fixed_size 0
		.amdhsa_private_segment_fixed_size 0
		.amdhsa_kernarg_size 56
		.amdhsa_user_sgpr_count 15
		.amdhsa_user_sgpr_dispatch_ptr 0
		.amdhsa_user_sgpr_queue_ptr 0
		.amdhsa_user_sgpr_kernarg_segment_ptr 1
		.amdhsa_user_sgpr_dispatch_id 0
		.amdhsa_user_sgpr_private_segment_size 0
		.amdhsa_wavefront_size32 1
		.amdhsa_uses_dynamic_stack 0
		.amdhsa_enable_private_segment 0
		.amdhsa_system_sgpr_workgroup_id_x 1
		.amdhsa_system_sgpr_workgroup_id_y 0
		.amdhsa_system_sgpr_workgroup_id_z 0
		.amdhsa_system_sgpr_workgroup_info 0
		.amdhsa_system_vgpr_workitem_id 0
		.amdhsa_next_free_vgpr 1
		.amdhsa_next_free_sgpr 1
		.amdhsa_reserve_vcc 0
		.amdhsa_float_round_mode_32 0
		.amdhsa_float_round_mode_16_64 0
		.amdhsa_float_denorm_mode_32 3
		.amdhsa_float_denorm_mode_16_64 3
		.amdhsa_dx10_clamp 1
		.amdhsa_ieee_mode 1
		.amdhsa_fp16_overflow 0
		.amdhsa_workgroup_processor_mode 1
		.amdhsa_memory_ordered 1
		.amdhsa_forward_progress 0
		.amdhsa_shared_vgpr_count 0
		.amdhsa_exception_fp_ieee_invalid_op 0
		.amdhsa_exception_fp_denorm_src 0
		.amdhsa_exception_fp_ieee_div_zero 0
		.amdhsa_exception_fp_ieee_overflow 0
		.amdhsa_exception_fp_ieee_underflow 0
		.amdhsa_exception_fp_ieee_inexact 0
		.amdhsa_exception_int_div_zero 0
	.end_amdhsa_kernel
	.section	.text._ZN7rocprim17ROCPRIM_400000_NS6detail17trampoline_kernelINS0_14default_configENS1_27upper_bound_config_selectorIilEEZNS1_14transform_implILb0ES3_S5_N6thrust23THRUST_200600_302600_NS17counting_iteratorIiNS8_11use_defaultESA_SA_EEPlZNS1_13binary_searchIS3_S5_PiSB_SC_NS1_21upper_bound_search_opENS8_6detail16wrapped_functionINS0_4lessIvEEbEEEE10hipError_tPvRmT1_T2_T3_mmT4_T5_P12ihipStream_tbEUlRKiE_EESL_SP_SQ_mSR_SU_bEUlT_E_NS1_11comp_targetILNS1_3genE8ELNS1_11target_archE1030ELNS1_3gpuE2ELNS1_3repE0EEENS1_30default_config_static_selectorELNS0_4arch9wavefront6targetE0EEEvSO_,"axG",@progbits,_ZN7rocprim17ROCPRIM_400000_NS6detail17trampoline_kernelINS0_14default_configENS1_27upper_bound_config_selectorIilEEZNS1_14transform_implILb0ES3_S5_N6thrust23THRUST_200600_302600_NS17counting_iteratorIiNS8_11use_defaultESA_SA_EEPlZNS1_13binary_searchIS3_S5_PiSB_SC_NS1_21upper_bound_search_opENS8_6detail16wrapped_functionINS0_4lessIvEEbEEEE10hipError_tPvRmT1_T2_T3_mmT4_T5_P12ihipStream_tbEUlRKiE_EESL_SP_SQ_mSR_SU_bEUlT_E_NS1_11comp_targetILNS1_3genE8ELNS1_11target_archE1030ELNS1_3gpuE2ELNS1_3repE0EEENS1_30default_config_static_selectorELNS0_4arch9wavefront6targetE0EEEvSO_,comdat
.Lfunc_end157:
	.size	_ZN7rocprim17ROCPRIM_400000_NS6detail17trampoline_kernelINS0_14default_configENS1_27upper_bound_config_selectorIilEEZNS1_14transform_implILb0ES3_S5_N6thrust23THRUST_200600_302600_NS17counting_iteratorIiNS8_11use_defaultESA_SA_EEPlZNS1_13binary_searchIS3_S5_PiSB_SC_NS1_21upper_bound_search_opENS8_6detail16wrapped_functionINS0_4lessIvEEbEEEE10hipError_tPvRmT1_T2_T3_mmT4_T5_P12ihipStream_tbEUlRKiE_EESL_SP_SQ_mSR_SU_bEUlT_E_NS1_11comp_targetILNS1_3genE8ELNS1_11target_archE1030ELNS1_3gpuE2ELNS1_3repE0EEENS1_30default_config_static_selectorELNS0_4arch9wavefront6targetE0EEEvSO_, .Lfunc_end157-_ZN7rocprim17ROCPRIM_400000_NS6detail17trampoline_kernelINS0_14default_configENS1_27upper_bound_config_selectorIilEEZNS1_14transform_implILb0ES3_S5_N6thrust23THRUST_200600_302600_NS17counting_iteratorIiNS8_11use_defaultESA_SA_EEPlZNS1_13binary_searchIS3_S5_PiSB_SC_NS1_21upper_bound_search_opENS8_6detail16wrapped_functionINS0_4lessIvEEbEEEE10hipError_tPvRmT1_T2_T3_mmT4_T5_P12ihipStream_tbEUlRKiE_EESL_SP_SQ_mSR_SU_bEUlT_E_NS1_11comp_targetILNS1_3genE8ELNS1_11target_archE1030ELNS1_3gpuE2ELNS1_3repE0EEENS1_30default_config_static_selectorELNS0_4arch9wavefront6targetE0EEEvSO_
                                        ; -- End function
	.section	.AMDGPU.csdata,"",@progbits
; Kernel info:
; codeLenInByte = 0
; NumSgprs: 0
; NumVgprs: 0
; ScratchSize: 0
; MemoryBound: 0
; FloatMode: 240
; IeeeMode: 1
; LDSByteSize: 0 bytes/workgroup (compile time only)
; SGPRBlocks: 0
; VGPRBlocks: 0
; NumSGPRsForWavesPerEU: 1
; NumVGPRsForWavesPerEU: 1
; Occupancy: 16
; WaveLimiterHint : 0
; COMPUTE_PGM_RSRC2:SCRATCH_EN: 0
; COMPUTE_PGM_RSRC2:USER_SGPR: 15
; COMPUTE_PGM_RSRC2:TRAP_HANDLER: 0
; COMPUTE_PGM_RSRC2:TGID_X_EN: 1
; COMPUTE_PGM_RSRC2:TGID_Y_EN: 0
; COMPUTE_PGM_RSRC2:TGID_Z_EN: 0
; COMPUTE_PGM_RSRC2:TIDIG_COMP_CNT: 0
	.section	.text._Z18upper_bound_kernelIsEvmPT_Pl,"axG",@progbits,_Z18upper_bound_kernelIsEvmPT_Pl,comdat
	.protected	_Z18upper_bound_kernelIsEvmPT_Pl ; -- Begin function _Z18upper_bound_kernelIsEvmPT_Pl
	.globl	_Z18upper_bound_kernelIsEvmPT_Pl
	.p2align	8
	.type	_Z18upper_bound_kernelIsEvmPT_Pl,@function
_Z18upper_bound_kernelIsEvmPT_Pl:       ; @_Z18upper_bound_kernelIsEvmPT_Pl
; %bb.0:
	s_clause 0x1
	s_load_b128 s[4:7], s[0:1], 0x0
	s_load_b64 s[2:3], s[0:1], 0x10
	s_mov_b64 s[8:9], 0
	s_waitcnt lgkmcnt(0)
	v_cmp_lt_i64_e64 s0, s[4:5], 1
	s_delay_alu instid0(VALU_DEP_1) | instskip(NEXT) | instid1(SALU_CYCLE_1)
	s_and_b32 s0, exec_lo, s0
	s_mov_b32 vcc_lo, s0
	s_cbranch_vccnz .LBB158_3
; %bb.1:
	v_mov_b32_e32 v0, 0
	s_mov_b64 s[10:11], s[4:5]
	.p2align	6
.LBB158_2:                              ; =>This Inner Loop Header: Depth=1
	s_delay_alu instid0(SALU_CYCLE_1) | instskip(SKIP_1) | instid1(SALU_CYCLE_1)
	s_sub_u32 s1, s10, s8
	s_subb_u32 s13, s11, s9
	s_lshr_b32 s12, s13, 31
	s_delay_alu instid0(SALU_CYCLE_1) | instskip(SKIP_1) | instid1(SALU_CYCLE_1)
	s_add_u32 s12, s1, s12
	s_addc_u32 s13, s13, 0
	s_ashr_i64 s[12:13], s[12:13], 1
	s_delay_alu instid0(SALU_CYCLE_1) | instskip(SKIP_1) | instid1(SALU_CYCLE_1)
	s_add_u32 s12, s12, s8
	s_addc_u32 s13, s13, s9
	s_lshl_b64 s[14:15], s[12:13], 1
	s_delay_alu instid0(SALU_CYCLE_1)
	s_add_u32 s14, s6, s14
	s_addc_u32 s15, s7, s15
	s_add_u32 s1, s12, 1
	global_load_i16 v1, v0, s[14:15]
	s_addc_u32 s15, s13, 0
	s_waitcnt vmcnt(0)
	v_readfirstlane_b32 s14, v1
	s_delay_alu instid0(VALU_DEP_1) | instskip(SKIP_4) | instid1(SALU_CYCLE_1)
	s_cmp_gt_i32 s14, 0
	s_cselect_b32 s9, s9, s15
	s_cselect_b32 s8, s8, s1
	;; [unrolled: 1-line block ×4, first 2 shown]
	v_cmp_lt_i64_e64 s1, s[8:9], s[10:11]
	s_delay_alu instid0(VALU_DEP_1)
	s_and_b32 vcc_lo, exec_lo, s1
	s_cbranch_vccnz .LBB158_2
.LBB158_3:
	v_cmp_gt_i64_e64 s10, s[4:5], 0
	v_dual_mov_b32 v1, s8 :: v_dual_mov_b32 v2, s9
	s_mov_b64 s[8:9], 0
	s_delay_alu instid0(VALU_DEP_2) | instskip(SKIP_1) | instid1(VALU_DEP_1)
	v_cndmask_b32_e64 v0, 0, 1, s10
	s_and_not1_b32 vcc_lo, exec_lo, s10
	v_cmp_ne_u32_e64 s1, 1, v0
	v_mov_b32_e32 v0, 0
	global_store_b64 v0, v[1:2], s[2:3]
	s_cbranch_vccnz .LBB158_6
; %bb.4:
	s_mov_b64 s[10:11], s[4:5]
	.p2align	6
.LBB158_5:                              ; =>This Inner Loop Header: Depth=1
	s_delay_alu instid0(SALU_CYCLE_1) | instskip(SKIP_1) | instid1(SALU_CYCLE_1)
	s_sub_u32 s12, s10, s8
	s_subb_u32 s13, s11, s9
	s_lshr_b32 s14, s13, 31
	s_delay_alu instid0(SALU_CYCLE_1) | instskip(SKIP_1) | instid1(SALU_CYCLE_1)
	s_add_u32 s12, s12, s14
	s_addc_u32 s13, s13, 0
	s_ashr_i64 s[12:13], s[12:13], 1
	s_delay_alu instid0(SALU_CYCLE_1) | instskip(SKIP_1) | instid1(SALU_CYCLE_1)
	s_add_u32 s12, s12, s8
	s_addc_u32 s13, s13, s9
	s_lshl_b64 s[14:15], s[12:13], 1
	s_delay_alu instid0(SALU_CYCLE_1)
	s_add_u32 s14, s6, s14
	s_addc_u32 s15, s7, s15
	global_load_i16 v1, v0, s[14:15]
	s_add_u32 s14, s12, 1
	s_addc_u32 s16, s13, 0
	s_waitcnt vmcnt(0)
	v_readfirstlane_b32 s15, v1
	s_delay_alu instid0(VALU_DEP_1) | instskip(SKIP_4) | instid1(SALU_CYCLE_1)
	s_cmp_gt_i32 s15, 1
	s_cselect_b32 s9, s9, s16
	s_cselect_b32 s8, s8, s14
	;; [unrolled: 1-line block ×4, first 2 shown]
	v_cmp_lt_i64_e64 s12, s[8:9], s[10:11]
	s_delay_alu instid0(VALU_DEP_1)
	s_and_b32 vcc_lo, exec_lo, s12
	s_cbranch_vccnz .LBB158_5
.LBB158_6:
	v_dual_mov_b32 v0, 0 :: v_dual_mov_b32 v1, s8
	v_mov_b32_e32 v2, s9
	s_and_b32 vcc_lo, exec_lo, s1
	s_mov_b64 s[8:9], 0
	global_store_b64 v0, v[1:2], s[2:3] offset:8
	s_cbranch_vccnz .LBB158_9
; %bb.7:
	s_mov_b64 s[10:11], s[4:5]
	.p2align	6
.LBB158_8:                              ; =>This Inner Loop Header: Depth=1
	s_delay_alu instid0(SALU_CYCLE_1) | instskip(SKIP_1) | instid1(SALU_CYCLE_1)
	s_sub_u32 s12, s10, s8
	s_subb_u32 s13, s11, s9
	s_lshr_b32 s14, s13, 31
	s_delay_alu instid0(SALU_CYCLE_1) | instskip(SKIP_1) | instid1(SALU_CYCLE_1)
	s_add_u32 s12, s12, s14
	s_addc_u32 s13, s13, 0
	s_ashr_i64 s[12:13], s[12:13], 1
	s_delay_alu instid0(SALU_CYCLE_1) | instskip(SKIP_1) | instid1(SALU_CYCLE_1)
	s_add_u32 s12, s12, s8
	s_addc_u32 s13, s13, s9
	s_lshl_b64 s[14:15], s[12:13], 1
	s_delay_alu instid0(SALU_CYCLE_1)
	s_add_u32 s14, s6, s14
	s_addc_u32 s15, s7, s15
	global_load_i16 v1, v0, s[14:15]
	s_add_u32 s14, s12, 1
	s_addc_u32 s16, s13, 0
	s_waitcnt vmcnt(0)
	v_readfirstlane_b32 s15, v1
	s_delay_alu instid0(VALU_DEP_1) | instskip(SKIP_4) | instid1(SALU_CYCLE_1)
	s_cmp_gt_i32 s15, 2
	s_cselect_b32 s9, s9, s16
	s_cselect_b32 s8, s8, s14
	;; [unrolled: 1-line block ×4, first 2 shown]
	v_cmp_lt_i64_e64 s12, s[8:9], s[10:11]
	s_delay_alu instid0(VALU_DEP_1)
	s_and_b32 vcc_lo, exec_lo, s12
	s_cbranch_vccnz .LBB158_8
.LBB158_9:
	v_dual_mov_b32 v0, 0 :: v_dual_mov_b32 v1, s8
	v_mov_b32_e32 v2, s9
	s_and_b32 vcc_lo, exec_lo, s1
	s_mov_b64 s[8:9], 0
	global_store_b64 v0, v[1:2], s[2:3] offset:16
	s_cbranch_vccnz .LBB158_12
; %bb.10:
	s_mov_b64 s[10:11], s[4:5]
	.p2align	6
.LBB158_11:                             ; =>This Inner Loop Header: Depth=1
	s_delay_alu instid0(SALU_CYCLE_1) | instskip(SKIP_1) | instid1(SALU_CYCLE_1)
	s_sub_u32 s12, s10, s8
	s_subb_u32 s13, s11, s9
	s_lshr_b32 s14, s13, 31
	s_delay_alu instid0(SALU_CYCLE_1) | instskip(SKIP_1) | instid1(SALU_CYCLE_1)
	s_add_u32 s12, s12, s14
	s_addc_u32 s13, s13, 0
	s_ashr_i64 s[12:13], s[12:13], 1
	s_delay_alu instid0(SALU_CYCLE_1) | instskip(SKIP_1) | instid1(SALU_CYCLE_1)
	s_add_u32 s12, s12, s8
	s_addc_u32 s13, s13, s9
	s_lshl_b64 s[14:15], s[12:13], 1
	s_delay_alu instid0(SALU_CYCLE_1)
	s_add_u32 s14, s6, s14
	s_addc_u32 s15, s7, s15
	global_load_i16 v1, v0, s[14:15]
	s_add_u32 s14, s12, 1
	s_addc_u32 s16, s13, 0
	s_waitcnt vmcnt(0)
	v_readfirstlane_b32 s15, v1
	s_delay_alu instid0(VALU_DEP_1) | instskip(SKIP_4) | instid1(SALU_CYCLE_1)
	s_cmp_gt_i32 s15, 3
	s_cselect_b32 s9, s9, s16
	s_cselect_b32 s8, s8, s14
	;; [unrolled: 1-line block ×4, first 2 shown]
	v_cmp_lt_i64_e64 s12, s[8:9], s[10:11]
	s_delay_alu instid0(VALU_DEP_1)
	s_and_b32 vcc_lo, exec_lo, s12
	s_cbranch_vccnz .LBB158_11
.LBB158_12:
	v_dual_mov_b32 v0, 0 :: v_dual_mov_b32 v1, s8
	v_mov_b32_e32 v2, s9
	s_and_b32 vcc_lo, exec_lo, s1
	s_mov_b64 s[8:9], 0
	global_store_b64 v0, v[1:2], s[2:3] offset:24
	s_cbranch_vccnz .LBB158_15
; %bb.13:
	s_mov_b64 s[10:11], s[4:5]
	.p2align	6
.LBB158_14:                             ; =>This Inner Loop Header: Depth=1
	s_delay_alu instid0(SALU_CYCLE_1) | instskip(SKIP_1) | instid1(SALU_CYCLE_1)
	s_sub_u32 s12, s10, s8
	s_subb_u32 s13, s11, s9
	s_lshr_b32 s14, s13, 31
	s_delay_alu instid0(SALU_CYCLE_1) | instskip(SKIP_1) | instid1(SALU_CYCLE_1)
	s_add_u32 s12, s12, s14
	s_addc_u32 s13, s13, 0
	s_ashr_i64 s[12:13], s[12:13], 1
	s_delay_alu instid0(SALU_CYCLE_1) | instskip(SKIP_1) | instid1(SALU_CYCLE_1)
	s_add_u32 s12, s12, s8
	s_addc_u32 s13, s13, s9
	s_lshl_b64 s[14:15], s[12:13], 1
	s_delay_alu instid0(SALU_CYCLE_1)
	s_add_u32 s14, s6, s14
	s_addc_u32 s15, s7, s15
	global_load_i16 v1, v0, s[14:15]
	s_add_u32 s14, s12, 1
	s_addc_u32 s16, s13, 0
	s_waitcnt vmcnt(0)
	v_readfirstlane_b32 s15, v1
	s_delay_alu instid0(VALU_DEP_1) | instskip(SKIP_4) | instid1(SALU_CYCLE_1)
	s_cmp_gt_i32 s15, 4
	s_cselect_b32 s9, s9, s16
	s_cselect_b32 s8, s8, s14
	;; [unrolled: 1-line block ×4, first 2 shown]
	v_cmp_lt_i64_e64 s12, s[8:9], s[10:11]
	s_delay_alu instid0(VALU_DEP_1)
	s_and_b32 vcc_lo, exec_lo, s12
	s_cbranch_vccnz .LBB158_14
.LBB158_15:
	v_dual_mov_b32 v0, 0 :: v_dual_mov_b32 v1, s8
	v_mov_b32_e32 v2, s9
	s_and_b32 vcc_lo, exec_lo, s1
	s_mov_b64 s[8:9], 0
	global_store_b64 v0, v[1:2], s[2:3] offset:32
	s_cbranch_vccnz .LBB158_18
; %bb.16:
	s_mov_b64 s[10:11], s[4:5]
	.p2align	6
.LBB158_17:                             ; =>This Inner Loop Header: Depth=1
	s_delay_alu instid0(SALU_CYCLE_1) | instskip(SKIP_1) | instid1(SALU_CYCLE_1)
	s_sub_u32 s12, s10, s8
	s_subb_u32 s13, s11, s9
	s_lshr_b32 s14, s13, 31
	s_delay_alu instid0(SALU_CYCLE_1) | instskip(SKIP_1) | instid1(SALU_CYCLE_1)
	s_add_u32 s12, s12, s14
	s_addc_u32 s13, s13, 0
	s_ashr_i64 s[12:13], s[12:13], 1
	s_delay_alu instid0(SALU_CYCLE_1) | instskip(SKIP_1) | instid1(SALU_CYCLE_1)
	s_add_u32 s12, s12, s8
	s_addc_u32 s13, s13, s9
	s_lshl_b64 s[14:15], s[12:13], 1
	s_delay_alu instid0(SALU_CYCLE_1)
	s_add_u32 s14, s6, s14
	s_addc_u32 s15, s7, s15
	global_load_i16 v1, v0, s[14:15]
	s_add_u32 s14, s12, 1
	s_addc_u32 s16, s13, 0
	s_waitcnt vmcnt(0)
	v_readfirstlane_b32 s15, v1
	s_delay_alu instid0(VALU_DEP_1) | instskip(SKIP_4) | instid1(SALU_CYCLE_1)
	s_cmp_gt_i32 s15, 5
	s_cselect_b32 s9, s9, s16
	s_cselect_b32 s8, s8, s14
	;; [unrolled: 1-line block ×4, first 2 shown]
	v_cmp_lt_i64_e64 s12, s[8:9], s[10:11]
	s_delay_alu instid0(VALU_DEP_1)
	s_and_b32 vcc_lo, exec_lo, s12
	s_cbranch_vccnz .LBB158_17
.LBB158_18:
	v_dual_mov_b32 v0, 0 :: v_dual_mov_b32 v1, s8
	v_mov_b32_e32 v2, s9
	s_and_b32 vcc_lo, exec_lo, s1
	s_mov_b64 s[8:9], 0
	global_store_b64 v0, v[1:2], s[2:3] offset:40
	s_cbranch_vccnz .LBB158_21
; %bb.19:
	s_mov_b64 s[10:11], s[4:5]
	.p2align	6
.LBB158_20:                             ; =>This Inner Loop Header: Depth=1
	s_delay_alu instid0(SALU_CYCLE_1) | instskip(SKIP_1) | instid1(SALU_CYCLE_1)
	s_sub_u32 s12, s10, s8
	s_subb_u32 s13, s11, s9
	s_lshr_b32 s14, s13, 31
	s_delay_alu instid0(SALU_CYCLE_1) | instskip(SKIP_1) | instid1(SALU_CYCLE_1)
	s_add_u32 s12, s12, s14
	s_addc_u32 s13, s13, 0
	s_ashr_i64 s[12:13], s[12:13], 1
	s_delay_alu instid0(SALU_CYCLE_1) | instskip(SKIP_1) | instid1(SALU_CYCLE_1)
	s_add_u32 s12, s12, s8
	s_addc_u32 s13, s13, s9
	s_lshl_b64 s[14:15], s[12:13], 1
	s_delay_alu instid0(SALU_CYCLE_1)
	s_add_u32 s14, s6, s14
	s_addc_u32 s15, s7, s15
	global_load_i16 v1, v0, s[14:15]
	s_add_u32 s14, s12, 1
	s_addc_u32 s16, s13, 0
	s_waitcnt vmcnt(0)
	v_readfirstlane_b32 s15, v1
	s_delay_alu instid0(VALU_DEP_1) | instskip(SKIP_4) | instid1(SALU_CYCLE_1)
	s_cmp_gt_i32 s15, 6
	s_cselect_b32 s9, s9, s16
	s_cselect_b32 s8, s8, s14
	;; [unrolled: 1-line block ×4, first 2 shown]
	v_cmp_lt_i64_e64 s12, s[8:9], s[10:11]
	s_delay_alu instid0(VALU_DEP_1)
	s_and_b32 vcc_lo, exec_lo, s12
	s_cbranch_vccnz .LBB158_20
.LBB158_21:
	v_dual_mov_b32 v0, 0 :: v_dual_mov_b32 v1, s8
	v_mov_b32_e32 v2, s9
	s_and_b32 vcc_lo, exec_lo, s1
	s_mov_b64 s[8:9], 0
	global_store_b64 v0, v[1:2], s[2:3] offset:48
	s_cbranch_vccnz .LBB158_24
; %bb.22:
	s_mov_b64 s[10:11], s[4:5]
	.p2align	6
.LBB158_23:                             ; =>This Inner Loop Header: Depth=1
	s_delay_alu instid0(SALU_CYCLE_1) | instskip(SKIP_1) | instid1(SALU_CYCLE_1)
	s_sub_u32 s1, s10, s8
	s_subb_u32 s13, s11, s9
	s_lshr_b32 s12, s13, 31
	s_delay_alu instid0(SALU_CYCLE_1) | instskip(SKIP_1) | instid1(SALU_CYCLE_1)
	s_add_u32 s12, s1, s12
	s_addc_u32 s13, s13, 0
	s_ashr_i64 s[12:13], s[12:13], 1
	s_delay_alu instid0(SALU_CYCLE_1) | instskip(SKIP_1) | instid1(SALU_CYCLE_1)
	s_add_u32 s12, s12, s8
	s_addc_u32 s13, s13, s9
	s_lshl_b64 s[14:15], s[12:13], 1
	s_delay_alu instid0(SALU_CYCLE_1)
	s_add_u32 s14, s6, s14
	s_addc_u32 s15, s7, s15
	s_add_u32 s1, s12, 1
	global_load_i16 v1, v0, s[14:15]
	s_addc_u32 s15, s13, 0
	s_waitcnt vmcnt(0)
	v_readfirstlane_b32 s14, v1
	s_delay_alu instid0(VALU_DEP_1) | instskip(SKIP_4) | instid1(SALU_CYCLE_1)
	s_cmp_gt_i32 s14, 7
	s_cselect_b32 s9, s9, s15
	s_cselect_b32 s8, s8, s1
	;; [unrolled: 1-line block ×4, first 2 shown]
	v_cmp_lt_i64_e64 s1, s[8:9], s[10:11]
	s_delay_alu instid0(VALU_DEP_1)
	s_and_b32 vcc_lo, exec_lo, s1
	s_cbranch_vccnz .LBB158_23
.LBB158_24:
	v_dual_mov_b32 v0, 0 :: v_dual_mov_b32 v1, s8
	v_mov_b32_e32 v2, s9
	s_mov_b32 vcc_lo, s0
	global_store_b64 v0, v[1:2], s[2:3] offset:56
	s_cbranch_vccz .LBB158_26
; %bb.25:
	v_mov_b32_e32 v1, v0
	s_mov_b64 s[0:1], 0
	global_store_b64 v0, v[0:1], s[2:3] offset:64
	s_cbranch_execz .LBB158_27
	s_branch .LBB158_31
.LBB158_26:
                                        ; implicit-def: $sgpr0_sgpr1
.LBB158_27:
	v_mov_b32_e32 v0, 0
	s_mov_b64 s[0:1], 0
	s_mov_b64 s[8:9], s[4:5]
	.p2align	6
.LBB158_28:                             ; =>This Inner Loop Header: Depth=1
	s_delay_alu instid0(SALU_CYCLE_1) | instskip(SKIP_1) | instid1(SALU_CYCLE_1)
	s_sub_u32 s10, s8, s0
	s_subb_u32 s11, s9, s1
	s_lshr_b32 s12, s11, 31
	s_delay_alu instid0(SALU_CYCLE_1) | instskip(SKIP_1) | instid1(SALU_CYCLE_1)
	s_add_u32 s10, s10, s12
	s_addc_u32 s11, s11, 0
	s_ashr_i64 s[10:11], s[10:11], 1
	s_delay_alu instid0(SALU_CYCLE_1) | instskip(SKIP_1) | instid1(SALU_CYCLE_1)
	s_add_u32 s10, s10, s0
	s_addc_u32 s11, s11, s1
	s_lshl_b64 s[12:13], s[10:11], 1
	s_delay_alu instid0(SALU_CYCLE_1)
	s_add_u32 s12, s6, s12
	s_addc_u32 s13, s7, s13
	global_load_i16 v1, v0, s[12:13]
	s_add_u32 s12, s10, 1
	s_addc_u32 s14, s11, 0
	s_waitcnt vmcnt(0)
	v_readfirstlane_b32 s13, v1
	s_delay_alu instid0(VALU_DEP_1) | instskip(SKIP_4) | instid1(SALU_CYCLE_1)
	s_cmp_gt_i32 s13, 8
	s_cselect_b32 s1, s1, s14
	s_cselect_b32 s0, s0, s12
	;; [unrolled: 1-line block ×4, first 2 shown]
	v_cmp_lt_i64_e64 s10, s[0:1], s[8:9]
	s_delay_alu instid0(VALU_DEP_1)
	s_and_b32 vcc_lo, exec_lo, s10
	s_cbranch_vccnz .LBB158_28
; %bb.29:
	v_mov_b32_e32 v2, s1
	v_dual_mov_b32 v0, 0 :: v_dual_mov_b32 v1, s0
	s_mov_b64 s[0:1], 0
	global_store_b64 v0, v[1:2], s[2:3] offset:64
	.p2align	6
.LBB158_30:                             ; =>This Inner Loop Header: Depth=1
	s_sub_u32 s8, s4, s0
	s_subb_u32 s9, s5, s1
	s_delay_alu instid0(SALU_CYCLE_1) | instskip(NEXT) | instid1(SALU_CYCLE_1)
	s_lshr_b32 s10, s9, 31
	s_add_u32 s8, s8, s10
	s_addc_u32 s9, s9, 0
	s_delay_alu instid0(SALU_CYCLE_1) | instskip(NEXT) | instid1(SALU_CYCLE_1)
	s_ashr_i64 s[8:9], s[8:9], 1
	s_add_u32 s8, s8, s0
	s_addc_u32 s9, s9, s1
	s_delay_alu instid0(SALU_CYCLE_1) | instskip(NEXT) | instid1(SALU_CYCLE_1)
	s_lshl_b64 s[10:11], s[8:9], 1
	s_add_u32 s10, s6, s10
	s_addc_u32 s11, s7, s11
	global_load_i16 v1, v0, s[10:11]
	s_add_u32 s10, s8, 1
	s_addc_u32 s12, s9, 0
	s_waitcnt vmcnt(0)
	v_readfirstlane_b32 s11, v1
	s_delay_alu instid0(VALU_DEP_1) | instskip(SKIP_4) | instid1(SALU_CYCLE_1)
	s_cmp_gt_i32 s11, 9
	s_cselect_b32 s1, s1, s12
	s_cselect_b32 s0, s0, s10
	;; [unrolled: 1-line block ×4, first 2 shown]
	v_cmp_ge_i64_e64 s8, s[0:1], s[4:5]
	s_delay_alu instid0(VALU_DEP_1)
	s_and_b32 vcc_lo, exec_lo, s8
	s_cbranch_vccz .LBB158_30
.LBB158_31:
	v_mov_b32_e32 v0, s0
	v_dual_mov_b32 v2, 0 :: v_dual_mov_b32 v1, s1
	global_store_b64 v2, v[0:1], s[2:3] offset:72
	s_nop 0
	s_sendmsg sendmsg(MSG_DEALLOC_VGPRS)
	s_endpgm
	.section	.rodata,"a",@progbits
	.p2align	6, 0x0
	.amdhsa_kernel _Z18upper_bound_kernelIsEvmPT_Pl
		.amdhsa_group_segment_fixed_size 0
		.amdhsa_private_segment_fixed_size 0
		.amdhsa_kernarg_size 24
		.amdhsa_user_sgpr_count 15
		.amdhsa_user_sgpr_dispatch_ptr 0
		.amdhsa_user_sgpr_queue_ptr 0
		.amdhsa_user_sgpr_kernarg_segment_ptr 1
		.amdhsa_user_sgpr_dispatch_id 0
		.amdhsa_user_sgpr_private_segment_size 0
		.amdhsa_wavefront_size32 1
		.amdhsa_uses_dynamic_stack 0
		.amdhsa_enable_private_segment 0
		.amdhsa_system_sgpr_workgroup_id_x 1
		.amdhsa_system_sgpr_workgroup_id_y 0
		.amdhsa_system_sgpr_workgroup_id_z 0
		.amdhsa_system_sgpr_workgroup_info 0
		.amdhsa_system_vgpr_workitem_id 0
		.amdhsa_next_free_vgpr 3
		.amdhsa_next_free_sgpr 17
		.amdhsa_reserve_vcc 1
		.amdhsa_float_round_mode_32 0
		.amdhsa_float_round_mode_16_64 0
		.amdhsa_float_denorm_mode_32 3
		.amdhsa_float_denorm_mode_16_64 3
		.amdhsa_dx10_clamp 1
		.amdhsa_ieee_mode 1
		.amdhsa_fp16_overflow 0
		.amdhsa_workgroup_processor_mode 1
		.amdhsa_memory_ordered 1
		.amdhsa_forward_progress 0
		.amdhsa_shared_vgpr_count 0
		.amdhsa_exception_fp_ieee_invalid_op 0
		.amdhsa_exception_fp_denorm_src 0
		.amdhsa_exception_fp_ieee_div_zero 0
		.amdhsa_exception_fp_ieee_overflow 0
		.amdhsa_exception_fp_ieee_underflow 0
		.amdhsa_exception_fp_ieee_inexact 0
		.amdhsa_exception_int_div_zero 0
	.end_amdhsa_kernel
	.section	.text._Z18upper_bound_kernelIsEvmPT_Pl,"axG",@progbits,_Z18upper_bound_kernelIsEvmPT_Pl,comdat
.Lfunc_end158:
	.size	_Z18upper_bound_kernelIsEvmPT_Pl, .Lfunc_end158-_Z18upper_bound_kernelIsEvmPT_Pl
                                        ; -- End function
	.section	.AMDGPU.csdata,"",@progbits
; Kernel info:
; codeLenInByte = 1736
; NumSgprs: 19
; NumVgprs: 3
; ScratchSize: 0
; MemoryBound: 0
; FloatMode: 240
; IeeeMode: 1
; LDSByteSize: 0 bytes/workgroup (compile time only)
; SGPRBlocks: 2
; VGPRBlocks: 0
; NumSGPRsForWavesPerEU: 19
; NumVGPRsForWavesPerEU: 3
; Occupancy: 16
; WaveLimiterHint : 0
; COMPUTE_PGM_RSRC2:SCRATCH_EN: 0
; COMPUTE_PGM_RSRC2:USER_SGPR: 15
; COMPUTE_PGM_RSRC2:TRAP_HANDLER: 0
; COMPUTE_PGM_RSRC2:TGID_X_EN: 1
; COMPUTE_PGM_RSRC2:TGID_Y_EN: 0
; COMPUTE_PGM_RSRC2:TGID_Z_EN: 0
; COMPUTE_PGM_RSRC2:TIDIG_COMP_CNT: 0
	.section	.text._ZN7rocprim17ROCPRIM_400000_NS6detail17trampoline_kernelINS0_14default_configENS1_27upper_bound_config_selectorIslEEZNS1_14transform_implILb0ES3_S5_N6thrust23THRUST_200600_302600_NS17counting_iteratorIsNS8_11use_defaultESA_SA_EEPlZNS1_13binary_searchIS3_S5_PsSB_SC_NS1_21upper_bound_search_opENS8_6detail16wrapped_functionINS0_4lessIvEEbEEEE10hipError_tPvRmT1_T2_T3_mmT4_T5_P12ihipStream_tbEUlRKsE_EESL_SP_SQ_mSR_SU_bEUlT_E_NS1_11comp_targetILNS1_3genE0ELNS1_11target_archE4294967295ELNS1_3gpuE0ELNS1_3repE0EEENS1_30default_config_static_selectorELNS0_4arch9wavefront6targetE0EEEvSO_,"axG",@progbits,_ZN7rocprim17ROCPRIM_400000_NS6detail17trampoline_kernelINS0_14default_configENS1_27upper_bound_config_selectorIslEEZNS1_14transform_implILb0ES3_S5_N6thrust23THRUST_200600_302600_NS17counting_iteratorIsNS8_11use_defaultESA_SA_EEPlZNS1_13binary_searchIS3_S5_PsSB_SC_NS1_21upper_bound_search_opENS8_6detail16wrapped_functionINS0_4lessIvEEbEEEE10hipError_tPvRmT1_T2_T3_mmT4_T5_P12ihipStream_tbEUlRKsE_EESL_SP_SQ_mSR_SU_bEUlT_E_NS1_11comp_targetILNS1_3genE0ELNS1_11target_archE4294967295ELNS1_3gpuE0ELNS1_3repE0EEENS1_30default_config_static_selectorELNS0_4arch9wavefront6targetE0EEEvSO_,comdat
	.protected	_ZN7rocprim17ROCPRIM_400000_NS6detail17trampoline_kernelINS0_14default_configENS1_27upper_bound_config_selectorIslEEZNS1_14transform_implILb0ES3_S5_N6thrust23THRUST_200600_302600_NS17counting_iteratorIsNS8_11use_defaultESA_SA_EEPlZNS1_13binary_searchIS3_S5_PsSB_SC_NS1_21upper_bound_search_opENS8_6detail16wrapped_functionINS0_4lessIvEEbEEEE10hipError_tPvRmT1_T2_T3_mmT4_T5_P12ihipStream_tbEUlRKsE_EESL_SP_SQ_mSR_SU_bEUlT_E_NS1_11comp_targetILNS1_3genE0ELNS1_11target_archE4294967295ELNS1_3gpuE0ELNS1_3repE0EEENS1_30default_config_static_selectorELNS0_4arch9wavefront6targetE0EEEvSO_ ; -- Begin function _ZN7rocprim17ROCPRIM_400000_NS6detail17trampoline_kernelINS0_14default_configENS1_27upper_bound_config_selectorIslEEZNS1_14transform_implILb0ES3_S5_N6thrust23THRUST_200600_302600_NS17counting_iteratorIsNS8_11use_defaultESA_SA_EEPlZNS1_13binary_searchIS3_S5_PsSB_SC_NS1_21upper_bound_search_opENS8_6detail16wrapped_functionINS0_4lessIvEEbEEEE10hipError_tPvRmT1_T2_T3_mmT4_T5_P12ihipStream_tbEUlRKsE_EESL_SP_SQ_mSR_SU_bEUlT_E_NS1_11comp_targetILNS1_3genE0ELNS1_11target_archE4294967295ELNS1_3gpuE0ELNS1_3repE0EEENS1_30default_config_static_selectorELNS0_4arch9wavefront6targetE0EEEvSO_
	.globl	_ZN7rocprim17ROCPRIM_400000_NS6detail17trampoline_kernelINS0_14default_configENS1_27upper_bound_config_selectorIslEEZNS1_14transform_implILb0ES3_S5_N6thrust23THRUST_200600_302600_NS17counting_iteratorIsNS8_11use_defaultESA_SA_EEPlZNS1_13binary_searchIS3_S5_PsSB_SC_NS1_21upper_bound_search_opENS8_6detail16wrapped_functionINS0_4lessIvEEbEEEE10hipError_tPvRmT1_T2_T3_mmT4_T5_P12ihipStream_tbEUlRKsE_EESL_SP_SQ_mSR_SU_bEUlT_E_NS1_11comp_targetILNS1_3genE0ELNS1_11target_archE4294967295ELNS1_3gpuE0ELNS1_3repE0EEENS1_30default_config_static_selectorELNS0_4arch9wavefront6targetE0EEEvSO_
	.p2align	8
	.type	_ZN7rocprim17ROCPRIM_400000_NS6detail17trampoline_kernelINS0_14default_configENS1_27upper_bound_config_selectorIslEEZNS1_14transform_implILb0ES3_S5_N6thrust23THRUST_200600_302600_NS17counting_iteratorIsNS8_11use_defaultESA_SA_EEPlZNS1_13binary_searchIS3_S5_PsSB_SC_NS1_21upper_bound_search_opENS8_6detail16wrapped_functionINS0_4lessIvEEbEEEE10hipError_tPvRmT1_T2_T3_mmT4_T5_P12ihipStream_tbEUlRKsE_EESL_SP_SQ_mSR_SU_bEUlT_E_NS1_11comp_targetILNS1_3genE0ELNS1_11target_archE4294967295ELNS1_3gpuE0ELNS1_3repE0EEENS1_30default_config_static_selectorELNS0_4arch9wavefront6targetE0EEEvSO_,@function
_ZN7rocprim17ROCPRIM_400000_NS6detail17trampoline_kernelINS0_14default_configENS1_27upper_bound_config_selectorIslEEZNS1_14transform_implILb0ES3_S5_N6thrust23THRUST_200600_302600_NS17counting_iteratorIsNS8_11use_defaultESA_SA_EEPlZNS1_13binary_searchIS3_S5_PsSB_SC_NS1_21upper_bound_search_opENS8_6detail16wrapped_functionINS0_4lessIvEEbEEEE10hipError_tPvRmT1_T2_T3_mmT4_T5_P12ihipStream_tbEUlRKsE_EESL_SP_SQ_mSR_SU_bEUlT_E_NS1_11comp_targetILNS1_3genE0ELNS1_11target_archE4294967295ELNS1_3gpuE0ELNS1_3repE0EEENS1_30default_config_static_selectorELNS0_4arch9wavefront6targetE0EEEvSO_: ; @_ZN7rocprim17ROCPRIM_400000_NS6detail17trampoline_kernelINS0_14default_configENS1_27upper_bound_config_selectorIslEEZNS1_14transform_implILb0ES3_S5_N6thrust23THRUST_200600_302600_NS17counting_iteratorIsNS8_11use_defaultESA_SA_EEPlZNS1_13binary_searchIS3_S5_PsSB_SC_NS1_21upper_bound_search_opENS8_6detail16wrapped_functionINS0_4lessIvEEbEEEE10hipError_tPvRmT1_T2_T3_mmT4_T5_P12ihipStream_tbEUlRKsE_EESL_SP_SQ_mSR_SU_bEUlT_E_NS1_11comp_targetILNS1_3genE0ELNS1_11target_archE4294967295ELNS1_3gpuE0ELNS1_3repE0EEENS1_30default_config_static_selectorELNS0_4arch9wavefront6targetE0EEEvSO_
; %bb.0:
	.section	.rodata,"a",@progbits
	.p2align	6, 0x0
	.amdhsa_kernel _ZN7rocprim17ROCPRIM_400000_NS6detail17trampoline_kernelINS0_14default_configENS1_27upper_bound_config_selectorIslEEZNS1_14transform_implILb0ES3_S5_N6thrust23THRUST_200600_302600_NS17counting_iteratorIsNS8_11use_defaultESA_SA_EEPlZNS1_13binary_searchIS3_S5_PsSB_SC_NS1_21upper_bound_search_opENS8_6detail16wrapped_functionINS0_4lessIvEEbEEEE10hipError_tPvRmT1_T2_T3_mmT4_T5_P12ihipStream_tbEUlRKsE_EESL_SP_SQ_mSR_SU_bEUlT_E_NS1_11comp_targetILNS1_3genE0ELNS1_11target_archE4294967295ELNS1_3gpuE0ELNS1_3repE0EEENS1_30default_config_static_selectorELNS0_4arch9wavefront6targetE0EEEvSO_
		.amdhsa_group_segment_fixed_size 0
		.amdhsa_private_segment_fixed_size 0
		.amdhsa_kernarg_size 56
		.amdhsa_user_sgpr_count 15
		.amdhsa_user_sgpr_dispatch_ptr 0
		.amdhsa_user_sgpr_queue_ptr 0
		.amdhsa_user_sgpr_kernarg_segment_ptr 1
		.amdhsa_user_sgpr_dispatch_id 0
		.amdhsa_user_sgpr_private_segment_size 0
		.amdhsa_wavefront_size32 1
		.amdhsa_uses_dynamic_stack 0
		.amdhsa_enable_private_segment 0
		.amdhsa_system_sgpr_workgroup_id_x 1
		.amdhsa_system_sgpr_workgroup_id_y 0
		.amdhsa_system_sgpr_workgroup_id_z 0
		.amdhsa_system_sgpr_workgroup_info 0
		.amdhsa_system_vgpr_workitem_id 0
		.amdhsa_next_free_vgpr 1
		.amdhsa_next_free_sgpr 1
		.amdhsa_reserve_vcc 0
		.amdhsa_float_round_mode_32 0
		.amdhsa_float_round_mode_16_64 0
		.amdhsa_float_denorm_mode_32 3
		.amdhsa_float_denorm_mode_16_64 3
		.amdhsa_dx10_clamp 1
		.amdhsa_ieee_mode 1
		.amdhsa_fp16_overflow 0
		.amdhsa_workgroup_processor_mode 1
		.amdhsa_memory_ordered 1
		.amdhsa_forward_progress 0
		.amdhsa_shared_vgpr_count 0
		.amdhsa_exception_fp_ieee_invalid_op 0
		.amdhsa_exception_fp_denorm_src 0
		.amdhsa_exception_fp_ieee_div_zero 0
		.amdhsa_exception_fp_ieee_overflow 0
		.amdhsa_exception_fp_ieee_underflow 0
		.amdhsa_exception_fp_ieee_inexact 0
		.amdhsa_exception_int_div_zero 0
	.end_amdhsa_kernel
	.section	.text._ZN7rocprim17ROCPRIM_400000_NS6detail17trampoline_kernelINS0_14default_configENS1_27upper_bound_config_selectorIslEEZNS1_14transform_implILb0ES3_S5_N6thrust23THRUST_200600_302600_NS17counting_iteratorIsNS8_11use_defaultESA_SA_EEPlZNS1_13binary_searchIS3_S5_PsSB_SC_NS1_21upper_bound_search_opENS8_6detail16wrapped_functionINS0_4lessIvEEbEEEE10hipError_tPvRmT1_T2_T3_mmT4_T5_P12ihipStream_tbEUlRKsE_EESL_SP_SQ_mSR_SU_bEUlT_E_NS1_11comp_targetILNS1_3genE0ELNS1_11target_archE4294967295ELNS1_3gpuE0ELNS1_3repE0EEENS1_30default_config_static_selectorELNS0_4arch9wavefront6targetE0EEEvSO_,"axG",@progbits,_ZN7rocprim17ROCPRIM_400000_NS6detail17trampoline_kernelINS0_14default_configENS1_27upper_bound_config_selectorIslEEZNS1_14transform_implILb0ES3_S5_N6thrust23THRUST_200600_302600_NS17counting_iteratorIsNS8_11use_defaultESA_SA_EEPlZNS1_13binary_searchIS3_S5_PsSB_SC_NS1_21upper_bound_search_opENS8_6detail16wrapped_functionINS0_4lessIvEEbEEEE10hipError_tPvRmT1_T2_T3_mmT4_T5_P12ihipStream_tbEUlRKsE_EESL_SP_SQ_mSR_SU_bEUlT_E_NS1_11comp_targetILNS1_3genE0ELNS1_11target_archE4294967295ELNS1_3gpuE0ELNS1_3repE0EEENS1_30default_config_static_selectorELNS0_4arch9wavefront6targetE0EEEvSO_,comdat
.Lfunc_end159:
	.size	_ZN7rocprim17ROCPRIM_400000_NS6detail17trampoline_kernelINS0_14default_configENS1_27upper_bound_config_selectorIslEEZNS1_14transform_implILb0ES3_S5_N6thrust23THRUST_200600_302600_NS17counting_iteratorIsNS8_11use_defaultESA_SA_EEPlZNS1_13binary_searchIS3_S5_PsSB_SC_NS1_21upper_bound_search_opENS8_6detail16wrapped_functionINS0_4lessIvEEbEEEE10hipError_tPvRmT1_T2_T3_mmT4_T5_P12ihipStream_tbEUlRKsE_EESL_SP_SQ_mSR_SU_bEUlT_E_NS1_11comp_targetILNS1_3genE0ELNS1_11target_archE4294967295ELNS1_3gpuE0ELNS1_3repE0EEENS1_30default_config_static_selectorELNS0_4arch9wavefront6targetE0EEEvSO_, .Lfunc_end159-_ZN7rocprim17ROCPRIM_400000_NS6detail17trampoline_kernelINS0_14default_configENS1_27upper_bound_config_selectorIslEEZNS1_14transform_implILb0ES3_S5_N6thrust23THRUST_200600_302600_NS17counting_iteratorIsNS8_11use_defaultESA_SA_EEPlZNS1_13binary_searchIS3_S5_PsSB_SC_NS1_21upper_bound_search_opENS8_6detail16wrapped_functionINS0_4lessIvEEbEEEE10hipError_tPvRmT1_T2_T3_mmT4_T5_P12ihipStream_tbEUlRKsE_EESL_SP_SQ_mSR_SU_bEUlT_E_NS1_11comp_targetILNS1_3genE0ELNS1_11target_archE4294967295ELNS1_3gpuE0ELNS1_3repE0EEENS1_30default_config_static_selectorELNS0_4arch9wavefront6targetE0EEEvSO_
                                        ; -- End function
	.section	.AMDGPU.csdata,"",@progbits
; Kernel info:
; codeLenInByte = 0
; NumSgprs: 0
; NumVgprs: 0
; ScratchSize: 0
; MemoryBound: 0
; FloatMode: 240
; IeeeMode: 1
; LDSByteSize: 0 bytes/workgroup (compile time only)
; SGPRBlocks: 0
; VGPRBlocks: 0
; NumSGPRsForWavesPerEU: 1
; NumVGPRsForWavesPerEU: 1
; Occupancy: 16
; WaveLimiterHint : 0
; COMPUTE_PGM_RSRC2:SCRATCH_EN: 0
; COMPUTE_PGM_RSRC2:USER_SGPR: 15
; COMPUTE_PGM_RSRC2:TRAP_HANDLER: 0
; COMPUTE_PGM_RSRC2:TGID_X_EN: 1
; COMPUTE_PGM_RSRC2:TGID_Y_EN: 0
; COMPUTE_PGM_RSRC2:TGID_Z_EN: 0
; COMPUTE_PGM_RSRC2:TIDIG_COMP_CNT: 0
	.section	.text._ZN7rocprim17ROCPRIM_400000_NS6detail17trampoline_kernelINS0_14default_configENS1_27upper_bound_config_selectorIslEEZNS1_14transform_implILb0ES3_S5_N6thrust23THRUST_200600_302600_NS17counting_iteratorIsNS8_11use_defaultESA_SA_EEPlZNS1_13binary_searchIS3_S5_PsSB_SC_NS1_21upper_bound_search_opENS8_6detail16wrapped_functionINS0_4lessIvEEbEEEE10hipError_tPvRmT1_T2_T3_mmT4_T5_P12ihipStream_tbEUlRKsE_EESL_SP_SQ_mSR_SU_bEUlT_E_NS1_11comp_targetILNS1_3genE5ELNS1_11target_archE942ELNS1_3gpuE9ELNS1_3repE0EEENS1_30default_config_static_selectorELNS0_4arch9wavefront6targetE0EEEvSO_,"axG",@progbits,_ZN7rocprim17ROCPRIM_400000_NS6detail17trampoline_kernelINS0_14default_configENS1_27upper_bound_config_selectorIslEEZNS1_14transform_implILb0ES3_S5_N6thrust23THRUST_200600_302600_NS17counting_iteratorIsNS8_11use_defaultESA_SA_EEPlZNS1_13binary_searchIS3_S5_PsSB_SC_NS1_21upper_bound_search_opENS8_6detail16wrapped_functionINS0_4lessIvEEbEEEE10hipError_tPvRmT1_T2_T3_mmT4_T5_P12ihipStream_tbEUlRKsE_EESL_SP_SQ_mSR_SU_bEUlT_E_NS1_11comp_targetILNS1_3genE5ELNS1_11target_archE942ELNS1_3gpuE9ELNS1_3repE0EEENS1_30default_config_static_selectorELNS0_4arch9wavefront6targetE0EEEvSO_,comdat
	.protected	_ZN7rocprim17ROCPRIM_400000_NS6detail17trampoline_kernelINS0_14default_configENS1_27upper_bound_config_selectorIslEEZNS1_14transform_implILb0ES3_S5_N6thrust23THRUST_200600_302600_NS17counting_iteratorIsNS8_11use_defaultESA_SA_EEPlZNS1_13binary_searchIS3_S5_PsSB_SC_NS1_21upper_bound_search_opENS8_6detail16wrapped_functionINS0_4lessIvEEbEEEE10hipError_tPvRmT1_T2_T3_mmT4_T5_P12ihipStream_tbEUlRKsE_EESL_SP_SQ_mSR_SU_bEUlT_E_NS1_11comp_targetILNS1_3genE5ELNS1_11target_archE942ELNS1_3gpuE9ELNS1_3repE0EEENS1_30default_config_static_selectorELNS0_4arch9wavefront6targetE0EEEvSO_ ; -- Begin function _ZN7rocprim17ROCPRIM_400000_NS6detail17trampoline_kernelINS0_14default_configENS1_27upper_bound_config_selectorIslEEZNS1_14transform_implILb0ES3_S5_N6thrust23THRUST_200600_302600_NS17counting_iteratorIsNS8_11use_defaultESA_SA_EEPlZNS1_13binary_searchIS3_S5_PsSB_SC_NS1_21upper_bound_search_opENS8_6detail16wrapped_functionINS0_4lessIvEEbEEEE10hipError_tPvRmT1_T2_T3_mmT4_T5_P12ihipStream_tbEUlRKsE_EESL_SP_SQ_mSR_SU_bEUlT_E_NS1_11comp_targetILNS1_3genE5ELNS1_11target_archE942ELNS1_3gpuE9ELNS1_3repE0EEENS1_30default_config_static_selectorELNS0_4arch9wavefront6targetE0EEEvSO_
	.globl	_ZN7rocprim17ROCPRIM_400000_NS6detail17trampoline_kernelINS0_14default_configENS1_27upper_bound_config_selectorIslEEZNS1_14transform_implILb0ES3_S5_N6thrust23THRUST_200600_302600_NS17counting_iteratorIsNS8_11use_defaultESA_SA_EEPlZNS1_13binary_searchIS3_S5_PsSB_SC_NS1_21upper_bound_search_opENS8_6detail16wrapped_functionINS0_4lessIvEEbEEEE10hipError_tPvRmT1_T2_T3_mmT4_T5_P12ihipStream_tbEUlRKsE_EESL_SP_SQ_mSR_SU_bEUlT_E_NS1_11comp_targetILNS1_3genE5ELNS1_11target_archE942ELNS1_3gpuE9ELNS1_3repE0EEENS1_30default_config_static_selectorELNS0_4arch9wavefront6targetE0EEEvSO_
	.p2align	8
	.type	_ZN7rocprim17ROCPRIM_400000_NS6detail17trampoline_kernelINS0_14default_configENS1_27upper_bound_config_selectorIslEEZNS1_14transform_implILb0ES3_S5_N6thrust23THRUST_200600_302600_NS17counting_iteratorIsNS8_11use_defaultESA_SA_EEPlZNS1_13binary_searchIS3_S5_PsSB_SC_NS1_21upper_bound_search_opENS8_6detail16wrapped_functionINS0_4lessIvEEbEEEE10hipError_tPvRmT1_T2_T3_mmT4_T5_P12ihipStream_tbEUlRKsE_EESL_SP_SQ_mSR_SU_bEUlT_E_NS1_11comp_targetILNS1_3genE5ELNS1_11target_archE942ELNS1_3gpuE9ELNS1_3repE0EEENS1_30default_config_static_selectorELNS0_4arch9wavefront6targetE0EEEvSO_,@function
_ZN7rocprim17ROCPRIM_400000_NS6detail17trampoline_kernelINS0_14default_configENS1_27upper_bound_config_selectorIslEEZNS1_14transform_implILb0ES3_S5_N6thrust23THRUST_200600_302600_NS17counting_iteratorIsNS8_11use_defaultESA_SA_EEPlZNS1_13binary_searchIS3_S5_PsSB_SC_NS1_21upper_bound_search_opENS8_6detail16wrapped_functionINS0_4lessIvEEbEEEE10hipError_tPvRmT1_T2_T3_mmT4_T5_P12ihipStream_tbEUlRKsE_EESL_SP_SQ_mSR_SU_bEUlT_E_NS1_11comp_targetILNS1_3genE5ELNS1_11target_archE942ELNS1_3gpuE9ELNS1_3repE0EEENS1_30default_config_static_selectorELNS0_4arch9wavefront6targetE0EEEvSO_: ; @_ZN7rocprim17ROCPRIM_400000_NS6detail17trampoline_kernelINS0_14default_configENS1_27upper_bound_config_selectorIslEEZNS1_14transform_implILb0ES3_S5_N6thrust23THRUST_200600_302600_NS17counting_iteratorIsNS8_11use_defaultESA_SA_EEPlZNS1_13binary_searchIS3_S5_PsSB_SC_NS1_21upper_bound_search_opENS8_6detail16wrapped_functionINS0_4lessIvEEbEEEE10hipError_tPvRmT1_T2_T3_mmT4_T5_P12ihipStream_tbEUlRKsE_EESL_SP_SQ_mSR_SU_bEUlT_E_NS1_11comp_targetILNS1_3genE5ELNS1_11target_archE942ELNS1_3gpuE9ELNS1_3repE0EEENS1_30default_config_static_selectorELNS0_4arch9wavefront6targetE0EEEvSO_
; %bb.0:
	.section	.rodata,"a",@progbits
	.p2align	6, 0x0
	.amdhsa_kernel _ZN7rocprim17ROCPRIM_400000_NS6detail17trampoline_kernelINS0_14default_configENS1_27upper_bound_config_selectorIslEEZNS1_14transform_implILb0ES3_S5_N6thrust23THRUST_200600_302600_NS17counting_iteratorIsNS8_11use_defaultESA_SA_EEPlZNS1_13binary_searchIS3_S5_PsSB_SC_NS1_21upper_bound_search_opENS8_6detail16wrapped_functionINS0_4lessIvEEbEEEE10hipError_tPvRmT1_T2_T3_mmT4_T5_P12ihipStream_tbEUlRKsE_EESL_SP_SQ_mSR_SU_bEUlT_E_NS1_11comp_targetILNS1_3genE5ELNS1_11target_archE942ELNS1_3gpuE9ELNS1_3repE0EEENS1_30default_config_static_selectorELNS0_4arch9wavefront6targetE0EEEvSO_
		.amdhsa_group_segment_fixed_size 0
		.amdhsa_private_segment_fixed_size 0
		.amdhsa_kernarg_size 56
		.amdhsa_user_sgpr_count 15
		.amdhsa_user_sgpr_dispatch_ptr 0
		.amdhsa_user_sgpr_queue_ptr 0
		.amdhsa_user_sgpr_kernarg_segment_ptr 1
		.amdhsa_user_sgpr_dispatch_id 0
		.amdhsa_user_sgpr_private_segment_size 0
		.amdhsa_wavefront_size32 1
		.amdhsa_uses_dynamic_stack 0
		.amdhsa_enable_private_segment 0
		.amdhsa_system_sgpr_workgroup_id_x 1
		.amdhsa_system_sgpr_workgroup_id_y 0
		.amdhsa_system_sgpr_workgroup_id_z 0
		.amdhsa_system_sgpr_workgroup_info 0
		.amdhsa_system_vgpr_workitem_id 0
		.amdhsa_next_free_vgpr 1
		.amdhsa_next_free_sgpr 1
		.amdhsa_reserve_vcc 0
		.amdhsa_float_round_mode_32 0
		.amdhsa_float_round_mode_16_64 0
		.amdhsa_float_denorm_mode_32 3
		.amdhsa_float_denorm_mode_16_64 3
		.amdhsa_dx10_clamp 1
		.amdhsa_ieee_mode 1
		.amdhsa_fp16_overflow 0
		.amdhsa_workgroup_processor_mode 1
		.amdhsa_memory_ordered 1
		.amdhsa_forward_progress 0
		.amdhsa_shared_vgpr_count 0
		.amdhsa_exception_fp_ieee_invalid_op 0
		.amdhsa_exception_fp_denorm_src 0
		.amdhsa_exception_fp_ieee_div_zero 0
		.amdhsa_exception_fp_ieee_overflow 0
		.amdhsa_exception_fp_ieee_underflow 0
		.amdhsa_exception_fp_ieee_inexact 0
		.amdhsa_exception_int_div_zero 0
	.end_amdhsa_kernel
	.section	.text._ZN7rocprim17ROCPRIM_400000_NS6detail17trampoline_kernelINS0_14default_configENS1_27upper_bound_config_selectorIslEEZNS1_14transform_implILb0ES3_S5_N6thrust23THRUST_200600_302600_NS17counting_iteratorIsNS8_11use_defaultESA_SA_EEPlZNS1_13binary_searchIS3_S5_PsSB_SC_NS1_21upper_bound_search_opENS8_6detail16wrapped_functionINS0_4lessIvEEbEEEE10hipError_tPvRmT1_T2_T3_mmT4_T5_P12ihipStream_tbEUlRKsE_EESL_SP_SQ_mSR_SU_bEUlT_E_NS1_11comp_targetILNS1_3genE5ELNS1_11target_archE942ELNS1_3gpuE9ELNS1_3repE0EEENS1_30default_config_static_selectorELNS0_4arch9wavefront6targetE0EEEvSO_,"axG",@progbits,_ZN7rocprim17ROCPRIM_400000_NS6detail17trampoline_kernelINS0_14default_configENS1_27upper_bound_config_selectorIslEEZNS1_14transform_implILb0ES3_S5_N6thrust23THRUST_200600_302600_NS17counting_iteratorIsNS8_11use_defaultESA_SA_EEPlZNS1_13binary_searchIS3_S5_PsSB_SC_NS1_21upper_bound_search_opENS8_6detail16wrapped_functionINS0_4lessIvEEbEEEE10hipError_tPvRmT1_T2_T3_mmT4_T5_P12ihipStream_tbEUlRKsE_EESL_SP_SQ_mSR_SU_bEUlT_E_NS1_11comp_targetILNS1_3genE5ELNS1_11target_archE942ELNS1_3gpuE9ELNS1_3repE0EEENS1_30default_config_static_selectorELNS0_4arch9wavefront6targetE0EEEvSO_,comdat
.Lfunc_end160:
	.size	_ZN7rocprim17ROCPRIM_400000_NS6detail17trampoline_kernelINS0_14default_configENS1_27upper_bound_config_selectorIslEEZNS1_14transform_implILb0ES3_S5_N6thrust23THRUST_200600_302600_NS17counting_iteratorIsNS8_11use_defaultESA_SA_EEPlZNS1_13binary_searchIS3_S5_PsSB_SC_NS1_21upper_bound_search_opENS8_6detail16wrapped_functionINS0_4lessIvEEbEEEE10hipError_tPvRmT1_T2_T3_mmT4_T5_P12ihipStream_tbEUlRKsE_EESL_SP_SQ_mSR_SU_bEUlT_E_NS1_11comp_targetILNS1_3genE5ELNS1_11target_archE942ELNS1_3gpuE9ELNS1_3repE0EEENS1_30default_config_static_selectorELNS0_4arch9wavefront6targetE0EEEvSO_, .Lfunc_end160-_ZN7rocprim17ROCPRIM_400000_NS6detail17trampoline_kernelINS0_14default_configENS1_27upper_bound_config_selectorIslEEZNS1_14transform_implILb0ES3_S5_N6thrust23THRUST_200600_302600_NS17counting_iteratorIsNS8_11use_defaultESA_SA_EEPlZNS1_13binary_searchIS3_S5_PsSB_SC_NS1_21upper_bound_search_opENS8_6detail16wrapped_functionINS0_4lessIvEEbEEEE10hipError_tPvRmT1_T2_T3_mmT4_T5_P12ihipStream_tbEUlRKsE_EESL_SP_SQ_mSR_SU_bEUlT_E_NS1_11comp_targetILNS1_3genE5ELNS1_11target_archE942ELNS1_3gpuE9ELNS1_3repE0EEENS1_30default_config_static_selectorELNS0_4arch9wavefront6targetE0EEEvSO_
                                        ; -- End function
	.section	.AMDGPU.csdata,"",@progbits
; Kernel info:
; codeLenInByte = 0
; NumSgprs: 0
; NumVgprs: 0
; ScratchSize: 0
; MemoryBound: 0
; FloatMode: 240
; IeeeMode: 1
; LDSByteSize: 0 bytes/workgroup (compile time only)
; SGPRBlocks: 0
; VGPRBlocks: 0
; NumSGPRsForWavesPerEU: 1
; NumVGPRsForWavesPerEU: 1
; Occupancy: 16
; WaveLimiterHint : 0
; COMPUTE_PGM_RSRC2:SCRATCH_EN: 0
; COMPUTE_PGM_RSRC2:USER_SGPR: 15
; COMPUTE_PGM_RSRC2:TRAP_HANDLER: 0
; COMPUTE_PGM_RSRC2:TGID_X_EN: 1
; COMPUTE_PGM_RSRC2:TGID_Y_EN: 0
; COMPUTE_PGM_RSRC2:TGID_Z_EN: 0
; COMPUTE_PGM_RSRC2:TIDIG_COMP_CNT: 0
	.section	.text._ZN7rocprim17ROCPRIM_400000_NS6detail17trampoline_kernelINS0_14default_configENS1_27upper_bound_config_selectorIslEEZNS1_14transform_implILb0ES3_S5_N6thrust23THRUST_200600_302600_NS17counting_iteratorIsNS8_11use_defaultESA_SA_EEPlZNS1_13binary_searchIS3_S5_PsSB_SC_NS1_21upper_bound_search_opENS8_6detail16wrapped_functionINS0_4lessIvEEbEEEE10hipError_tPvRmT1_T2_T3_mmT4_T5_P12ihipStream_tbEUlRKsE_EESL_SP_SQ_mSR_SU_bEUlT_E_NS1_11comp_targetILNS1_3genE4ELNS1_11target_archE910ELNS1_3gpuE8ELNS1_3repE0EEENS1_30default_config_static_selectorELNS0_4arch9wavefront6targetE0EEEvSO_,"axG",@progbits,_ZN7rocprim17ROCPRIM_400000_NS6detail17trampoline_kernelINS0_14default_configENS1_27upper_bound_config_selectorIslEEZNS1_14transform_implILb0ES3_S5_N6thrust23THRUST_200600_302600_NS17counting_iteratorIsNS8_11use_defaultESA_SA_EEPlZNS1_13binary_searchIS3_S5_PsSB_SC_NS1_21upper_bound_search_opENS8_6detail16wrapped_functionINS0_4lessIvEEbEEEE10hipError_tPvRmT1_T2_T3_mmT4_T5_P12ihipStream_tbEUlRKsE_EESL_SP_SQ_mSR_SU_bEUlT_E_NS1_11comp_targetILNS1_3genE4ELNS1_11target_archE910ELNS1_3gpuE8ELNS1_3repE0EEENS1_30default_config_static_selectorELNS0_4arch9wavefront6targetE0EEEvSO_,comdat
	.protected	_ZN7rocprim17ROCPRIM_400000_NS6detail17trampoline_kernelINS0_14default_configENS1_27upper_bound_config_selectorIslEEZNS1_14transform_implILb0ES3_S5_N6thrust23THRUST_200600_302600_NS17counting_iteratorIsNS8_11use_defaultESA_SA_EEPlZNS1_13binary_searchIS3_S5_PsSB_SC_NS1_21upper_bound_search_opENS8_6detail16wrapped_functionINS0_4lessIvEEbEEEE10hipError_tPvRmT1_T2_T3_mmT4_T5_P12ihipStream_tbEUlRKsE_EESL_SP_SQ_mSR_SU_bEUlT_E_NS1_11comp_targetILNS1_3genE4ELNS1_11target_archE910ELNS1_3gpuE8ELNS1_3repE0EEENS1_30default_config_static_selectorELNS0_4arch9wavefront6targetE0EEEvSO_ ; -- Begin function _ZN7rocprim17ROCPRIM_400000_NS6detail17trampoline_kernelINS0_14default_configENS1_27upper_bound_config_selectorIslEEZNS1_14transform_implILb0ES3_S5_N6thrust23THRUST_200600_302600_NS17counting_iteratorIsNS8_11use_defaultESA_SA_EEPlZNS1_13binary_searchIS3_S5_PsSB_SC_NS1_21upper_bound_search_opENS8_6detail16wrapped_functionINS0_4lessIvEEbEEEE10hipError_tPvRmT1_T2_T3_mmT4_T5_P12ihipStream_tbEUlRKsE_EESL_SP_SQ_mSR_SU_bEUlT_E_NS1_11comp_targetILNS1_3genE4ELNS1_11target_archE910ELNS1_3gpuE8ELNS1_3repE0EEENS1_30default_config_static_selectorELNS0_4arch9wavefront6targetE0EEEvSO_
	.globl	_ZN7rocprim17ROCPRIM_400000_NS6detail17trampoline_kernelINS0_14default_configENS1_27upper_bound_config_selectorIslEEZNS1_14transform_implILb0ES3_S5_N6thrust23THRUST_200600_302600_NS17counting_iteratorIsNS8_11use_defaultESA_SA_EEPlZNS1_13binary_searchIS3_S5_PsSB_SC_NS1_21upper_bound_search_opENS8_6detail16wrapped_functionINS0_4lessIvEEbEEEE10hipError_tPvRmT1_T2_T3_mmT4_T5_P12ihipStream_tbEUlRKsE_EESL_SP_SQ_mSR_SU_bEUlT_E_NS1_11comp_targetILNS1_3genE4ELNS1_11target_archE910ELNS1_3gpuE8ELNS1_3repE0EEENS1_30default_config_static_selectorELNS0_4arch9wavefront6targetE0EEEvSO_
	.p2align	8
	.type	_ZN7rocprim17ROCPRIM_400000_NS6detail17trampoline_kernelINS0_14default_configENS1_27upper_bound_config_selectorIslEEZNS1_14transform_implILb0ES3_S5_N6thrust23THRUST_200600_302600_NS17counting_iteratorIsNS8_11use_defaultESA_SA_EEPlZNS1_13binary_searchIS3_S5_PsSB_SC_NS1_21upper_bound_search_opENS8_6detail16wrapped_functionINS0_4lessIvEEbEEEE10hipError_tPvRmT1_T2_T3_mmT4_T5_P12ihipStream_tbEUlRKsE_EESL_SP_SQ_mSR_SU_bEUlT_E_NS1_11comp_targetILNS1_3genE4ELNS1_11target_archE910ELNS1_3gpuE8ELNS1_3repE0EEENS1_30default_config_static_selectorELNS0_4arch9wavefront6targetE0EEEvSO_,@function
_ZN7rocprim17ROCPRIM_400000_NS6detail17trampoline_kernelINS0_14default_configENS1_27upper_bound_config_selectorIslEEZNS1_14transform_implILb0ES3_S5_N6thrust23THRUST_200600_302600_NS17counting_iteratorIsNS8_11use_defaultESA_SA_EEPlZNS1_13binary_searchIS3_S5_PsSB_SC_NS1_21upper_bound_search_opENS8_6detail16wrapped_functionINS0_4lessIvEEbEEEE10hipError_tPvRmT1_T2_T3_mmT4_T5_P12ihipStream_tbEUlRKsE_EESL_SP_SQ_mSR_SU_bEUlT_E_NS1_11comp_targetILNS1_3genE4ELNS1_11target_archE910ELNS1_3gpuE8ELNS1_3repE0EEENS1_30default_config_static_selectorELNS0_4arch9wavefront6targetE0EEEvSO_: ; @_ZN7rocprim17ROCPRIM_400000_NS6detail17trampoline_kernelINS0_14default_configENS1_27upper_bound_config_selectorIslEEZNS1_14transform_implILb0ES3_S5_N6thrust23THRUST_200600_302600_NS17counting_iteratorIsNS8_11use_defaultESA_SA_EEPlZNS1_13binary_searchIS3_S5_PsSB_SC_NS1_21upper_bound_search_opENS8_6detail16wrapped_functionINS0_4lessIvEEbEEEE10hipError_tPvRmT1_T2_T3_mmT4_T5_P12ihipStream_tbEUlRKsE_EESL_SP_SQ_mSR_SU_bEUlT_E_NS1_11comp_targetILNS1_3genE4ELNS1_11target_archE910ELNS1_3gpuE8ELNS1_3repE0EEENS1_30default_config_static_selectorELNS0_4arch9wavefront6targetE0EEEvSO_
; %bb.0:
	.section	.rodata,"a",@progbits
	.p2align	6, 0x0
	.amdhsa_kernel _ZN7rocprim17ROCPRIM_400000_NS6detail17trampoline_kernelINS0_14default_configENS1_27upper_bound_config_selectorIslEEZNS1_14transform_implILb0ES3_S5_N6thrust23THRUST_200600_302600_NS17counting_iteratorIsNS8_11use_defaultESA_SA_EEPlZNS1_13binary_searchIS3_S5_PsSB_SC_NS1_21upper_bound_search_opENS8_6detail16wrapped_functionINS0_4lessIvEEbEEEE10hipError_tPvRmT1_T2_T3_mmT4_T5_P12ihipStream_tbEUlRKsE_EESL_SP_SQ_mSR_SU_bEUlT_E_NS1_11comp_targetILNS1_3genE4ELNS1_11target_archE910ELNS1_3gpuE8ELNS1_3repE0EEENS1_30default_config_static_selectorELNS0_4arch9wavefront6targetE0EEEvSO_
		.amdhsa_group_segment_fixed_size 0
		.amdhsa_private_segment_fixed_size 0
		.amdhsa_kernarg_size 56
		.amdhsa_user_sgpr_count 15
		.amdhsa_user_sgpr_dispatch_ptr 0
		.amdhsa_user_sgpr_queue_ptr 0
		.amdhsa_user_sgpr_kernarg_segment_ptr 1
		.amdhsa_user_sgpr_dispatch_id 0
		.amdhsa_user_sgpr_private_segment_size 0
		.amdhsa_wavefront_size32 1
		.amdhsa_uses_dynamic_stack 0
		.amdhsa_enable_private_segment 0
		.amdhsa_system_sgpr_workgroup_id_x 1
		.amdhsa_system_sgpr_workgroup_id_y 0
		.amdhsa_system_sgpr_workgroup_id_z 0
		.amdhsa_system_sgpr_workgroup_info 0
		.amdhsa_system_vgpr_workitem_id 0
		.amdhsa_next_free_vgpr 1
		.amdhsa_next_free_sgpr 1
		.amdhsa_reserve_vcc 0
		.amdhsa_float_round_mode_32 0
		.amdhsa_float_round_mode_16_64 0
		.amdhsa_float_denorm_mode_32 3
		.amdhsa_float_denorm_mode_16_64 3
		.amdhsa_dx10_clamp 1
		.amdhsa_ieee_mode 1
		.amdhsa_fp16_overflow 0
		.amdhsa_workgroup_processor_mode 1
		.amdhsa_memory_ordered 1
		.amdhsa_forward_progress 0
		.amdhsa_shared_vgpr_count 0
		.amdhsa_exception_fp_ieee_invalid_op 0
		.amdhsa_exception_fp_denorm_src 0
		.amdhsa_exception_fp_ieee_div_zero 0
		.amdhsa_exception_fp_ieee_overflow 0
		.amdhsa_exception_fp_ieee_underflow 0
		.amdhsa_exception_fp_ieee_inexact 0
		.amdhsa_exception_int_div_zero 0
	.end_amdhsa_kernel
	.section	.text._ZN7rocprim17ROCPRIM_400000_NS6detail17trampoline_kernelINS0_14default_configENS1_27upper_bound_config_selectorIslEEZNS1_14transform_implILb0ES3_S5_N6thrust23THRUST_200600_302600_NS17counting_iteratorIsNS8_11use_defaultESA_SA_EEPlZNS1_13binary_searchIS3_S5_PsSB_SC_NS1_21upper_bound_search_opENS8_6detail16wrapped_functionINS0_4lessIvEEbEEEE10hipError_tPvRmT1_T2_T3_mmT4_T5_P12ihipStream_tbEUlRKsE_EESL_SP_SQ_mSR_SU_bEUlT_E_NS1_11comp_targetILNS1_3genE4ELNS1_11target_archE910ELNS1_3gpuE8ELNS1_3repE0EEENS1_30default_config_static_selectorELNS0_4arch9wavefront6targetE0EEEvSO_,"axG",@progbits,_ZN7rocprim17ROCPRIM_400000_NS6detail17trampoline_kernelINS0_14default_configENS1_27upper_bound_config_selectorIslEEZNS1_14transform_implILb0ES3_S5_N6thrust23THRUST_200600_302600_NS17counting_iteratorIsNS8_11use_defaultESA_SA_EEPlZNS1_13binary_searchIS3_S5_PsSB_SC_NS1_21upper_bound_search_opENS8_6detail16wrapped_functionINS0_4lessIvEEbEEEE10hipError_tPvRmT1_T2_T3_mmT4_T5_P12ihipStream_tbEUlRKsE_EESL_SP_SQ_mSR_SU_bEUlT_E_NS1_11comp_targetILNS1_3genE4ELNS1_11target_archE910ELNS1_3gpuE8ELNS1_3repE0EEENS1_30default_config_static_selectorELNS0_4arch9wavefront6targetE0EEEvSO_,comdat
.Lfunc_end161:
	.size	_ZN7rocprim17ROCPRIM_400000_NS6detail17trampoline_kernelINS0_14default_configENS1_27upper_bound_config_selectorIslEEZNS1_14transform_implILb0ES3_S5_N6thrust23THRUST_200600_302600_NS17counting_iteratorIsNS8_11use_defaultESA_SA_EEPlZNS1_13binary_searchIS3_S5_PsSB_SC_NS1_21upper_bound_search_opENS8_6detail16wrapped_functionINS0_4lessIvEEbEEEE10hipError_tPvRmT1_T2_T3_mmT4_T5_P12ihipStream_tbEUlRKsE_EESL_SP_SQ_mSR_SU_bEUlT_E_NS1_11comp_targetILNS1_3genE4ELNS1_11target_archE910ELNS1_3gpuE8ELNS1_3repE0EEENS1_30default_config_static_selectorELNS0_4arch9wavefront6targetE0EEEvSO_, .Lfunc_end161-_ZN7rocprim17ROCPRIM_400000_NS6detail17trampoline_kernelINS0_14default_configENS1_27upper_bound_config_selectorIslEEZNS1_14transform_implILb0ES3_S5_N6thrust23THRUST_200600_302600_NS17counting_iteratorIsNS8_11use_defaultESA_SA_EEPlZNS1_13binary_searchIS3_S5_PsSB_SC_NS1_21upper_bound_search_opENS8_6detail16wrapped_functionINS0_4lessIvEEbEEEE10hipError_tPvRmT1_T2_T3_mmT4_T5_P12ihipStream_tbEUlRKsE_EESL_SP_SQ_mSR_SU_bEUlT_E_NS1_11comp_targetILNS1_3genE4ELNS1_11target_archE910ELNS1_3gpuE8ELNS1_3repE0EEENS1_30default_config_static_selectorELNS0_4arch9wavefront6targetE0EEEvSO_
                                        ; -- End function
	.section	.AMDGPU.csdata,"",@progbits
; Kernel info:
; codeLenInByte = 0
; NumSgprs: 0
; NumVgprs: 0
; ScratchSize: 0
; MemoryBound: 0
; FloatMode: 240
; IeeeMode: 1
; LDSByteSize: 0 bytes/workgroup (compile time only)
; SGPRBlocks: 0
; VGPRBlocks: 0
; NumSGPRsForWavesPerEU: 1
; NumVGPRsForWavesPerEU: 1
; Occupancy: 16
; WaveLimiterHint : 0
; COMPUTE_PGM_RSRC2:SCRATCH_EN: 0
; COMPUTE_PGM_RSRC2:USER_SGPR: 15
; COMPUTE_PGM_RSRC2:TRAP_HANDLER: 0
; COMPUTE_PGM_RSRC2:TGID_X_EN: 1
; COMPUTE_PGM_RSRC2:TGID_Y_EN: 0
; COMPUTE_PGM_RSRC2:TGID_Z_EN: 0
; COMPUTE_PGM_RSRC2:TIDIG_COMP_CNT: 0
	.section	.text._ZN7rocprim17ROCPRIM_400000_NS6detail17trampoline_kernelINS0_14default_configENS1_27upper_bound_config_selectorIslEEZNS1_14transform_implILb0ES3_S5_N6thrust23THRUST_200600_302600_NS17counting_iteratorIsNS8_11use_defaultESA_SA_EEPlZNS1_13binary_searchIS3_S5_PsSB_SC_NS1_21upper_bound_search_opENS8_6detail16wrapped_functionINS0_4lessIvEEbEEEE10hipError_tPvRmT1_T2_T3_mmT4_T5_P12ihipStream_tbEUlRKsE_EESL_SP_SQ_mSR_SU_bEUlT_E_NS1_11comp_targetILNS1_3genE3ELNS1_11target_archE908ELNS1_3gpuE7ELNS1_3repE0EEENS1_30default_config_static_selectorELNS0_4arch9wavefront6targetE0EEEvSO_,"axG",@progbits,_ZN7rocprim17ROCPRIM_400000_NS6detail17trampoline_kernelINS0_14default_configENS1_27upper_bound_config_selectorIslEEZNS1_14transform_implILb0ES3_S5_N6thrust23THRUST_200600_302600_NS17counting_iteratorIsNS8_11use_defaultESA_SA_EEPlZNS1_13binary_searchIS3_S5_PsSB_SC_NS1_21upper_bound_search_opENS8_6detail16wrapped_functionINS0_4lessIvEEbEEEE10hipError_tPvRmT1_T2_T3_mmT4_T5_P12ihipStream_tbEUlRKsE_EESL_SP_SQ_mSR_SU_bEUlT_E_NS1_11comp_targetILNS1_3genE3ELNS1_11target_archE908ELNS1_3gpuE7ELNS1_3repE0EEENS1_30default_config_static_selectorELNS0_4arch9wavefront6targetE0EEEvSO_,comdat
	.protected	_ZN7rocprim17ROCPRIM_400000_NS6detail17trampoline_kernelINS0_14default_configENS1_27upper_bound_config_selectorIslEEZNS1_14transform_implILb0ES3_S5_N6thrust23THRUST_200600_302600_NS17counting_iteratorIsNS8_11use_defaultESA_SA_EEPlZNS1_13binary_searchIS3_S5_PsSB_SC_NS1_21upper_bound_search_opENS8_6detail16wrapped_functionINS0_4lessIvEEbEEEE10hipError_tPvRmT1_T2_T3_mmT4_T5_P12ihipStream_tbEUlRKsE_EESL_SP_SQ_mSR_SU_bEUlT_E_NS1_11comp_targetILNS1_3genE3ELNS1_11target_archE908ELNS1_3gpuE7ELNS1_3repE0EEENS1_30default_config_static_selectorELNS0_4arch9wavefront6targetE0EEEvSO_ ; -- Begin function _ZN7rocprim17ROCPRIM_400000_NS6detail17trampoline_kernelINS0_14default_configENS1_27upper_bound_config_selectorIslEEZNS1_14transform_implILb0ES3_S5_N6thrust23THRUST_200600_302600_NS17counting_iteratorIsNS8_11use_defaultESA_SA_EEPlZNS1_13binary_searchIS3_S5_PsSB_SC_NS1_21upper_bound_search_opENS8_6detail16wrapped_functionINS0_4lessIvEEbEEEE10hipError_tPvRmT1_T2_T3_mmT4_T5_P12ihipStream_tbEUlRKsE_EESL_SP_SQ_mSR_SU_bEUlT_E_NS1_11comp_targetILNS1_3genE3ELNS1_11target_archE908ELNS1_3gpuE7ELNS1_3repE0EEENS1_30default_config_static_selectorELNS0_4arch9wavefront6targetE0EEEvSO_
	.globl	_ZN7rocprim17ROCPRIM_400000_NS6detail17trampoline_kernelINS0_14default_configENS1_27upper_bound_config_selectorIslEEZNS1_14transform_implILb0ES3_S5_N6thrust23THRUST_200600_302600_NS17counting_iteratorIsNS8_11use_defaultESA_SA_EEPlZNS1_13binary_searchIS3_S5_PsSB_SC_NS1_21upper_bound_search_opENS8_6detail16wrapped_functionINS0_4lessIvEEbEEEE10hipError_tPvRmT1_T2_T3_mmT4_T5_P12ihipStream_tbEUlRKsE_EESL_SP_SQ_mSR_SU_bEUlT_E_NS1_11comp_targetILNS1_3genE3ELNS1_11target_archE908ELNS1_3gpuE7ELNS1_3repE0EEENS1_30default_config_static_selectorELNS0_4arch9wavefront6targetE0EEEvSO_
	.p2align	8
	.type	_ZN7rocprim17ROCPRIM_400000_NS6detail17trampoline_kernelINS0_14default_configENS1_27upper_bound_config_selectorIslEEZNS1_14transform_implILb0ES3_S5_N6thrust23THRUST_200600_302600_NS17counting_iteratorIsNS8_11use_defaultESA_SA_EEPlZNS1_13binary_searchIS3_S5_PsSB_SC_NS1_21upper_bound_search_opENS8_6detail16wrapped_functionINS0_4lessIvEEbEEEE10hipError_tPvRmT1_T2_T3_mmT4_T5_P12ihipStream_tbEUlRKsE_EESL_SP_SQ_mSR_SU_bEUlT_E_NS1_11comp_targetILNS1_3genE3ELNS1_11target_archE908ELNS1_3gpuE7ELNS1_3repE0EEENS1_30default_config_static_selectorELNS0_4arch9wavefront6targetE0EEEvSO_,@function
_ZN7rocprim17ROCPRIM_400000_NS6detail17trampoline_kernelINS0_14default_configENS1_27upper_bound_config_selectorIslEEZNS1_14transform_implILb0ES3_S5_N6thrust23THRUST_200600_302600_NS17counting_iteratorIsNS8_11use_defaultESA_SA_EEPlZNS1_13binary_searchIS3_S5_PsSB_SC_NS1_21upper_bound_search_opENS8_6detail16wrapped_functionINS0_4lessIvEEbEEEE10hipError_tPvRmT1_T2_T3_mmT4_T5_P12ihipStream_tbEUlRKsE_EESL_SP_SQ_mSR_SU_bEUlT_E_NS1_11comp_targetILNS1_3genE3ELNS1_11target_archE908ELNS1_3gpuE7ELNS1_3repE0EEENS1_30default_config_static_selectorELNS0_4arch9wavefront6targetE0EEEvSO_: ; @_ZN7rocprim17ROCPRIM_400000_NS6detail17trampoline_kernelINS0_14default_configENS1_27upper_bound_config_selectorIslEEZNS1_14transform_implILb0ES3_S5_N6thrust23THRUST_200600_302600_NS17counting_iteratorIsNS8_11use_defaultESA_SA_EEPlZNS1_13binary_searchIS3_S5_PsSB_SC_NS1_21upper_bound_search_opENS8_6detail16wrapped_functionINS0_4lessIvEEbEEEE10hipError_tPvRmT1_T2_T3_mmT4_T5_P12ihipStream_tbEUlRKsE_EESL_SP_SQ_mSR_SU_bEUlT_E_NS1_11comp_targetILNS1_3genE3ELNS1_11target_archE908ELNS1_3gpuE7ELNS1_3repE0EEENS1_30default_config_static_selectorELNS0_4arch9wavefront6targetE0EEEvSO_
; %bb.0:
	.section	.rodata,"a",@progbits
	.p2align	6, 0x0
	.amdhsa_kernel _ZN7rocprim17ROCPRIM_400000_NS6detail17trampoline_kernelINS0_14default_configENS1_27upper_bound_config_selectorIslEEZNS1_14transform_implILb0ES3_S5_N6thrust23THRUST_200600_302600_NS17counting_iteratorIsNS8_11use_defaultESA_SA_EEPlZNS1_13binary_searchIS3_S5_PsSB_SC_NS1_21upper_bound_search_opENS8_6detail16wrapped_functionINS0_4lessIvEEbEEEE10hipError_tPvRmT1_T2_T3_mmT4_T5_P12ihipStream_tbEUlRKsE_EESL_SP_SQ_mSR_SU_bEUlT_E_NS1_11comp_targetILNS1_3genE3ELNS1_11target_archE908ELNS1_3gpuE7ELNS1_3repE0EEENS1_30default_config_static_selectorELNS0_4arch9wavefront6targetE0EEEvSO_
		.amdhsa_group_segment_fixed_size 0
		.amdhsa_private_segment_fixed_size 0
		.amdhsa_kernarg_size 56
		.amdhsa_user_sgpr_count 15
		.amdhsa_user_sgpr_dispatch_ptr 0
		.amdhsa_user_sgpr_queue_ptr 0
		.amdhsa_user_sgpr_kernarg_segment_ptr 1
		.amdhsa_user_sgpr_dispatch_id 0
		.amdhsa_user_sgpr_private_segment_size 0
		.amdhsa_wavefront_size32 1
		.amdhsa_uses_dynamic_stack 0
		.amdhsa_enable_private_segment 0
		.amdhsa_system_sgpr_workgroup_id_x 1
		.amdhsa_system_sgpr_workgroup_id_y 0
		.amdhsa_system_sgpr_workgroup_id_z 0
		.amdhsa_system_sgpr_workgroup_info 0
		.amdhsa_system_vgpr_workitem_id 0
		.amdhsa_next_free_vgpr 1
		.amdhsa_next_free_sgpr 1
		.amdhsa_reserve_vcc 0
		.amdhsa_float_round_mode_32 0
		.amdhsa_float_round_mode_16_64 0
		.amdhsa_float_denorm_mode_32 3
		.amdhsa_float_denorm_mode_16_64 3
		.amdhsa_dx10_clamp 1
		.amdhsa_ieee_mode 1
		.amdhsa_fp16_overflow 0
		.amdhsa_workgroup_processor_mode 1
		.amdhsa_memory_ordered 1
		.amdhsa_forward_progress 0
		.amdhsa_shared_vgpr_count 0
		.amdhsa_exception_fp_ieee_invalid_op 0
		.amdhsa_exception_fp_denorm_src 0
		.amdhsa_exception_fp_ieee_div_zero 0
		.amdhsa_exception_fp_ieee_overflow 0
		.amdhsa_exception_fp_ieee_underflow 0
		.amdhsa_exception_fp_ieee_inexact 0
		.amdhsa_exception_int_div_zero 0
	.end_amdhsa_kernel
	.section	.text._ZN7rocprim17ROCPRIM_400000_NS6detail17trampoline_kernelINS0_14default_configENS1_27upper_bound_config_selectorIslEEZNS1_14transform_implILb0ES3_S5_N6thrust23THRUST_200600_302600_NS17counting_iteratorIsNS8_11use_defaultESA_SA_EEPlZNS1_13binary_searchIS3_S5_PsSB_SC_NS1_21upper_bound_search_opENS8_6detail16wrapped_functionINS0_4lessIvEEbEEEE10hipError_tPvRmT1_T2_T3_mmT4_T5_P12ihipStream_tbEUlRKsE_EESL_SP_SQ_mSR_SU_bEUlT_E_NS1_11comp_targetILNS1_3genE3ELNS1_11target_archE908ELNS1_3gpuE7ELNS1_3repE0EEENS1_30default_config_static_selectorELNS0_4arch9wavefront6targetE0EEEvSO_,"axG",@progbits,_ZN7rocprim17ROCPRIM_400000_NS6detail17trampoline_kernelINS0_14default_configENS1_27upper_bound_config_selectorIslEEZNS1_14transform_implILb0ES3_S5_N6thrust23THRUST_200600_302600_NS17counting_iteratorIsNS8_11use_defaultESA_SA_EEPlZNS1_13binary_searchIS3_S5_PsSB_SC_NS1_21upper_bound_search_opENS8_6detail16wrapped_functionINS0_4lessIvEEbEEEE10hipError_tPvRmT1_T2_T3_mmT4_T5_P12ihipStream_tbEUlRKsE_EESL_SP_SQ_mSR_SU_bEUlT_E_NS1_11comp_targetILNS1_3genE3ELNS1_11target_archE908ELNS1_3gpuE7ELNS1_3repE0EEENS1_30default_config_static_selectorELNS0_4arch9wavefront6targetE0EEEvSO_,comdat
.Lfunc_end162:
	.size	_ZN7rocprim17ROCPRIM_400000_NS6detail17trampoline_kernelINS0_14default_configENS1_27upper_bound_config_selectorIslEEZNS1_14transform_implILb0ES3_S5_N6thrust23THRUST_200600_302600_NS17counting_iteratorIsNS8_11use_defaultESA_SA_EEPlZNS1_13binary_searchIS3_S5_PsSB_SC_NS1_21upper_bound_search_opENS8_6detail16wrapped_functionINS0_4lessIvEEbEEEE10hipError_tPvRmT1_T2_T3_mmT4_T5_P12ihipStream_tbEUlRKsE_EESL_SP_SQ_mSR_SU_bEUlT_E_NS1_11comp_targetILNS1_3genE3ELNS1_11target_archE908ELNS1_3gpuE7ELNS1_3repE0EEENS1_30default_config_static_selectorELNS0_4arch9wavefront6targetE0EEEvSO_, .Lfunc_end162-_ZN7rocprim17ROCPRIM_400000_NS6detail17trampoline_kernelINS0_14default_configENS1_27upper_bound_config_selectorIslEEZNS1_14transform_implILb0ES3_S5_N6thrust23THRUST_200600_302600_NS17counting_iteratorIsNS8_11use_defaultESA_SA_EEPlZNS1_13binary_searchIS3_S5_PsSB_SC_NS1_21upper_bound_search_opENS8_6detail16wrapped_functionINS0_4lessIvEEbEEEE10hipError_tPvRmT1_T2_T3_mmT4_T5_P12ihipStream_tbEUlRKsE_EESL_SP_SQ_mSR_SU_bEUlT_E_NS1_11comp_targetILNS1_3genE3ELNS1_11target_archE908ELNS1_3gpuE7ELNS1_3repE0EEENS1_30default_config_static_selectorELNS0_4arch9wavefront6targetE0EEEvSO_
                                        ; -- End function
	.section	.AMDGPU.csdata,"",@progbits
; Kernel info:
; codeLenInByte = 0
; NumSgprs: 0
; NumVgprs: 0
; ScratchSize: 0
; MemoryBound: 0
; FloatMode: 240
; IeeeMode: 1
; LDSByteSize: 0 bytes/workgroup (compile time only)
; SGPRBlocks: 0
; VGPRBlocks: 0
; NumSGPRsForWavesPerEU: 1
; NumVGPRsForWavesPerEU: 1
; Occupancy: 16
; WaveLimiterHint : 0
; COMPUTE_PGM_RSRC2:SCRATCH_EN: 0
; COMPUTE_PGM_RSRC2:USER_SGPR: 15
; COMPUTE_PGM_RSRC2:TRAP_HANDLER: 0
; COMPUTE_PGM_RSRC2:TGID_X_EN: 1
; COMPUTE_PGM_RSRC2:TGID_Y_EN: 0
; COMPUTE_PGM_RSRC2:TGID_Z_EN: 0
; COMPUTE_PGM_RSRC2:TIDIG_COMP_CNT: 0
	.section	.text._ZN7rocprim17ROCPRIM_400000_NS6detail17trampoline_kernelINS0_14default_configENS1_27upper_bound_config_selectorIslEEZNS1_14transform_implILb0ES3_S5_N6thrust23THRUST_200600_302600_NS17counting_iteratorIsNS8_11use_defaultESA_SA_EEPlZNS1_13binary_searchIS3_S5_PsSB_SC_NS1_21upper_bound_search_opENS8_6detail16wrapped_functionINS0_4lessIvEEbEEEE10hipError_tPvRmT1_T2_T3_mmT4_T5_P12ihipStream_tbEUlRKsE_EESL_SP_SQ_mSR_SU_bEUlT_E_NS1_11comp_targetILNS1_3genE2ELNS1_11target_archE906ELNS1_3gpuE6ELNS1_3repE0EEENS1_30default_config_static_selectorELNS0_4arch9wavefront6targetE0EEEvSO_,"axG",@progbits,_ZN7rocprim17ROCPRIM_400000_NS6detail17trampoline_kernelINS0_14default_configENS1_27upper_bound_config_selectorIslEEZNS1_14transform_implILb0ES3_S5_N6thrust23THRUST_200600_302600_NS17counting_iteratorIsNS8_11use_defaultESA_SA_EEPlZNS1_13binary_searchIS3_S5_PsSB_SC_NS1_21upper_bound_search_opENS8_6detail16wrapped_functionINS0_4lessIvEEbEEEE10hipError_tPvRmT1_T2_T3_mmT4_T5_P12ihipStream_tbEUlRKsE_EESL_SP_SQ_mSR_SU_bEUlT_E_NS1_11comp_targetILNS1_3genE2ELNS1_11target_archE906ELNS1_3gpuE6ELNS1_3repE0EEENS1_30default_config_static_selectorELNS0_4arch9wavefront6targetE0EEEvSO_,comdat
	.protected	_ZN7rocprim17ROCPRIM_400000_NS6detail17trampoline_kernelINS0_14default_configENS1_27upper_bound_config_selectorIslEEZNS1_14transform_implILb0ES3_S5_N6thrust23THRUST_200600_302600_NS17counting_iteratorIsNS8_11use_defaultESA_SA_EEPlZNS1_13binary_searchIS3_S5_PsSB_SC_NS1_21upper_bound_search_opENS8_6detail16wrapped_functionINS0_4lessIvEEbEEEE10hipError_tPvRmT1_T2_T3_mmT4_T5_P12ihipStream_tbEUlRKsE_EESL_SP_SQ_mSR_SU_bEUlT_E_NS1_11comp_targetILNS1_3genE2ELNS1_11target_archE906ELNS1_3gpuE6ELNS1_3repE0EEENS1_30default_config_static_selectorELNS0_4arch9wavefront6targetE0EEEvSO_ ; -- Begin function _ZN7rocprim17ROCPRIM_400000_NS6detail17trampoline_kernelINS0_14default_configENS1_27upper_bound_config_selectorIslEEZNS1_14transform_implILb0ES3_S5_N6thrust23THRUST_200600_302600_NS17counting_iteratorIsNS8_11use_defaultESA_SA_EEPlZNS1_13binary_searchIS3_S5_PsSB_SC_NS1_21upper_bound_search_opENS8_6detail16wrapped_functionINS0_4lessIvEEbEEEE10hipError_tPvRmT1_T2_T3_mmT4_T5_P12ihipStream_tbEUlRKsE_EESL_SP_SQ_mSR_SU_bEUlT_E_NS1_11comp_targetILNS1_3genE2ELNS1_11target_archE906ELNS1_3gpuE6ELNS1_3repE0EEENS1_30default_config_static_selectorELNS0_4arch9wavefront6targetE0EEEvSO_
	.globl	_ZN7rocprim17ROCPRIM_400000_NS6detail17trampoline_kernelINS0_14default_configENS1_27upper_bound_config_selectorIslEEZNS1_14transform_implILb0ES3_S5_N6thrust23THRUST_200600_302600_NS17counting_iteratorIsNS8_11use_defaultESA_SA_EEPlZNS1_13binary_searchIS3_S5_PsSB_SC_NS1_21upper_bound_search_opENS8_6detail16wrapped_functionINS0_4lessIvEEbEEEE10hipError_tPvRmT1_T2_T3_mmT4_T5_P12ihipStream_tbEUlRKsE_EESL_SP_SQ_mSR_SU_bEUlT_E_NS1_11comp_targetILNS1_3genE2ELNS1_11target_archE906ELNS1_3gpuE6ELNS1_3repE0EEENS1_30default_config_static_selectorELNS0_4arch9wavefront6targetE0EEEvSO_
	.p2align	8
	.type	_ZN7rocprim17ROCPRIM_400000_NS6detail17trampoline_kernelINS0_14default_configENS1_27upper_bound_config_selectorIslEEZNS1_14transform_implILb0ES3_S5_N6thrust23THRUST_200600_302600_NS17counting_iteratorIsNS8_11use_defaultESA_SA_EEPlZNS1_13binary_searchIS3_S5_PsSB_SC_NS1_21upper_bound_search_opENS8_6detail16wrapped_functionINS0_4lessIvEEbEEEE10hipError_tPvRmT1_T2_T3_mmT4_T5_P12ihipStream_tbEUlRKsE_EESL_SP_SQ_mSR_SU_bEUlT_E_NS1_11comp_targetILNS1_3genE2ELNS1_11target_archE906ELNS1_3gpuE6ELNS1_3repE0EEENS1_30default_config_static_selectorELNS0_4arch9wavefront6targetE0EEEvSO_,@function
_ZN7rocprim17ROCPRIM_400000_NS6detail17trampoline_kernelINS0_14default_configENS1_27upper_bound_config_selectorIslEEZNS1_14transform_implILb0ES3_S5_N6thrust23THRUST_200600_302600_NS17counting_iteratorIsNS8_11use_defaultESA_SA_EEPlZNS1_13binary_searchIS3_S5_PsSB_SC_NS1_21upper_bound_search_opENS8_6detail16wrapped_functionINS0_4lessIvEEbEEEE10hipError_tPvRmT1_T2_T3_mmT4_T5_P12ihipStream_tbEUlRKsE_EESL_SP_SQ_mSR_SU_bEUlT_E_NS1_11comp_targetILNS1_3genE2ELNS1_11target_archE906ELNS1_3gpuE6ELNS1_3repE0EEENS1_30default_config_static_selectorELNS0_4arch9wavefront6targetE0EEEvSO_: ; @_ZN7rocprim17ROCPRIM_400000_NS6detail17trampoline_kernelINS0_14default_configENS1_27upper_bound_config_selectorIslEEZNS1_14transform_implILb0ES3_S5_N6thrust23THRUST_200600_302600_NS17counting_iteratorIsNS8_11use_defaultESA_SA_EEPlZNS1_13binary_searchIS3_S5_PsSB_SC_NS1_21upper_bound_search_opENS8_6detail16wrapped_functionINS0_4lessIvEEbEEEE10hipError_tPvRmT1_T2_T3_mmT4_T5_P12ihipStream_tbEUlRKsE_EESL_SP_SQ_mSR_SU_bEUlT_E_NS1_11comp_targetILNS1_3genE2ELNS1_11target_archE906ELNS1_3gpuE6ELNS1_3repE0EEENS1_30default_config_static_selectorELNS0_4arch9wavefront6targetE0EEEvSO_
; %bb.0:
	.section	.rodata,"a",@progbits
	.p2align	6, 0x0
	.amdhsa_kernel _ZN7rocprim17ROCPRIM_400000_NS6detail17trampoline_kernelINS0_14default_configENS1_27upper_bound_config_selectorIslEEZNS1_14transform_implILb0ES3_S5_N6thrust23THRUST_200600_302600_NS17counting_iteratorIsNS8_11use_defaultESA_SA_EEPlZNS1_13binary_searchIS3_S5_PsSB_SC_NS1_21upper_bound_search_opENS8_6detail16wrapped_functionINS0_4lessIvEEbEEEE10hipError_tPvRmT1_T2_T3_mmT4_T5_P12ihipStream_tbEUlRKsE_EESL_SP_SQ_mSR_SU_bEUlT_E_NS1_11comp_targetILNS1_3genE2ELNS1_11target_archE906ELNS1_3gpuE6ELNS1_3repE0EEENS1_30default_config_static_selectorELNS0_4arch9wavefront6targetE0EEEvSO_
		.amdhsa_group_segment_fixed_size 0
		.amdhsa_private_segment_fixed_size 0
		.amdhsa_kernarg_size 56
		.amdhsa_user_sgpr_count 15
		.amdhsa_user_sgpr_dispatch_ptr 0
		.amdhsa_user_sgpr_queue_ptr 0
		.amdhsa_user_sgpr_kernarg_segment_ptr 1
		.amdhsa_user_sgpr_dispatch_id 0
		.amdhsa_user_sgpr_private_segment_size 0
		.amdhsa_wavefront_size32 1
		.amdhsa_uses_dynamic_stack 0
		.amdhsa_enable_private_segment 0
		.amdhsa_system_sgpr_workgroup_id_x 1
		.amdhsa_system_sgpr_workgroup_id_y 0
		.amdhsa_system_sgpr_workgroup_id_z 0
		.amdhsa_system_sgpr_workgroup_info 0
		.amdhsa_system_vgpr_workitem_id 0
		.amdhsa_next_free_vgpr 1
		.amdhsa_next_free_sgpr 1
		.amdhsa_reserve_vcc 0
		.amdhsa_float_round_mode_32 0
		.amdhsa_float_round_mode_16_64 0
		.amdhsa_float_denorm_mode_32 3
		.amdhsa_float_denorm_mode_16_64 3
		.amdhsa_dx10_clamp 1
		.amdhsa_ieee_mode 1
		.amdhsa_fp16_overflow 0
		.amdhsa_workgroup_processor_mode 1
		.amdhsa_memory_ordered 1
		.amdhsa_forward_progress 0
		.amdhsa_shared_vgpr_count 0
		.amdhsa_exception_fp_ieee_invalid_op 0
		.amdhsa_exception_fp_denorm_src 0
		.amdhsa_exception_fp_ieee_div_zero 0
		.amdhsa_exception_fp_ieee_overflow 0
		.amdhsa_exception_fp_ieee_underflow 0
		.amdhsa_exception_fp_ieee_inexact 0
		.amdhsa_exception_int_div_zero 0
	.end_amdhsa_kernel
	.section	.text._ZN7rocprim17ROCPRIM_400000_NS6detail17trampoline_kernelINS0_14default_configENS1_27upper_bound_config_selectorIslEEZNS1_14transform_implILb0ES3_S5_N6thrust23THRUST_200600_302600_NS17counting_iteratorIsNS8_11use_defaultESA_SA_EEPlZNS1_13binary_searchIS3_S5_PsSB_SC_NS1_21upper_bound_search_opENS8_6detail16wrapped_functionINS0_4lessIvEEbEEEE10hipError_tPvRmT1_T2_T3_mmT4_T5_P12ihipStream_tbEUlRKsE_EESL_SP_SQ_mSR_SU_bEUlT_E_NS1_11comp_targetILNS1_3genE2ELNS1_11target_archE906ELNS1_3gpuE6ELNS1_3repE0EEENS1_30default_config_static_selectorELNS0_4arch9wavefront6targetE0EEEvSO_,"axG",@progbits,_ZN7rocprim17ROCPRIM_400000_NS6detail17trampoline_kernelINS0_14default_configENS1_27upper_bound_config_selectorIslEEZNS1_14transform_implILb0ES3_S5_N6thrust23THRUST_200600_302600_NS17counting_iteratorIsNS8_11use_defaultESA_SA_EEPlZNS1_13binary_searchIS3_S5_PsSB_SC_NS1_21upper_bound_search_opENS8_6detail16wrapped_functionINS0_4lessIvEEbEEEE10hipError_tPvRmT1_T2_T3_mmT4_T5_P12ihipStream_tbEUlRKsE_EESL_SP_SQ_mSR_SU_bEUlT_E_NS1_11comp_targetILNS1_3genE2ELNS1_11target_archE906ELNS1_3gpuE6ELNS1_3repE0EEENS1_30default_config_static_selectorELNS0_4arch9wavefront6targetE0EEEvSO_,comdat
.Lfunc_end163:
	.size	_ZN7rocprim17ROCPRIM_400000_NS6detail17trampoline_kernelINS0_14default_configENS1_27upper_bound_config_selectorIslEEZNS1_14transform_implILb0ES3_S5_N6thrust23THRUST_200600_302600_NS17counting_iteratorIsNS8_11use_defaultESA_SA_EEPlZNS1_13binary_searchIS3_S5_PsSB_SC_NS1_21upper_bound_search_opENS8_6detail16wrapped_functionINS0_4lessIvEEbEEEE10hipError_tPvRmT1_T2_T3_mmT4_T5_P12ihipStream_tbEUlRKsE_EESL_SP_SQ_mSR_SU_bEUlT_E_NS1_11comp_targetILNS1_3genE2ELNS1_11target_archE906ELNS1_3gpuE6ELNS1_3repE0EEENS1_30default_config_static_selectorELNS0_4arch9wavefront6targetE0EEEvSO_, .Lfunc_end163-_ZN7rocprim17ROCPRIM_400000_NS6detail17trampoline_kernelINS0_14default_configENS1_27upper_bound_config_selectorIslEEZNS1_14transform_implILb0ES3_S5_N6thrust23THRUST_200600_302600_NS17counting_iteratorIsNS8_11use_defaultESA_SA_EEPlZNS1_13binary_searchIS3_S5_PsSB_SC_NS1_21upper_bound_search_opENS8_6detail16wrapped_functionINS0_4lessIvEEbEEEE10hipError_tPvRmT1_T2_T3_mmT4_T5_P12ihipStream_tbEUlRKsE_EESL_SP_SQ_mSR_SU_bEUlT_E_NS1_11comp_targetILNS1_3genE2ELNS1_11target_archE906ELNS1_3gpuE6ELNS1_3repE0EEENS1_30default_config_static_selectorELNS0_4arch9wavefront6targetE0EEEvSO_
                                        ; -- End function
	.section	.AMDGPU.csdata,"",@progbits
; Kernel info:
; codeLenInByte = 0
; NumSgprs: 0
; NumVgprs: 0
; ScratchSize: 0
; MemoryBound: 0
; FloatMode: 240
; IeeeMode: 1
; LDSByteSize: 0 bytes/workgroup (compile time only)
; SGPRBlocks: 0
; VGPRBlocks: 0
; NumSGPRsForWavesPerEU: 1
; NumVGPRsForWavesPerEU: 1
; Occupancy: 16
; WaveLimiterHint : 0
; COMPUTE_PGM_RSRC2:SCRATCH_EN: 0
; COMPUTE_PGM_RSRC2:USER_SGPR: 15
; COMPUTE_PGM_RSRC2:TRAP_HANDLER: 0
; COMPUTE_PGM_RSRC2:TGID_X_EN: 1
; COMPUTE_PGM_RSRC2:TGID_Y_EN: 0
; COMPUTE_PGM_RSRC2:TGID_Z_EN: 0
; COMPUTE_PGM_RSRC2:TIDIG_COMP_CNT: 0
	.section	.text._ZN7rocprim17ROCPRIM_400000_NS6detail17trampoline_kernelINS0_14default_configENS1_27upper_bound_config_selectorIslEEZNS1_14transform_implILb0ES3_S5_N6thrust23THRUST_200600_302600_NS17counting_iteratorIsNS8_11use_defaultESA_SA_EEPlZNS1_13binary_searchIS3_S5_PsSB_SC_NS1_21upper_bound_search_opENS8_6detail16wrapped_functionINS0_4lessIvEEbEEEE10hipError_tPvRmT1_T2_T3_mmT4_T5_P12ihipStream_tbEUlRKsE_EESL_SP_SQ_mSR_SU_bEUlT_E_NS1_11comp_targetILNS1_3genE10ELNS1_11target_archE1201ELNS1_3gpuE5ELNS1_3repE0EEENS1_30default_config_static_selectorELNS0_4arch9wavefront6targetE0EEEvSO_,"axG",@progbits,_ZN7rocprim17ROCPRIM_400000_NS6detail17trampoline_kernelINS0_14default_configENS1_27upper_bound_config_selectorIslEEZNS1_14transform_implILb0ES3_S5_N6thrust23THRUST_200600_302600_NS17counting_iteratorIsNS8_11use_defaultESA_SA_EEPlZNS1_13binary_searchIS3_S5_PsSB_SC_NS1_21upper_bound_search_opENS8_6detail16wrapped_functionINS0_4lessIvEEbEEEE10hipError_tPvRmT1_T2_T3_mmT4_T5_P12ihipStream_tbEUlRKsE_EESL_SP_SQ_mSR_SU_bEUlT_E_NS1_11comp_targetILNS1_3genE10ELNS1_11target_archE1201ELNS1_3gpuE5ELNS1_3repE0EEENS1_30default_config_static_selectorELNS0_4arch9wavefront6targetE0EEEvSO_,comdat
	.protected	_ZN7rocprim17ROCPRIM_400000_NS6detail17trampoline_kernelINS0_14default_configENS1_27upper_bound_config_selectorIslEEZNS1_14transform_implILb0ES3_S5_N6thrust23THRUST_200600_302600_NS17counting_iteratorIsNS8_11use_defaultESA_SA_EEPlZNS1_13binary_searchIS3_S5_PsSB_SC_NS1_21upper_bound_search_opENS8_6detail16wrapped_functionINS0_4lessIvEEbEEEE10hipError_tPvRmT1_T2_T3_mmT4_T5_P12ihipStream_tbEUlRKsE_EESL_SP_SQ_mSR_SU_bEUlT_E_NS1_11comp_targetILNS1_3genE10ELNS1_11target_archE1201ELNS1_3gpuE5ELNS1_3repE0EEENS1_30default_config_static_selectorELNS0_4arch9wavefront6targetE0EEEvSO_ ; -- Begin function _ZN7rocprim17ROCPRIM_400000_NS6detail17trampoline_kernelINS0_14default_configENS1_27upper_bound_config_selectorIslEEZNS1_14transform_implILb0ES3_S5_N6thrust23THRUST_200600_302600_NS17counting_iteratorIsNS8_11use_defaultESA_SA_EEPlZNS1_13binary_searchIS3_S5_PsSB_SC_NS1_21upper_bound_search_opENS8_6detail16wrapped_functionINS0_4lessIvEEbEEEE10hipError_tPvRmT1_T2_T3_mmT4_T5_P12ihipStream_tbEUlRKsE_EESL_SP_SQ_mSR_SU_bEUlT_E_NS1_11comp_targetILNS1_3genE10ELNS1_11target_archE1201ELNS1_3gpuE5ELNS1_3repE0EEENS1_30default_config_static_selectorELNS0_4arch9wavefront6targetE0EEEvSO_
	.globl	_ZN7rocprim17ROCPRIM_400000_NS6detail17trampoline_kernelINS0_14default_configENS1_27upper_bound_config_selectorIslEEZNS1_14transform_implILb0ES3_S5_N6thrust23THRUST_200600_302600_NS17counting_iteratorIsNS8_11use_defaultESA_SA_EEPlZNS1_13binary_searchIS3_S5_PsSB_SC_NS1_21upper_bound_search_opENS8_6detail16wrapped_functionINS0_4lessIvEEbEEEE10hipError_tPvRmT1_T2_T3_mmT4_T5_P12ihipStream_tbEUlRKsE_EESL_SP_SQ_mSR_SU_bEUlT_E_NS1_11comp_targetILNS1_3genE10ELNS1_11target_archE1201ELNS1_3gpuE5ELNS1_3repE0EEENS1_30default_config_static_selectorELNS0_4arch9wavefront6targetE0EEEvSO_
	.p2align	8
	.type	_ZN7rocprim17ROCPRIM_400000_NS6detail17trampoline_kernelINS0_14default_configENS1_27upper_bound_config_selectorIslEEZNS1_14transform_implILb0ES3_S5_N6thrust23THRUST_200600_302600_NS17counting_iteratorIsNS8_11use_defaultESA_SA_EEPlZNS1_13binary_searchIS3_S5_PsSB_SC_NS1_21upper_bound_search_opENS8_6detail16wrapped_functionINS0_4lessIvEEbEEEE10hipError_tPvRmT1_T2_T3_mmT4_T5_P12ihipStream_tbEUlRKsE_EESL_SP_SQ_mSR_SU_bEUlT_E_NS1_11comp_targetILNS1_3genE10ELNS1_11target_archE1201ELNS1_3gpuE5ELNS1_3repE0EEENS1_30default_config_static_selectorELNS0_4arch9wavefront6targetE0EEEvSO_,@function
_ZN7rocprim17ROCPRIM_400000_NS6detail17trampoline_kernelINS0_14default_configENS1_27upper_bound_config_selectorIslEEZNS1_14transform_implILb0ES3_S5_N6thrust23THRUST_200600_302600_NS17counting_iteratorIsNS8_11use_defaultESA_SA_EEPlZNS1_13binary_searchIS3_S5_PsSB_SC_NS1_21upper_bound_search_opENS8_6detail16wrapped_functionINS0_4lessIvEEbEEEE10hipError_tPvRmT1_T2_T3_mmT4_T5_P12ihipStream_tbEUlRKsE_EESL_SP_SQ_mSR_SU_bEUlT_E_NS1_11comp_targetILNS1_3genE10ELNS1_11target_archE1201ELNS1_3gpuE5ELNS1_3repE0EEENS1_30default_config_static_selectorELNS0_4arch9wavefront6targetE0EEEvSO_: ; @_ZN7rocprim17ROCPRIM_400000_NS6detail17trampoline_kernelINS0_14default_configENS1_27upper_bound_config_selectorIslEEZNS1_14transform_implILb0ES3_S5_N6thrust23THRUST_200600_302600_NS17counting_iteratorIsNS8_11use_defaultESA_SA_EEPlZNS1_13binary_searchIS3_S5_PsSB_SC_NS1_21upper_bound_search_opENS8_6detail16wrapped_functionINS0_4lessIvEEbEEEE10hipError_tPvRmT1_T2_T3_mmT4_T5_P12ihipStream_tbEUlRKsE_EESL_SP_SQ_mSR_SU_bEUlT_E_NS1_11comp_targetILNS1_3genE10ELNS1_11target_archE1201ELNS1_3gpuE5ELNS1_3repE0EEENS1_30default_config_static_selectorELNS0_4arch9wavefront6targetE0EEEvSO_
; %bb.0:
	.section	.rodata,"a",@progbits
	.p2align	6, 0x0
	.amdhsa_kernel _ZN7rocprim17ROCPRIM_400000_NS6detail17trampoline_kernelINS0_14default_configENS1_27upper_bound_config_selectorIslEEZNS1_14transform_implILb0ES3_S5_N6thrust23THRUST_200600_302600_NS17counting_iteratorIsNS8_11use_defaultESA_SA_EEPlZNS1_13binary_searchIS3_S5_PsSB_SC_NS1_21upper_bound_search_opENS8_6detail16wrapped_functionINS0_4lessIvEEbEEEE10hipError_tPvRmT1_T2_T3_mmT4_T5_P12ihipStream_tbEUlRKsE_EESL_SP_SQ_mSR_SU_bEUlT_E_NS1_11comp_targetILNS1_3genE10ELNS1_11target_archE1201ELNS1_3gpuE5ELNS1_3repE0EEENS1_30default_config_static_selectorELNS0_4arch9wavefront6targetE0EEEvSO_
		.amdhsa_group_segment_fixed_size 0
		.amdhsa_private_segment_fixed_size 0
		.amdhsa_kernarg_size 56
		.amdhsa_user_sgpr_count 15
		.amdhsa_user_sgpr_dispatch_ptr 0
		.amdhsa_user_sgpr_queue_ptr 0
		.amdhsa_user_sgpr_kernarg_segment_ptr 1
		.amdhsa_user_sgpr_dispatch_id 0
		.amdhsa_user_sgpr_private_segment_size 0
		.amdhsa_wavefront_size32 1
		.amdhsa_uses_dynamic_stack 0
		.amdhsa_enable_private_segment 0
		.amdhsa_system_sgpr_workgroup_id_x 1
		.amdhsa_system_sgpr_workgroup_id_y 0
		.amdhsa_system_sgpr_workgroup_id_z 0
		.amdhsa_system_sgpr_workgroup_info 0
		.amdhsa_system_vgpr_workitem_id 0
		.amdhsa_next_free_vgpr 1
		.amdhsa_next_free_sgpr 1
		.amdhsa_reserve_vcc 0
		.amdhsa_float_round_mode_32 0
		.amdhsa_float_round_mode_16_64 0
		.amdhsa_float_denorm_mode_32 3
		.amdhsa_float_denorm_mode_16_64 3
		.amdhsa_dx10_clamp 1
		.amdhsa_ieee_mode 1
		.amdhsa_fp16_overflow 0
		.amdhsa_workgroup_processor_mode 1
		.amdhsa_memory_ordered 1
		.amdhsa_forward_progress 0
		.amdhsa_shared_vgpr_count 0
		.amdhsa_exception_fp_ieee_invalid_op 0
		.amdhsa_exception_fp_denorm_src 0
		.amdhsa_exception_fp_ieee_div_zero 0
		.amdhsa_exception_fp_ieee_overflow 0
		.amdhsa_exception_fp_ieee_underflow 0
		.amdhsa_exception_fp_ieee_inexact 0
		.amdhsa_exception_int_div_zero 0
	.end_amdhsa_kernel
	.section	.text._ZN7rocprim17ROCPRIM_400000_NS6detail17trampoline_kernelINS0_14default_configENS1_27upper_bound_config_selectorIslEEZNS1_14transform_implILb0ES3_S5_N6thrust23THRUST_200600_302600_NS17counting_iteratorIsNS8_11use_defaultESA_SA_EEPlZNS1_13binary_searchIS3_S5_PsSB_SC_NS1_21upper_bound_search_opENS8_6detail16wrapped_functionINS0_4lessIvEEbEEEE10hipError_tPvRmT1_T2_T3_mmT4_T5_P12ihipStream_tbEUlRKsE_EESL_SP_SQ_mSR_SU_bEUlT_E_NS1_11comp_targetILNS1_3genE10ELNS1_11target_archE1201ELNS1_3gpuE5ELNS1_3repE0EEENS1_30default_config_static_selectorELNS0_4arch9wavefront6targetE0EEEvSO_,"axG",@progbits,_ZN7rocprim17ROCPRIM_400000_NS6detail17trampoline_kernelINS0_14default_configENS1_27upper_bound_config_selectorIslEEZNS1_14transform_implILb0ES3_S5_N6thrust23THRUST_200600_302600_NS17counting_iteratorIsNS8_11use_defaultESA_SA_EEPlZNS1_13binary_searchIS3_S5_PsSB_SC_NS1_21upper_bound_search_opENS8_6detail16wrapped_functionINS0_4lessIvEEbEEEE10hipError_tPvRmT1_T2_T3_mmT4_T5_P12ihipStream_tbEUlRKsE_EESL_SP_SQ_mSR_SU_bEUlT_E_NS1_11comp_targetILNS1_3genE10ELNS1_11target_archE1201ELNS1_3gpuE5ELNS1_3repE0EEENS1_30default_config_static_selectorELNS0_4arch9wavefront6targetE0EEEvSO_,comdat
.Lfunc_end164:
	.size	_ZN7rocprim17ROCPRIM_400000_NS6detail17trampoline_kernelINS0_14default_configENS1_27upper_bound_config_selectorIslEEZNS1_14transform_implILb0ES3_S5_N6thrust23THRUST_200600_302600_NS17counting_iteratorIsNS8_11use_defaultESA_SA_EEPlZNS1_13binary_searchIS3_S5_PsSB_SC_NS1_21upper_bound_search_opENS8_6detail16wrapped_functionINS0_4lessIvEEbEEEE10hipError_tPvRmT1_T2_T3_mmT4_T5_P12ihipStream_tbEUlRKsE_EESL_SP_SQ_mSR_SU_bEUlT_E_NS1_11comp_targetILNS1_3genE10ELNS1_11target_archE1201ELNS1_3gpuE5ELNS1_3repE0EEENS1_30default_config_static_selectorELNS0_4arch9wavefront6targetE0EEEvSO_, .Lfunc_end164-_ZN7rocprim17ROCPRIM_400000_NS6detail17trampoline_kernelINS0_14default_configENS1_27upper_bound_config_selectorIslEEZNS1_14transform_implILb0ES3_S5_N6thrust23THRUST_200600_302600_NS17counting_iteratorIsNS8_11use_defaultESA_SA_EEPlZNS1_13binary_searchIS3_S5_PsSB_SC_NS1_21upper_bound_search_opENS8_6detail16wrapped_functionINS0_4lessIvEEbEEEE10hipError_tPvRmT1_T2_T3_mmT4_T5_P12ihipStream_tbEUlRKsE_EESL_SP_SQ_mSR_SU_bEUlT_E_NS1_11comp_targetILNS1_3genE10ELNS1_11target_archE1201ELNS1_3gpuE5ELNS1_3repE0EEENS1_30default_config_static_selectorELNS0_4arch9wavefront6targetE0EEEvSO_
                                        ; -- End function
	.section	.AMDGPU.csdata,"",@progbits
; Kernel info:
; codeLenInByte = 0
; NumSgprs: 0
; NumVgprs: 0
; ScratchSize: 0
; MemoryBound: 0
; FloatMode: 240
; IeeeMode: 1
; LDSByteSize: 0 bytes/workgroup (compile time only)
; SGPRBlocks: 0
; VGPRBlocks: 0
; NumSGPRsForWavesPerEU: 1
; NumVGPRsForWavesPerEU: 1
; Occupancy: 16
; WaveLimiterHint : 0
; COMPUTE_PGM_RSRC2:SCRATCH_EN: 0
; COMPUTE_PGM_RSRC2:USER_SGPR: 15
; COMPUTE_PGM_RSRC2:TRAP_HANDLER: 0
; COMPUTE_PGM_RSRC2:TGID_X_EN: 1
; COMPUTE_PGM_RSRC2:TGID_Y_EN: 0
; COMPUTE_PGM_RSRC2:TGID_Z_EN: 0
; COMPUTE_PGM_RSRC2:TIDIG_COMP_CNT: 0
	.section	.text._ZN7rocprim17ROCPRIM_400000_NS6detail17trampoline_kernelINS0_14default_configENS1_27upper_bound_config_selectorIslEEZNS1_14transform_implILb0ES3_S5_N6thrust23THRUST_200600_302600_NS17counting_iteratorIsNS8_11use_defaultESA_SA_EEPlZNS1_13binary_searchIS3_S5_PsSB_SC_NS1_21upper_bound_search_opENS8_6detail16wrapped_functionINS0_4lessIvEEbEEEE10hipError_tPvRmT1_T2_T3_mmT4_T5_P12ihipStream_tbEUlRKsE_EESL_SP_SQ_mSR_SU_bEUlT_E_NS1_11comp_targetILNS1_3genE10ELNS1_11target_archE1200ELNS1_3gpuE4ELNS1_3repE0EEENS1_30default_config_static_selectorELNS0_4arch9wavefront6targetE0EEEvSO_,"axG",@progbits,_ZN7rocprim17ROCPRIM_400000_NS6detail17trampoline_kernelINS0_14default_configENS1_27upper_bound_config_selectorIslEEZNS1_14transform_implILb0ES3_S5_N6thrust23THRUST_200600_302600_NS17counting_iteratorIsNS8_11use_defaultESA_SA_EEPlZNS1_13binary_searchIS3_S5_PsSB_SC_NS1_21upper_bound_search_opENS8_6detail16wrapped_functionINS0_4lessIvEEbEEEE10hipError_tPvRmT1_T2_T3_mmT4_T5_P12ihipStream_tbEUlRKsE_EESL_SP_SQ_mSR_SU_bEUlT_E_NS1_11comp_targetILNS1_3genE10ELNS1_11target_archE1200ELNS1_3gpuE4ELNS1_3repE0EEENS1_30default_config_static_selectorELNS0_4arch9wavefront6targetE0EEEvSO_,comdat
	.protected	_ZN7rocprim17ROCPRIM_400000_NS6detail17trampoline_kernelINS0_14default_configENS1_27upper_bound_config_selectorIslEEZNS1_14transform_implILb0ES3_S5_N6thrust23THRUST_200600_302600_NS17counting_iteratorIsNS8_11use_defaultESA_SA_EEPlZNS1_13binary_searchIS3_S5_PsSB_SC_NS1_21upper_bound_search_opENS8_6detail16wrapped_functionINS0_4lessIvEEbEEEE10hipError_tPvRmT1_T2_T3_mmT4_T5_P12ihipStream_tbEUlRKsE_EESL_SP_SQ_mSR_SU_bEUlT_E_NS1_11comp_targetILNS1_3genE10ELNS1_11target_archE1200ELNS1_3gpuE4ELNS1_3repE0EEENS1_30default_config_static_selectorELNS0_4arch9wavefront6targetE0EEEvSO_ ; -- Begin function _ZN7rocprim17ROCPRIM_400000_NS6detail17trampoline_kernelINS0_14default_configENS1_27upper_bound_config_selectorIslEEZNS1_14transform_implILb0ES3_S5_N6thrust23THRUST_200600_302600_NS17counting_iteratorIsNS8_11use_defaultESA_SA_EEPlZNS1_13binary_searchIS3_S5_PsSB_SC_NS1_21upper_bound_search_opENS8_6detail16wrapped_functionINS0_4lessIvEEbEEEE10hipError_tPvRmT1_T2_T3_mmT4_T5_P12ihipStream_tbEUlRKsE_EESL_SP_SQ_mSR_SU_bEUlT_E_NS1_11comp_targetILNS1_3genE10ELNS1_11target_archE1200ELNS1_3gpuE4ELNS1_3repE0EEENS1_30default_config_static_selectorELNS0_4arch9wavefront6targetE0EEEvSO_
	.globl	_ZN7rocprim17ROCPRIM_400000_NS6detail17trampoline_kernelINS0_14default_configENS1_27upper_bound_config_selectorIslEEZNS1_14transform_implILb0ES3_S5_N6thrust23THRUST_200600_302600_NS17counting_iteratorIsNS8_11use_defaultESA_SA_EEPlZNS1_13binary_searchIS3_S5_PsSB_SC_NS1_21upper_bound_search_opENS8_6detail16wrapped_functionINS0_4lessIvEEbEEEE10hipError_tPvRmT1_T2_T3_mmT4_T5_P12ihipStream_tbEUlRKsE_EESL_SP_SQ_mSR_SU_bEUlT_E_NS1_11comp_targetILNS1_3genE10ELNS1_11target_archE1200ELNS1_3gpuE4ELNS1_3repE0EEENS1_30default_config_static_selectorELNS0_4arch9wavefront6targetE0EEEvSO_
	.p2align	8
	.type	_ZN7rocprim17ROCPRIM_400000_NS6detail17trampoline_kernelINS0_14default_configENS1_27upper_bound_config_selectorIslEEZNS1_14transform_implILb0ES3_S5_N6thrust23THRUST_200600_302600_NS17counting_iteratorIsNS8_11use_defaultESA_SA_EEPlZNS1_13binary_searchIS3_S5_PsSB_SC_NS1_21upper_bound_search_opENS8_6detail16wrapped_functionINS0_4lessIvEEbEEEE10hipError_tPvRmT1_T2_T3_mmT4_T5_P12ihipStream_tbEUlRKsE_EESL_SP_SQ_mSR_SU_bEUlT_E_NS1_11comp_targetILNS1_3genE10ELNS1_11target_archE1200ELNS1_3gpuE4ELNS1_3repE0EEENS1_30default_config_static_selectorELNS0_4arch9wavefront6targetE0EEEvSO_,@function
_ZN7rocprim17ROCPRIM_400000_NS6detail17trampoline_kernelINS0_14default_configENS1_27upper_bound_config_selectorIslEEZNS1_14transform_implILb0ES3_S5_N6thrust23THRUST_200600_302600_NS17counting_iteratorIsNS8_11use_defaultESA_SA_EEPlZNS1_13binary_searchIS3_S5_PsSB_SC_NS1_21upper_bound_search_opENS8_6detail16wrapped_functionINS0_4lessIvEEbEEEE10hipError_tPvRmT1_T2_T3_mmT4_T5_P12ihipStream_tbEUlRKsE_EESL_SP_SQ_mSR_SU_bEUlT_E_NS1_11comp_targetILNS1_3genE10ELNS1_11target_archE1200ELNS1_3gpuE4ELNS1_3repE0EEENS1_30default_config_static_selectorELNS0_4arch9wavefront6targetE0EEEvSO_: ; @_ZN7rocprim17ROCPRIM_400000_NS6detail17trampoline_kernelINS0_14default_configENS1_27upper_bound_config_selectorIslEEZNS1_14transform_implILb0ES3_S5_N6thrust23THRUST_200600_302600_NS17counting_iteratorIsNS8_11use_defaultESA_SA_EEPlZNS1_13binary_searchIS3_S5_PsSB_SC_NS1_21upper_bound_search_opENS8_6detail16wrapped_functionINS0_4lessIvEEbEEEE10hipError_tPvRmT1_T2_T3_mmT4_T5_P12ihipStream_tbEUlRKsE_EESL_SP_SQ_mSR_SU_bEUlT_E_NS1_11comp_targetILNS1_3genE10ELNS1_11target_archE1200ELNS1_3gpuE4ELNS1_3repE0EEENS1_30default_config_static_selectorELNS0_4arch9wavefront6targetE0EEEvSO_
; %bb.0:
	.section	.rodata,"a",@progbits
	.p2align	6, 0x0
	.amdhsa_kernel _ZN7rocprim17ROCPRIM_400000_NS6detail17trampoline_kernelINS0_14default_configENS1_27upper_bound_config_selectorIslEEZNS1_14transform_implILb0ES3_S5_N6thrust23THRUST_200600_302600_NS17counting_iteratorIsNS8_11use_defaultESA_SA_EEPlZNS1_13binary_searchIS3_S5_PsSB_SC_NS1_21upper_bound_search_opENS8_6detail16wrapped_functionINS0_4lessIvEEbEEEE10hipError_tPvRmT1_T2_T3_mmT4_T5_P12ihipStream_tbEUlRKsE_EESL_SP_SQ_mSR_SU_bEUlT_E_NS1_11comp_targetILNS1_3genE10ELNS1_11target_archE1200ELNS1_3gpuE4ELNS1_3repE0EEENS1_30default_config_static_selectorELNS0_4arch9wavefront6targetE0EEEvSO_
		.amdhsa_group_segment_fixed_size 0
		.amdhsa_private_segment_fixed_size 0
		.amdhsa_kernarg_size 56
		.amdhsa_user_sgpr_count 15
		.amdhsa_user_sgpr_dispatch_ptr 0
		.amdhsa_user_sgpr_queue_ptr 0
		.amdhsa_user_sgpr_kernarg_segment_ptr 1
		.amdhsa_user_sgpr_dispatch_id 0
		.amdhsa_user_sgpr_private_segment_size 0
		.amdhsa_wavefront_size32 1
		.amdhsa_uses_dynamic_stack 0
		.amdhsa_enable_private_segment 0
		.amdhsa_system_sgpr_workgroup_id_x 1
		.amdhsa_system_sgpr_workgroup_id_y 0
		.amdhsa_system_sgpr_workgroup_id_z 0
		.amdhsa_system_sgpr_workgroup_info 0
		.amdhsa_system_vgpr_workitem_id 0
		.amdhsa_next_free_vgpr 1
		.amdhsa_next_free_sgpr 1
		.amdhsa_reserve_vcc 0
		.amdhsa_float_round_mode_32 0
		.amdhsa_float_round_mode_16_64 0
		.amdhsa_float_denorm_mode_32 3
		.amdhsa_float_denorm_mode_16_64 3
		.amdhsa_dx10_clamp 1
		.amdhsa_ieee_mode 1
		.amdhsa_fp16_overflow 0
		.amdhsa_workgroup_processor_mode 1
		.amdhsa_memory_ordered 1
		.amdhsa_forward_progress 0
		.amdhsa_shared_vgpr_count 0
		.amdhsa_exception_fp_ieee_invalid_op 0
		.amdhsa_exception_fp_denorm_src 0
		.amdhsa_exception_fp_ieee_div_zero 0
		.amdhsa_exception_fp_ieee_overflow 0
		.amdhsa_exception_fp_ieee_underflow 0
		.amdhsa_exception_fp_ieee_inexact 0
		.amdhsa_exception_int_div_zero 0
	.end_amdhsa_kernel
	.section	.text._ZN7rocprim17ROCPRIM_400000_NS6detail17trampoline_kernelINS0_14default_configENS1_27upper_bound_config_selectorIslEEZNS1_14transform_implILb0ES3_S5_N6thrust23THRUST_200600_302600_NS17counting_iteratorIsNS8_11use_defaultESA_SA_EEPlZNS1_13binary_searchIS3_S5_PsSB_SC_NS1_21upper_bound_search_opENS8_6detail16wrapped_functionINS0_4lessIvEEbEEEE10hipError_tPvRmT1_T2_T3_mmT4_T5_P12ihipStream_tbEUlRKsE_EESL_SP_SQ_mSR_SU_bEUlT_E_NS1_11comp_targetILNS1_3genE10ELNS1_11target_archE1200ELNS1_3gpuE4ELNS1_3repE0EEENS1_30default_config_static_selectorELNS0_4arch9wavefront6targetE0EEEvSO_,"axG",@progbits,_ZN7rocprim17ROCPRIM_400000_NS6detail17trampoline_kernelINS0_14default_configENS1_27upper_bound_config_selectorIslEEZNS1_14transform_implILb0ES3_S5_N6thrust23THRUST_200600_302600_NS17counting_iteratorIsNS8_11use_defaultESA_SA_EEPlZNS1_13binary_searchIS3_S5_PsSB_SC_NS1_21upper_bound_search_opENS8_6detail16wrapped_functionINS0_4lessIvEEbEEEE10hipError_tPvRmT1_T2_T3_mmT4_T5_P12ihipStream_tbEUlRKsE_EESL_SP_SQ_mSR_SU_bEUlT_E_NS1_11comp_targetILNS1_3genE10ELNS1_11target_archE1200ELNS1_3gpuE4ELNS1_3repE0EEENS1_30default_config_static_selectorELNS0_4arch9wavefront6targetE0EEEvSO_,comdat
.Lfunc_end165:
	.size	_ZN7rocprim17ROCPRIM_400000_NS6detail17trampoline_kernelINS0_14default_configENS1_27upper_bound_config_selectorIslEEZNS1_14transform_implILb0ES3_S5_N6thrust23THRUST_200600_302600_NS17counting_iteratorIsNS8_11use_defaultESA_SA_EEPlZNS1_13binary_searchIS3_S5_PsSB_SC_NS1_21upper_bound_search_opENS8_6detail16wrapped_functionINS0_4lessIvEEbEEEE10hipError_tPvRmT1_T2_T3_mmT4_T5_P12ihipStream_tbEUlRKsE_EESL_SP_SQ_mSR_SU_bEUlT_E_NS1_11comp_targetILNS1_3genE10ELNS1_11target_archE1200ELNS1_3gpuE4ELNS1_3repE0EEENS1_30default_config_static_selectorELNS0_4arch9wavefront6targetE0EEEvSO_, .Lfunc_end165-_ZN7rocprim17ROCPRIM_400000_NS6detail17trampoline_kernelINS0_14default_configENS1_27upper_bound_config_selectorIslEEZNS1_14transform_implILb0ES3_S5_N6thrust23THRUST_200600_302600_NS17counting_iteratorIsNS8_11use_defaultESA_SA_EEPlZNS1_13binary_searchIS3_S5_PsSB_SC_NS1_21upper_bound_search_opENS8_6detail16wrapped_functionINS0_4lessIvEEbEEEE10hipError_tPvRmT1_T2_T3_mmT4_T5_P12ihipStream_tbEUlRKsE_EESL_SP_SQ_mSR_SU_bEUlT_E_NS1_11comp_targetILNS1_3genE10ELNS1_11target_archE1200ELNS1_3gpuE4ELNS1_3repE0EEENS1_30default_config_static_selectorELNS0_4arch9wavefront6targetE0EEEvSO_
                                        ; -- End function
	.section	.AMDGPU.csdata,"",@progbits
; Kernel info:
; codeLenInByte = 0
; NumSgprs: 0
; NumVgprs: 0
; ScratchSize: 0
; MemoryBound: 0
; FloatMode: 240
; IeeeMode: 1
; LDSByteSize: 0 bytes/workgroup (compile time only)
; SGPRBlocks: 0
; VGPRBlocks: 0
; NumSGPRsForWavesPerEU: 1
; NumVGPRsForWavesPerEU: 1
; Occupancy: 16
; WaveLimiterHint : 0
; COMPUTE_PGM_RSRC2:SCRATCH_EN: 0
; COMPUTE_PGM_RSRC2:USER_SGPR: 15
; COMPUTE_PGM_RSRC2:TRAP_HANDLER: 0
; COMPUTE_PGM_RSRC2:TGID_X_EN: 1
; COMPUTE_PGM_RSRC2:TGID_Y_EN: 0
; COMPUTE_PGM_RSRC2:TGID_Z_EN: 0
; COMPUTE_PGM_RSRC2:TIDIG_COMP_CNT: 0
	.section	.text._ZN7rocprim17ROCPRIM_400000_NS6detail17trampoline_kernelINS0_14default_configENS1_27upper_bound_config_selectorIslEEZNS1_14transform_implILb0ES3_S5_N6thrust23THRUST_200600_302600_NS17counting_iteratorIsNS8_11use_defaultESA_SA_EEPlZNS1_13binary_searchIS3_S5_PsSB_SC_NS1_21upper_bound_search_opENS8_6detail16wrapped_functionINS0_4lessIvEEbEEEE10hipError_tPvRmT1_T2_T3_mmT4_T5_P12ihipStream_tbEUlRKsE_EESL_SP_SQ_mSR_SU_bEUlT_E_NS1_11comp_targetILNS1_3genE9ELNS1_11target_archE1100ELNS1_3gpuE3ELNS1_3repE0EEENS1_30default_config_static_selectorELNS0_4arch9wavefront6targetE0EEEvSO_,"axG",@progbits,_ZN7rocprim17ROCPRIM_400000_NS6detail17trampoline_kernelINS0_14default_configENS1_27upper_bound_config_selectorIslEEZNS1_14transform_implILb0ES3_S5_N6thrust23THRUST_200600_302600_NS17counting_iteratorIsNS8_11use_defaultESA_SA_EEPlZNS1_13binary_searchIS3_S5_PsSB_SC_NS1_21upper_bound_search_opENS8_6detail16wrapped_functionINS0_4lessIvEEbEEEE10hipError_tPvRmT1_T2_T3_mmT4_T5_P12ihipStream_tbEUlRKsE_EESL_SP_SQ_mSR_SU_bEUlT_E_NS1_11comp_targetILNS1_3genE9ELNS1_11target_archE1100ELNS1_3gpuE3ELNS1_3repE0EEENS1_30default_config_static_selectorELNS0_4arch9wavefront6targetE0EEEvSO_,comdat
	.protected	_ZN7rocprim17ROCPRIM_400000_NS6detail17trampoline_kernelINS0_14default_configENS1_27upper_bound_config_selectorIslEEZNS1_14transform_implILb0ES3_S5_N6thrust23THRUST_200600_302600_NS17counting_iteratorIsNS8_11use_defaultESA_SA_EEPlZNS1_13binary_searchIS3_S5_PsSB_SC_NS1_21upper_bound_search_opENS8_6detail16wrapped_functionINS0_4lessIvEEbEEEE10hipError_tPvRmT1_T2_T3_mmT4_T5_P12ihipStream_tbEUlRKsE_EESL_SP_SQ_mSR_SU_bEUlT_E_NS1_11comp_targetILNS1_3genE9ELNS1_11target_archE1100ELNS1_3gpuE3ELNS1_3repE0EEENS1_30default_config_static_selectorELNS0_4arch9wavefront6targetE0EEEvSO_ ; -- Begin function _ZN7rocprim17ROCPRIM_400000_NS6detail17trampoline_kernelINS0_14default_configENS1_27upper_bound_config_selectorIslEEZNS1_14transform_implILb0ES3_S5_N6thrust23THRUST_200600_302600_NS17counting_iteratorIsNS8_11use_defaultESA_SA_EEPlZNS1_13binary_searchIS3_S5_PsSB_SC_NS1_21upper_bound_search_opENS8_6detail16wrapped_functionINS0_4lessIvEEbEEEE10hipError_tPvRmT1_T2_T3_mmT4_T5_P12ihipStream_tbEUlRKsE_EESL_SP_SQ_mSR_SU_bEUlT_E_NS1_11comp_targetILNS1_3genE9ELNS1_11target_archE1100ELNS1_3gpuE3ELNS1_3repE0EEENS1_30default_config_static_selectorELNS0_4arch9wavefront6targetE0EEEvSO_
	.globl	_ZN7rocprim17ROCPRIM_400000_NS6detail17trampoline_kernelINS0_14default_configENS1_27upper_bound_config_selectorIslEEZNS1_14transform_implILb0ES3_S5_N6thrust23THRUST_200600_302600_NS17counting_iteratorIsNS8_11use_defaultESA_SA_EEPlZNS1_13binary_searchIS3_S5_PsSB_SC_NS1_21upper_bound_search_opENS8_6detail16wrapped_functionINS0_4lessIvEEbEEEE10hipError_tPvRmT1_T2_T3_mmT4_T5_P12ihipStream_tbEUlRKsE_EESL_SP_SQ_mSR_SU_bEUlT_E_NS1_11comp_targetILNS1_3genE9ELNS1_11target_archE1100ELNS1_3gpuE3ELNS1_3repE0EEENS1_30default_config_static_selectorELNS0_4arch9wavefront6targetE0EEEvSO_
	.p2align	8
	.type	_ZN7rocprim17ROCPRIM_400000_NS6detail17trampoline_kernelINS0_14default_configENS1_27upper_bound_config_selectorIslEEZNS1_14transform_implILb0ES3_S5_N6thrust23THRUST_200600_302600_NS17counting_iteratorIsNS8_11use_defaultESA_SA_EEPlZNS1_13binary_searchIS3_S5_PsSB_SC_NS1_21upper_bound_search_opENS8_6detail16wrapped_functionINS0_4lessIvEEbEEEE10hipError_tPvRmT1_T2_T3_mmT4_T5_P12ihipStream_tbEUlRKsE_EESL_SP_SQ_mSR_SU_bEUlT_E_NS1_11comp_targetILNS1_3genE9ELNS1_11target_archE1100ELNS1_3gpuE3ELNS1_3repE0EEENS1_30default_config_static_selectorELNS0_4arch9wavefront6targetE0EEEvSO_,@function
_ZN7rocprim17ROCPRIM_400000_NS6detail17trampoline_kernelINS0_14default_configENS1_27upper_bound_config_selectorIslEEZNS1_14transform_implILb0ES3_S5_N6thrust23THRUST_200600_302600_NS17counting_iteratorIsNS8_11use_defaultESA_SA_EEPlZNS1_13binary_searchIS3_S5_PsSB_SC_NS1_21upper_bound_search_opENS8_6detail16wrapped_functionINS0_4lessIvEEbEEEE10hipError_tPvRmT1_T2_T3_mmT4_T5_P12ihipStream_tbEUlRKsE_EESL_SP_SQ_mSR_SU_bEUlT_E_NS1_11comp_targetILNS1_3genE9ELNS1_11target_archE1100ELNS1_3gpuE3ELNS1_3repE0EEENS1_30default_config_static_selectorELNS0_4arch9wavefront6targetE0EEEvSO_: ; @_ZN7rocprim17ROCPRIM_400000_NS6detail17trampoline_kernelINS0_14default_configENS1_27upper_bound_config_selectorIslEEZNS1_14transform_implILb0ES3_S5_N6thrust23THRUST_200600_302600_NS17counting_iteratorIsNS8_11use_defaultESA_SA_EEPlZNS1_13binary_searchIS3_S5_PsSB_SC_NS1_21upper_bound_search_opENS8_6detail16wrapped_functionINS0_4lessIvEEbEEEE10hipError_tPvRmT1_T2_T3_mmT4_T5_P12ihipStream_tbEUlRKsE_EESL_SP_SQ_mSR_SU_bEUlT_E_NS1_11comp_targetILNS1_3genE9ELNS1_11target_archE1100ELNS1_3gpuE3ELNS1_3repE0EEENS1_30default_config_static_selectorELNS0_4arch9wavefront6targetE0EEEvSO_
; %bb.0:
	s_clause 0x4
	s_load_b64 s[2:3], s[0:1], 0x8
	s_load_b32 s6, s[0:1], 0x0
	s_load_b128 s[16:19], s[0:1], 0x18
	s_load_b32 s7, s[0:1], 0x38
	s_load_b64 s[20:21], s[0:1], 0x28
	s_waitcnt lgkmcnt(0)
	s_lshl_b64 s[4:5], s[2:3], 3
	s_add_i32 s2, s6, s2
	s_add_u32 s22, s16, s4
	s_addc_u32 s23, s17, s5
	s_add_i32 s7, s7, -1
	s_lshl_b32 s16, s15, 10
	s_mov_b32 s17, 0
	s_cmp_lg_u32 s15, s7
	s_mov_b32 s3, -1
	s_cbranch_scc0 .LBB166_51
; %bb.1:
	v_or_b32_e32 v3, s16, v0
	v_mov_b32_e32 v1, 0
	v_mov_b32_e32 v2, 0
	s_cmp_lg_u64 s[20:21], 0
	s_cselect_b32 s3, -1, 0
	v_add_nc_u16 v33, s2, v3
	s_cmp_eq_u64 s[20:21], 0
	s_cbranch_scc1 .LBB166_5
; %bb.2:
	v_mov_b32_e32 v1, 0
	v_dual_mov_b32 v2, 0 :: v_dual_mov_b32 v3, s20
	v_mov_b32_e32 v4, s21
	s_mov_b32 s4, 0
	.p2align	6
.LBB166_3:                              ; =>This Inner Loop Header: Depth=1
	s_delay_alu instid0(VALU_DEP_2) | instskip(NEXT) | instid1(VALU_DEP_2)
	v_sub_co_u32 v5, vcc_lo, v3, v1
	v_sub_co_ci_u32_e32 v6, vcc_lo, v4, v2, vcc_lo
	s_delay_alu instid0(VALU_DEP_1) | instskip(SKIP_1) | instid1(VALU_DEP_2)
	v_lshrrev_b64 v[7:8], 1, v[5:6]
	v_lshrrev_b64 v[5:6], 6, v[5:6]
	v_add_co_u32 v7, vcc_lo, v7, v1
	s_delay_alu instid0(VALU_DEP_3) | instskip(NEXT) | instid1(VALU_DEP_2)
	v_add_co_ci_u32_e32 v8, vcc_lo, v8, v2, vcc_lo
	v_add_co_u32 v5, vcc_lo, v7, v5
	s_delay_alu instid0(VALU_DEP_2) | instskip(NEXT) | instid1(VALU_DEP_1)
	v_add_co_ci_u32_e32 v6, vcc_lo, v8, v6, vcc_lo
	v_lshlrev_b64 v[7:8], 1, v[5:6]
	s_delay_alu instid0(VALU_DEP_1) | instskip(NEXT) | instid1(VALU_DEP_2)
	v_add_co_u32 v7, vcc_lo, s18, v7
	v_add_co_ci_u32_e32 v8, vcc_lo, s19, v8, vcc_lo
	global_load_u16 v7, v[7:8], off
	v_add_co_u32 v8, vcc_lo, v5, 1
	v_add_co_ci_u32_e32 v9, vcc_lo, 0, v6, vcc_lo
	s_waitcnt vmcnt(0)
	v_cmp_gt_i16_e32 vcc_lo, v7, v33
	v_dual_cndmask_b32 v4, v4, v6 :: v_dual_cndmask_b32 v3, v3, v5
	s_delay_alu instid0(VALU_DEP_3) | instskip(NEXT) | instid1(VALU_DEP_1)
	v_dual_cndmask_b32 v2, v9, v2 :: v_dual_cndmask_b32 v1, v8, v1
	v_cmp_ge_u64_e32 vcc_lo, v[1:2], v[3:4]
	s_or_b32 s4, vcc_lo, s4
	s_delay_alu instid0(SALU_CYCLE_1)
	s_and_not1_b32 exec_lo, exec_lo, s4
	s_cbranch_execnz .LBB166_3
; %bb.4:
	s_or_b32 exec_lo, exec_lo, s4
.LBB166_5:
	v_cndmask_b32_e64 v34, 0, 1, s3
	s_and_not1_b32 vcc_lo, exec_lo, s3
	s_cbranch_vccnz .LBB166_52
; %bb.6:
	v_mov_b32_e32 v3, 0
	v_dual_mov_b32 v4, 0 :: v_dual_mov_b32 v5, s20
	v_add_nc_u16 v7, v33, 64
	v_mov_b32_e32 v6, s21
	s_mov_b32 s3, 0
	.p2align	6
.LBB166_7:                              ; =>This Inner Loop Header: Depth=1
	s_delay_alu instid0(VALU_DEP_3) | instskip(NEXT) | instid1(VALU_DEP_2)
	v_sub_co_u32 v8, vcc_lo, v5, v3
	v_sub_co_ci_u32_e32 v9, vcc_lo, v6, v4, vcc_lo
	s_delay_alu instid0(VALU_DEP_1) | instskip(SKIP_1) | instid1(VALU_DEP_2)
	v_lshrrev_b64 v[10:11], 1, v[8:9]
	v_lshrrev_b64 v[8:9], 6, v[8:9]
	v_add_co_u32 v10, vcc_lo, v10, v3
	s_delay_alu instid0(VALU_DEP_3) | instskip(NEXT) | instid1(VALU_DEP_2)
	v_add_co_ci_u32_e32 v11, vcc_lo, v11, v4, vcc_lo
	v_add_co_u32 v8, vcc_lo, v10, v8
	s_delay_alu instid0(VALU_DEP_2) | instskip(NEXT) | instid1(VALU_DEP_1)
	v_add_co_ci_u32_e32 v9, vcc_lo, v11, v9, vcc_lo
	v_lshlrev_b64 v[10:11], 1, v[8:9]
	s_delay_alu instid0(VALU_DEP_1) | instskip(NEXT) | instid1(VALU_DEP_2)
	v_add_co_u32 v10, vcc_lo, s18, v10
	v_add_co_ci_u32_e32 v11, vcc_lo, s19, v11, vcc_lo
	global_load_u16 v10, v[10:11], off
	v_add_co_u32 v11, vcc_lo, v8, 1
	v_add_co_ci_u32_e32 v12, vcc_lo, 0, v9, vcc_lo
	s_waitcnt vmcnt(0)
	v_cmp_gt_i16_e32 vcc_lo, v10, v7
	v_dual_cndmask_b32 v6, v6, v9 :: v_dual_cndmask_b32 v5, v5, v8
	s_delay_alu instid0(VALU_DEP_3) | instskip(NEXT) | instid1(VALU_DEP_1)
	v_dual_cndmask_b32 v4, v12, v4 :: v_dual_cndmask_b32 v3, v11, v3
	v_cmp_ge_u64_e32 vcc_lo, v[3:4], v[5:6]
	s_or_b32 s3, vcc_lo, s3
	s_delay_alu instid0(SALU_CYCLE_1)
	s_and_not1_b32 exec_lo, exec_lo, s3
	s_cbranch_execnz .LBB166_7
; %bb.8:
	s_or_b32 exec_lo, exec_lo, s3
	v_cmp_ne_u32_e32 vcc_lo, 1, v34
	s_cbranch_vccnz .LBB166_53
.LBB166_9:
	v_mov_b32_e32 v5, 0
	v_dual_mov_b32 v6, 0 :: v_dual_mov_b32 v7, s20
	v_add_nc_u16 v9, v33, 0x80
	v_mov_b32_e32 v8, s21
	s_mov_b32 s3, 0
	.p2align	6
.LBB166_10:                             ; =>This Inner Loop Header: Depth=1
	s_delay_alu instid0(VALU_DEP_3) | instskip(NEXT) | instid1(VALU_DEP_2)
	v_sub_co_u32 v10, vcc_lo, v7, v5
	v_sub_co_ci_u32_e32 v11, vcc_lo, v8, v6, vcc_lo
	s_delay_alu instid0(VALU_DEP_1) | instskip(SKIP_1) | instid1(VALU_DEP_2)
	v_lshrrev_b64 v[12:13], 1, v[10:11]
	v_lshrrev_b64 v[10:11], 6, v[10:11]
	v_add_co_u32 v12, vcc_lo, v12, v5
	s_delay_alu instid0(VALU_DEP_3) | instskip(NEXT) | instid1(VALU_DEP_2)
	v_add_co_ci_u32_e32 v13, vcc_lo, v13, v6, vcc_lo
	v_add_co_u32 v10, vcc_lo, v12, v10
	s_delay_alu instid0(VALU_DEP_2) | instskip(NEXT) | instid1(VALU_DEP_1)
	v_add_co_ci_u32_e32 v11, vcc_lo, v13, v11, vcc_lo
	v_lshlrev_b64 v[12:13], 1, v[10:11]
	s_delay_alu instid0(VALU_DEP_1) | instskip(NEXT) | instid1(VALU_DEP_2)
	v_add_co_u32 v12, vcc_lo, s18, v12
	v_add_co_ci_u32_e32 v13, vcc_lo, s19, v13, vcc_lo
	global_load_u16 v12, v[12:13], off
	v_add_co_u32 v13, vcc_lo, v10, 1
	v_add_co_ci_u32_e32 v14, vcc_lo, 0, v11, vcc_lo
	s_waitcnt vmcnt(0)
	v_cmp_gt_i16_e32 vcc_lo, v12, v9
	v_dual_cndmask_b32 v8, v8, v11 :: v_dual_cndmask_b32 v7, v7, v10
	s_delay_alu instid0(VALU_DEP_3) | instskip(NEXT) | instid1(VALU_DEP_1)
	v_dual_cndmask_b32 v6, v14, v6 :: v_dual_cndmask_b32 v5, v13, v5
	v_cmp_ge_u64_e32 vcc_lo, v[5:6], v[7:8]
	s_or_b32 s3, vcc_lo, s3
	s_delay_alu instid0(SALU_CYCLE_1)
	s_and_not1_b32 exec_lo, exec_lo, s3
	s_cbranch_execnz .LBB166_10
; %bb.11:
	s_or_b32 exec_lo, exec_lo, s3
	v_cmp_ne_u32_e32 vcc_lo, 1, v34
	s_cbranch_vccnz .LBB166_54
.LBB166_12:
	v_mov_b32_e32 v7, 0
	v_dual_mov_b32 v8, 0 :: v_dual_mov_b32 v9, s20
	v_add_nc_u16 v11, v33, 0xc0
	v_mov_b32_e32 v10, s21
	s_mov_b32 s3, 0
	.p2align	6
.LBB166_13:                             ; =>This Inner Loop Header: Depth=1
	s_delay_alu instid0(VALU_DEP_3) | instskip(NEXT) | instid1(VALU_DEP_2)
	v_sub_co_u32 v12, vcc_lo, v9, v7
	v_sub_co_ci_u32_e32 v13, vcc_lo, v10, v8, vcc_lo
	s_delay_alu instid0(VALU_DEP_1) | instskip(SKIP_1) | instid1(VALU_DEP_2)
	v_lshrrev_b64 v[14:15], 1, v[12:13]
	v_lshrrev_b64 v[12:13], 6, v[12:13]
	v_add_co_u32 v14, vcc_lo, v14, v7
	s_delay_alu instid0(VALU_DEP_3) | instskip(NEXT) | instid1(VALU_DEP_2)
	v_add_co_ci_u32_e32 v15, vcc_lo, v15, v8, vcc_lo
	v_add_co_u32 v12, vcc_lo, v14, v12
	s_delay_alu instid0(VALU_DEP_2) | instskip(NEXT) | instid1(VALU_DEP_1)
	v_add_co_ci_u32_e32 v13, vcc_lo, v15, v13, vcc_lo
	v_lshlrev_b64 v[14:15], 1, v[12:13]
	s_delay_alu instid0(VALU_DEP_1) | instskip(NEXT) | instid1(VALU_DEP_2)
	v_add_co_u32 v14, vcc_lo, s18, v14
	v_add_co_ci_u32_e32 v15, vcc_lo, s19, v15, vcc_lo
	global_load_u16 v14, v[14:15], off
	v_add_co_u32 v15, vcc_lo, v12, 1
	v_add_co_ci_u32_e32 v16, vcc_lo, 0, v13, vcc_lo
	s_waitcnt vmcnt(0)
	v_cmp_gt_i16_e32 vcc_lo, v14, v11
	v_dual_cndmask_b32 v10, v10, v13 :: v_dual_cndmask_b32 v9, v9, v12
	s_delay_alu instid0(VALU_DEP_3) | instskip(NEXT) | instid1(VALU_DEP_1)
	v_dual_cndmask_b32 v8, v16, v8 :: v_dual_cndmask_b32 v7, v15, v7
	v_cmp_ge_u64_e32 vcc_lo, v[7:8], v[9:10]
	s_or_b32 s3, vcc_lo, s3
	s_delay_alu instid0(SALU_CYCLE_1)
	s_and_not1_b32 exec_lo, exec_lo, s3
	s_cbranch_execnz .LBB166_13
; %bb.14:
	s_or_b32 exec_lo, exec_lo, s3
	v_cmp_ne_u32_e32 vcc_lo, 1, v34
	s_cbranch_vccnz .LBB166_55
.LBB166_15:
	v_mov_b32_e32 v9, 0
	v_dual_mov_b32 v10, 0 :: v_dual_mov_b32 v11, s20
	v_add_nc_u16 v13, v33, 0x100
	v_mov_b32_e32 v12, s21
	s_mov_b32 s3, 0
	.p2align	6
.LBB166_16:                             ; =>This Inner Loop Header: Depth=1
	s_delay_alu instid0(VALU_DEP_3) | instskip(NEXT) | instid1(VALU_DEP_2)
	v_sub_co_u32 v14, vcc_lo, v11, v9
	v_sub_co_ci_u32_e32 v15, vcc_lo, v12, v10, vcc_lo
	s_delay_alu instid0(VALU_DEP_1) | instskip(SKIP_1) | instid1(VALU_DEP_2)
	v_lshrrev_b64 v[16:17], 1, v[14:15]
	v_lshrrev_b64 v[14:15], 6, v[14:15]
	v_add_co_u32 v16, vcc_lo, v16, v9
	s_delay_alu instid0(VALU_DEP_3) | instskip(NEXT) | instid1(VALU_DEP_2)
	v_add_co_ci_u32_e32 v17, vcc_lo, v17, v10, vcc_lo
	v_add_co_u32 v14, vcc_lo, v16, v14
	s_delay_alu instid0(VALU_DEP_2) | instskip(NEXT) | instid1(VALU_DEP_1)
	v_add_co_ci_u32_e32 v15, vcc_lo, v17, v15, vcc_lo
	v_lshlrev_b64 v[16:17], 1, v[14:15]
	s_delay_alu instid0(VALU_DEP_1) | instskip(NEXT) | instid1(VALU_DEP_2)
	v_add_co_u32 v16, vcc_lo, s18, v16
	v_add_co_ci_u32_e32 v17, vcc_lo, s19, v17, vcc_lo
	global_load_u16 v16, v[16:17], off
	v_add_co_u32 v17, vcc_lo, v14, 1
	v_add_co_ci_u32_e32 v18, vcc_lo, 0, v15, vcc_lo
	s_waitcnt vmcnt(0)
	v_cmp_gt_i16_e32 vcc_lo, v16, v13
	v_dual_cndmask_b32 v12, v12, v15 :: v_dual_cndmask_b32 v11, v11, v14
	s_delay_alu instid0(VALU_DEP_3) | instskip(NEXT) | instid1(VALU_DEP_1)
	v_dual_cndmask_b32 v10, v18, v10 :: v_dual_cndmask_b32 v9, v17, v9
	v_cmp_ge_u64_e32 vcc_lo, v[9:10], v[11:12]
	s_or_b32 s3, vcc_lo, s3
	s_delay_alu instid0(SALU_CYCLE_1)
	s_and_not1_b32 exec_lo, exec_lo, s3
	s_cbranch_execnz .LBB166_16
; %bb.17:
	s_or_b32 exec_lo, exec_lo, s3
	v_cmp_ne_u32_e32 vcc_lo, 1, v34
	s_cbranch_vccnz .LBB166_56
.LBB166_18:
	v_mov_b32_e32 v11, 0
	v_dual_mov_b32 v12, 0 :: v_dual_mov_b32 v13, s20
	v_add_nc_u16 v15, v33, 0x140
	v_mov_b32_e32 v14, s21
	s_mov_b32 s3, 0
	.p2align	6
.LBB166_19:                             ; =>This Inner Loop Header: Depth=1
	s_delay_alu instid0(VALU_DEP_3) | instskip(NEXT) | instid1(VALU_DEP_2)
	v_sub_co_u32 v16, vcc_lo, v13, v11
	v_sub_co_ci_u32_e32 v17, vcc_lo, v14, v12, vcc_lo
	s_delay_alu instid0(VALU_DEP_1) | instskip(SKIP_1) | instid1(VALU_DEP_2)
	v_lshrrev_b64 v[18:19], 1, v[16:17]
	v_lshrrev_b64 v[16:17], 6, v[16:17]
	v_add_co_u32 v18, vcc_lo, v18, v11
	s_delay_alu instid0(VALU_DEP_3) | instskip(NEXT) | instid1(VALU_DEP_2)
	v_add_co_ci_u32_e32 v19, vcc_lo, v19, v12, vcc_lo
	v_add_co_u32 v16, vcc_lo, v18, v16
	s_delay_alu instid0(VALU_DEP_2) | instskip(NEXT) | instid1(VALU_DEP_1)
	v_add_co_ci_u32_e32 v17, vcc_lo, v19, v17, vcc_lo
	v_lshlrev_b64 v[18:19], 1, v[16:17]
	s_delay_alu instid0(VALU_DEP_1) | instskip(NEXT) | instid1(VALU_DEP_2)
	v_add_co_u32 v18, vcc_lo, s18, v18
	v_add_co_ci_u32_e32 v19, vcc_lo, s19, v19, vcc_lo
	global_load_u16 v18, v[18:19], off
	v_add_co_u32 v19, vcc_lo, v16, 1
	v_add_co_ci_u32_e32 v20, vcc_lo, 0, v17, vcc_lo
	s_waitcnt vmcnt(0)
	v_cmp_gt_i16_e32 vcc_lo, v18, v15
	v_dual_cndmask_b32 v14, v14, v17 :: v_dual_cndmask_b32 v13, v13, v16
	s_delay_alu instid0(VALU_DEP_3) | instskip(NEXT) | instid1(VALU_DEP_1)
	v_dual_cndmask_b32 v12, v20, v12 :: v_dual_cndmask_b32 v11, v19, v11
	v_cmp_ge_u64_e32 vcc_lo, v[11:12], v[13:14]
	s_or_b32 s3, vcc_lo, s3
	s_delay_alu instid0(SALU_CYCLE_1)
	s_and_not1_b32 exec_lo, exec_lo, s3
	s_cbranch_execnz .LBB166_19
; %bb.20:
	s_or_b32 exec_lo, exec_lo, s3
	v_cmp_ne_u32_e32 vcc_lo, 1, v34
	s_cbranch_vccnz .LBB166_57
.LBB166_21:
	v_mov_b32_e32 v13, 0
	v_dual_mov_b32 v14, 0 :: v_dual_mov_b32 v15, s20
	v_add_nc_u16 v17, v33, 0x180
	v_mov_b32_e32 v16, s21
	s_mov_b32 s3, 0
	.p2align	6
.LBB166_22:                             ; =>This Inner Loop Header: Depth=1
	s_delay_alu instid0(VALU_DEP_3) | instskip(NEXT) | instid1(VALU_DEP_2)
	v_sub_co_u32 v18, vcc_lo, v15, v13
	v_sub_co_ci_u32_e32 v19, vcc_lo, v16, v14, vcc_lo
	s_delay_alu instid0(VALU_DEP_1) | instskip(SKIP_1) | instid1(VALU_DEP_2)
	v_lshrrev_b64 v[20:21], 1, v[18:19]
	v_lshrrev_b64 v[18:19], 6, v[18:19]
	v_add_co_u32 v20, vcc_lo, v20, v13
	s_delay_alu instid0(VALU_DEP_3) | instskip(NEXT) | instid1(VALU_DEP_2)
	v_add_co_ci_u32_e32 v21, vcc_lo, v21, v14, vcc_lo
	v_add_co_u32 v18, vcc_lo, v20, v18
	s_delay_alu instid0(VALU_DEP_2) | instskip(NEXT) | instid1(VALU_DEP_1)
	v_add_co_ci_u32_e32 v19, vcc_lo, v21, v19, vcc_lo
	v_lshlrev_b64 v[20:21], 1, v[18:19]
	s_delay_alu instid0(VALU_DEP_1) | instskip(NEXT) | instid1(VALU_DEP_2)
	v_add_co_u32 v20, vcc_lo, s18, v20
	v_add_co_ci_u32_e32 v21, vcc_lo, s19, v21, vcc_lo
	global_load_u16 v20, v[20:21], off
	v_add_co_u32 v21, vcc_lo, v18, 1
	v_add_co_ci_u32_e32 v22, vcc_lo, 0, v19, vcc_lo
	s_waitcnt vmcnt(0)
	v_cmp_gt_i16_e32 vcc_lo, v20, v17
	v_dual_cndmask_b32 v16, v16, v19 :: v_dual_cndmask_b32 v15, v15, v18
	s_delay_alu instid0(VALU_DEP_3) | instskip(NEXT) | instid1(VALU_DEP_1)
	v_dual_cndmask_b32 v14, v22, v14 :: v_dual_cndmask_b32 v13, v21, v13
	v_cmp_ge_u64_e32 vcc_lo, v[13:14], v[15:16]
	s_or_b32 s3, vcc_lo, s3
	s_delay_alu instid0(SALU_CYCLE_1)
	s_and_not1_b32 exec_lo, exec_lo, s3
	s_cbranch_execnz .LBB166_22
; %bb.23:
	s_or_b32 exec_lo, exec_lo, s3
	v_cmp_ne_u32_e32 vcc_lo, 1, v34
	s_cbranch_vccnz .LBB166_58
.LBB166_24:
	v_mov_b32_e32 v15, 0
	v_dual_mov_b32 v16, 0 :: v_dual_mov_b32 v17, s20
	v_add_nc_u16 v19, v33, 0x1c0
	v_mov_b32_e32 v18, s21
	s_mov_b32 s3, 0
	.p2align	6
.LBB166_25:                             ; =>This Inner Loop Header: Depth=1
	s_delay_alu instid0(VALU_DEP_3) | instskip(NEXT) | instid1(VALU_DEP_2)
	v_sub_co_u32 v20, vcc_lo, v17, v15
	v_sub_co_ci_u32_e32 v21, vcc_lo, v18, v16, vcc_lo
	s_delay_alu instid0(VALU_DEP_1) | instskip(SKIP_1) | instid1(VALU_DEP_2)
	v_lshrrev_b64 v[22:23], 1, v[20:21]
	v_lshrrev_b64 v[20:21], 6, v[20:21]
	v_add_co_u32 v22, vcc_lo, v22, v15
	s_delay_alu instid0(VALU_DEP_3) | instskip(NEXT) | instid1(VALU_DEP_2)
	v_add_co_ci_u32_e32 v23, vcc_lo, v23, v16, vcc_lo
	v_add_co_u32 v20, vcc_lo, v22, v20
	s_delay_alu instid0(VALU_DEP_2) | instskip(NEXT) | instid1(VALU_DEP_1)
	v_add_co_ci_u32_e32 v21, vcc_lo, v23, v21, vcc_lo
	v_lshlrev_b64 v[22:23], 1, v[20:21]
	s_delay_alu instid0(VALU_DEP_1) | instskip(NEXT) | instid1(VALU_DEP_2)
	v_add_co_u32 v22, vcc_lo, s18, v22
	v_add_co_ci_u32_e32 v23, vcc_lo, s19, v23, vcc_lo
	global_load_u16 v22, v[22:23], off
	v_add_co_u32 v23, vcc_lo, v20, 1
	v_add_co_ci_u32_e32 v24, vcc_lo, 0, v21, vcc_lo
	s_waitcnt vmcnt(0)
	v_cmp_gt_i16_e32 vcc_lo, v22, v19
	v_dual_cndmask_b32 v18, v18, v21 :: v_dual_cndmask_b32 v17, v17, v20
	s_delay_alu instid0(VALU_DEP_3) | instskip(NEXT) | instid1(VALU_DEP_1)
	v_dual_cndmask_b32 v16, v24, v16 :: v_dual_cndmask_b32 v15, v23, v15
	v_cmp_ge_u64_e32 vcc_lo, v[15:16], v[17:18]
	s_or_b32 s3, vcc_lo, s3
	s_delay_alu instid0(SALU_CYCLE_1)
	s_and_not1_b32 exec_lo, exec_lo, s3
	s_cbranch_execnz .LBB166_25
; %bb.26:
	s_or_b32 exec_lo, exec_lo, s3
	v_cmp_ne_u32_e32 vcc_lo, 1, v34
	s_cbranch_vccnz .LBB166_59
.LBB166_27:
	v_mov_b32_e32 v17, 0
	v_dual_mov_b32 v18, 0 :: v_dual_mov_b32 v19, s20
	v_add_nc_u16 v21, v33, 0x200
	v_mov_b32_e32 v20, s21
	s_mov_b32 s3, 0
	.p2align	6
.LBB166_28:                             ; =>This Inner Loop Header: Depth=1
	s_delay_alu instid0(VALU_DEP_3) | instskip(NEXT) | instid1(VALU_DEP_2)
	v_sub_co_u32 v22, vcc_lo, v19, v17
	v_sub_co_ci_u32_e32 v23, vcc_lo, v20, v18, vcc_lo
	s_delay_alu instid0(VALU_DEP_1) | instskip(SKIP_1) | instid1(VALU_DEP_2)
	v_lshrrev_b64 v[24:25], 1, v[22:23]
	v_lshrrev_b64 v[22:23], 6, v[22:23]
	v_add_co_u32 v24, vcc_lo, v24, v17
	s_delay_alu instid0(VALU_DEP_3) | instskip(NEXT) | instid1(VALU_DEP_2)
	v_add_co_ci_u32_e32 v25, vcc_lo, v25, v18, vcc_lo
	v_add_co_u32 v22, vcc_lo, v24, v22
	s_delay_alu instid0(VALU_DEP_2) | instskip(NEXT) | instid1(VALU_DEP_1)
	v_add_co_ci_u32_e32 v23, vcc_lo, v25, v23, vcc_lo
	v_lshlrev_b64 v[24:25], 1, v[22:23]
	s_delay_alu instid0(VALU_DEP_1) | instskip(NEXT) | instid1(VALU_DEP_2)
	v_add_co_u32 v24, vcc_lo, s18, v24
	v_add_co_ci_u32_e32 v25, vcc_lo, s19, v25, vcc_lo
	global_load_u16 v24, v[24:25], off
	v_add_co_u32 v25, vcc_lo, v22, 1
	v_add_co_ci_u32_e32 v26, vcc_lo, 0, v23, vcc_lo
	s_waitcnt vmcnt(0)
	v_cmp_gt_i16_e32 vcc_lo, v24, v21
	v_dual_cndmask_b32 v20, v20, v23 :: v_dual_cndmask_b32 v19, v19, v22
	s_delay_alu instid0(VALU_DEP_3) | instskip(NEXT) | instid1(VALU_DEP_1)
	v_dual_cndmask_b32 v18, v26, v18 :: v_dual_cndmask_b32 v17, v25, v17
	v_cmp_ge_u64_e32 vcc_lo, v[17:18], v[19:20]
	s_or_b32 s3, vcc_lo, s3
	s_delay_alu instid0(SALU_CYCLE_1)
	s_and_not1_b32 exec_lo, exec_lo, s3
	s_cbranch_execnz .LBB166_28
; %bb.29:
	s_or_b32 exec_lo, exec_lo, s3
	v_cmp_ne_u32_e32 vcc_lo, 1, v34
	s_cbranch_vccnz .LBB166_60
.LBB166_30:
	v_dual_mov_b32 v19, 0 :: v_dual_mov_b32 v22, s21
	v_add_nc_u16 v23, v33, 0x240
	v_dual_mov_b32 v20, 0 :: v_dual_mov_b32 v21, s20
	s_mov_b32 s3, 0
	.p2align	6
.LBB166_31:                             ; =>This Inner Loop Header: Depth=1
	s_delay_alu instid0(VALU_DEP_1) | instskip(NEXT) | instid1(VALU_DEP_2)
	v_sub_co_u32 v24, vcc_lo, v21, v19
	v_sub_co_ci_u32_e32 v25, vcc_lo, v22, v20, vcc_lo
	s_delay_alu instid0(VALU_DEP_1) | instskip(SKIP_1) | instid1(VALU_DEP_2)
	v_lshrrev_b64 v[26:27], 1, v[24:25]
	v_lshrrev_b64 v[24:25], 6, v[24:25]
	v_add_co_u32 v26, vcc_lo, v26, v19
	s_delay_alu instid0(VALU_DEP_3) | instskip(NEXT) | instid1(VALU_DEP_2)
	v_add_co_ci_u32_e32 v27, vcc_lo, v27, v20, vcc_lo
	v_add_co_u32 v24, vcc_lo, v26, v24
	s_delay_alu instid0(VALU_DEP_2) | instskip(NEXT) | instid1(VALU_DEP_1)
	v_add_co_ci_u32_e32 v25, vcc_lo, v27, v25, vcc_lo
	v_lshlrev_b64 v[26:27], 1, v[24:25]
	s_delay_alu instid0(VALU_DEP_1) | instskip(NEXT) | instid1(VALU_DEP_2)
	v_add_co_u32 v26, vcc_lo, s18, v26
	v_add_co_ci_u32_e32 v27, vcc_lo, s19, v27, vcc_lo
	global_load_u16 v26, v[26:27], off
	v_add_co_u32 v27, vcc_lo, v24, 1
	v_add_co_ci_u32_e32 v28, vcc_lo, 0, v25, vcc_lo
	s_waitcnt vmcnt(0)
	v_cmp_gt_i16_e32 vcc_lo, v26, v23
	v_dual_cndmask_b32 v22, v22, v25 :: v_dual_cndmask_b32 v21, v21, v24
	s_delay_alu instid0(VALU_DEP_3) | instskip(NEXT) | instid1(VALU_DEP_1)
	v_dual_cndmask_b32 v20, v28, v20 :: v_dual_cndmask_b32 v19, v27, v19
	v_cmp_ge_u64_e32 vcc_lo, v[19:20], v[21:22]
	s_or_b32 s3, vcc_lo, s3
	s_delay_alu instid0(SALU_CYCLE_1)
	s_and_not1_b32 exec_lo, exec_lo, s3
	s_cbranch_execnz .LBB166_31
; %bb.32:
	s_or_b32 exec_lo, exec_lo, s3
	v_cmp_ne_u32_e32 vcc_lo, 1, v34
	s_cbranch_vccnz .LBB166_61
.LBB166_33:
	v_dual_mov_b32 v21, 0 :: v_dual_mov_b32 v24, s21
	v_add_nc_u16 v25, v33, 0x280
	v_dual_mov_b32 v22, 0 :: v_dual_mov_b32 v23, s20
	s_mov_b32 s3, 0
	.p2align	6
.LBB166_34:                             ; =>This Inner Loop Header: Depth=1
	s_delay_alu instid0(VALU_DEP_1) | instskip(NEXT) | instid1(VALU_DEP_2)
	v_sub_co_u32 v26, vcc_lo, v23, v21
	v_sub_co_ci_u32_e32 v27, vcc_lo, v24, v22, vcc_lo
	s_delay_alu instid0(VALU_DEP_1) | instskip(SKIP_1) | instid1(VALU_DEP_2)
	v_lshrrev_b64 v[28:29], 1, v[26:27]
	v_lshrrev_b64 v[26:27], 6, v[26:27]
	v_add_co_u32 v28, vcc_lo, v28, v21
	s_delay_alu instid0(VALU_DEP_3) | instskip(NEXT) | instid1(VALU_DEP_2)
	v_add_co_ci_u32_e32 v29, vcc_lo, v29, v22, vcc_lo
	v_add_co_u32 v26, vcc_lo, v28, v26
	s_delay_alu instid0(VALU_DEP_2) | instskip(NEXT) | instid1(VALU_DEP_1)
	v_add_co_ci_u32_e32 v27, vcc_lo, v29, v27, vcc_lo
	v_lshlrev_b64 v[28:29], 1, v[26:27]
	s_delay_alu instid0(VALU_DEP_1) | instskip(NEXT) | instid1(VALU_DEP_2)
	v_add_co_u32 v28, vcc_lo, s18, v28
	v_add_co_ci_u32_e32 v29, vcc_lo, s19, v29, vcc_lo
	global_load_u16 v28, v[28:29], off
	v_add_co_u32 v29, vcc_lo, v26, 1
	v_add_co_ci_u32_e32 v30, vcc_lo, 0, v27, vcc_lo
	s_waitcnt vmcnt(0)
	v_cmp_gt_i16_e32 vcc_lo, v28, v25
	v_dual_cndmask_b32 v24, v24, v27 :: v_dual_cndmask_b32 v23, v23, v26
	s_delay_alu instid0(VALU_DEP_3) | instskip(NEXT) | instid1(VALU_DEP_1)
	v_dual_cndmask_b32 v22, v30, v22 :: v_dual_cndmask_b32 v21, v29, v21
	v_cmp_ge_u64_e32 vcc_lo, v[21:22], v[23:24]
	s_or_b32 s3, vcc_lo, s3
	s_delay_alu instid0(SALU_CYCLE_1)
	s_and_not1_b32 exec_lo, exec_lo, s3
	s_cbranch_execnz .LBB166_34
; %bb.35:
	s_or_b32 exec_lo, exec_lo, s3
	v_cmp_ne_u32_e32 vcc_lo, 1, v34
	s_cbranch_vccnz .LBB166_62
.LBB166_36:
	v_dual_mov_b32 v23, 0 :: v_dual_mov_b32 v26, s21
	v_add_nc_u16 v27, v33, 0x2c0
	v_dual_mov_b32 v24, 0 :: v_dual_mov_b32 v25, s20
	s_mov_b32 s3, 0
	.p2align	6
.LBB166_37:                             ; =>This Inner Loop Header: Depth=1
	s_delay_alu instid0(VALU_DEP_1) | instskip(NEXT) | instid1(VALU_DEP_2)
	v_sub_co_u32 v28, vcc_lo, v25, v23
	v_sub_co_ci_u32_e32 v29, vcc_lo, v26, v24, vcc_lo
	s_delay_alu instid0(VALU_DEP_1) | instskip(SKIP_1) | instid1(VALU_DEP_2)
	v_lshrrev_b64 v[30:31], 1, v[28:29]
	v_lshrrev_b64 v[28:29], 6, v[28:29]
	v_add_co_u32 v30, vcc_lo, v30, v23
	s_delay_alu instid0(VALU_DEP_3) | instskip(NEXT) | instid1(VALU_DEP_2)
	v_add_co_ci_u32_e32 v31, vcc_lo, v31, v24, vcc_lo
	v_add_co_u32 v28, vcc_lo, v30, v28
	s_delay_alu instid0(VALU_DEP_2) | instskip(NEXT) | instid1(VALU_DEP_1)
	v_add_co_ci_u32_e32 v29, vcc_lo, v31, v29, vcc_lo
	v_lshlrev_b64 v[30:31], 1, v[28:29]
	s_delay_alu instid0(VALU_DEP_1) | instskip(NEXT) | instid1(VALU_DEP_2)
	v_add_co_u32 v30, vcc_lo, s18, v30
	v_add_co_ci_u32_e32 v31, vcc_lo, s19, v31, vcc_lo
	global_load_u16 v30, v[30:31], off
	v_add_co_u32 v31, vcc_lo, v28, 1
	v_add_co_ci_u32_e32 v32, vcc_lo, 0, v29, vcc_lo
	s_waitcnt vmcnt(0)
	v_cmp_gt_i16_e32 vcc_lo, v30, v27
	v_dual_cndmask_b32 v26, v26, v29 :: v_dual_cndmask_b32 v25, v25, v28
	s_delay_alu instid0(VALU_DEP_3) | instskip(NEXT) | instid1(VALU_DEP_1)
	v_dual_cndmask_b32 v24, v32, v24 :: v_dual_cndmask_b32 v23, v31, v23
	v_cmp_ge_u64_e32 vcc_lo, v[23:24], v[25:26]
	s_or_b32 s3, vcc_lo, s3
	s_delay_alu instid0(SALU_CYCLE_1)
	s_and_not1_b32 exec_lo, exec_lo, s3
	s_cbranch_execnz .LBB166_37
; %bb.38:
	s_or_b32 exec_lo, exec_lo, s3
	v_cmp_ne_u32_e32 vcc_lo, 1, v34
	s_cbranch_vccnz .LBB166_63
.LBB166_39:
	v_dual_mov_b32 v25, 0 :: v_dual_mov_b32 v28, s21
	v_add_nc_u16 v29, v33, 0x300
	v_dual_mov_b32 v26, 0 :: v_dual_mov_b32 v27, s20
	s_mov_b32 s3, 0
	.p2align	6
.LBB166_40:                             ; =>This Inner Loop Header: Depth=1
	s_delay_alu instid0(VALU_DEP_1) | instskip(NEXT) | instid1(VALU_DEP_2)
	v_sub_co_u32 v30, vcc_lo, v27, v25
	v_sub_co_ci_u32_e32 v31, vcc_lo, v28, v26, vcc_lo
	s_delay_alu instid0(VALU_DEP_1) | instskip(SKIP_1) | instid1(VALU_DEP_2)
	v_lshrrev_b64 v[35:36], 1, v[30:31]
	v_lshrrev_b64 v[30:31], 6, v[30:31]
	v_add_co_u32 v32, vcc_lo, v35, v25
	s_delay_alu instid0(VALU_DEP_3) | instskip(NEXT) | instid1(VALU_DEP_2)
	v_add_co_ci_u32_e32 v35, vcc_lo, v36, v26, vcc_lo
	v_add_co_u32 v30, vcc_lo, v32, v30
	s_delay_alu instid0(VALU_DEP_2) | instskip(NEXT) | instid1(VALU_DEP_1)
	v_add_co_ci_u32_e32 v31, vcc_lo, v35, v31, vcc_lo
	v_lshlrev_b64 v[35:36], 1, v[30:31]
	s_delay_alu instid0(VALU_DEP_1) | instskip(NEXT) | instid1(VALU_DEP_2)
	v_add_co_u32 v35, vcc_lo, s18, v35
	v_add_co_ci_u32_e32 v36, vcc_lo, s19, v36, vcc_lo
	global_load_u16 v32, v[35:36], off
	v_add_co_u32 v35, vcc_lo, v30, 1
	v_add_co_ci_u32_e32 v36, vcc_lo, 0, v31, vcc_lo
	s_waitcnt vmcnt(0)
	v_cmp_gt_i16_e32 vcc_lo, v32, v29
	v_dual_cndmask_b32 v28, v28, v31 :: v_dual_cndmask_b32 v27, v27, v30
	s_delay_alu instid0(VALU_DEP_3) | instskip(NEXT) | instid1(VALU_DEP_1)
	v_dual_cndmask_b32 v26, v36, v26 :: v_dual_cndmask_b32 v25, v35, v25
	v_cmp_ge_u64_e32 vcc_lo, v[25:26], v[27:28]
	s_or_b32 s3, vcc_lo, s3
	s_delay_alu instid0(SALU_CYCLE_1)
	s_and_not1_b32 exec_lo, exec_lo, s3
	s_cbranch_execnz .LBB166_40
; %bb.41:
	s_or_b32 exec_lo, exec_lo, s3
	v_cmp_ne_u32_e32 vcc_lo, 1, v34
	s_cbranch_vccnz .LBB166_64
.LBB166_42:
	v_dual_mov_b32 v27, 0 :: v_dual_mov_b32 v30, s21
	v_add_nc_u16 v31, v33, 0x340
	v_dual_mov_b32 v28, 0 :: v_dual_mov_b32 v29, s20
	s_mov_b32 s3, 0
	.p2align	6
.LBB166_43:                             ; =>This Inner Loop Header: Depth=1
	s_delay_alu instid0(VALU_DEP_1) | instskip(NEXT) | instid1(VALU_DEP_2)
	v_sub_co_u32 v35, vcc_lo, v29, v27
	v_sub_co_ci_u32_e32 v36, vcc_lo, v30, v28, vcc_lo
	s_delay_alu instid0(VALU_DEP_1) | instskip(SKIP_1) | instid1(VALU_DEP_2)
	v_lshrrev_b64 v[37:38], 1, v[35:36]
	v_lshrrev_b64 v[35:36], 6, v[35:36]
	v_add_co_u32 v32, vcc_lo, v37, v27
	s_delay_alu instid0(VALU_DEP_3) | instskip(NEXT) | instid1(VALU_DEP_2)
	v_add_co_ci_u32_e32 v37, vcc_lo, v38, v28, vcc_lo
	v_add_co_u32 v35, vcc_lo, v32, v35
	s_delay_alu instid0(VALU_DEP_2) | instskip(NEXT) | instid1(VALU_DEP_1)
	v_add_co_ci_u32_e32 v36, vcc_lo, v37, v36, vcc_lo
	v_lshlrev_b64 v[37:38], 1, v[35:36]
	s_delay_alu instid0(VALU_DEP_1) | instskip(NEXT) | instid1(VALU_DEP_2)
	v_add_co_u32 v37, vcc_lo, s18, v37
	v_add_co_ci_u32_e32 v38, vcc_lo, s19, v38, vcc_lo
	global_load_u16 v32, v[37:38], off
	v_add_co_u32 v37, vcc_lo, v35, 1
	v_add_co_ci_u32_e32 v38, vcc_lo, 0, v36, vcc_lo
	s_waitcnt vmcnt(0)
	v_cmp_gt_i16_e32 vcc_lo, v32, v31
	v_dual_cndmask_b32 v30, v30, v36 :: v_dual_cndmask_b32 v29, v29, v35
	s_delay_alu instid0(VALU_DEP_3) | instskip(NEXT) | instid1(VALU_DEP_1)
	v_dual_cndmask_b32 v28, v38, v28 :: v_dual_cndmask_b32 v27, v37, v27
	v_cmp_ge_u64_e32 vcc_lo, v[27:28], v[29:30]
	s_or_b32 s3, vcc_lo, s3
	s_delay_alu instid0(SALU_CYCLE_1)
	s_and_not1_b32 exec_lo, exec_lo, s3
	s_cbranch_execnz .LBB166_43
; %bb.44:
	s_or_b32 exec_lo, exec_lo, s3
	v_cmp_ne_u32_e32 vcc_lo, 1, v34
	s_cbranch_vccnz .LBB166_65
.LBB166_45:
	v_dual_mov_b32 v31, 0 :: v_dual_mov_b32 v30, s21
	v_add_nc_u16 v35, v33, 0x380
	v_dual_mov_b32 v32, 0 :: v_dual_mov_b32 v29, s20
	s_mov_b32 s3, 0
	.p2align	6
.LBB166_46:                             ; =>This Inner Loop Header: Depth=1
	s_delay_alu instid0(VALU_DEP_1) | instskip(NEXT) | instid1(VALU_DEP_2)
	v_sub_co_u32 v36, vcc_lo, v29, v31
	v_sub_co_ci_u32_e32 v37, vcc_lo, v30, v32, vcc_lo
	s_delay_alu instid0(VALU_DEP_1) | instskip(SKIP_1) | instid1(VALU_DEP_2)
	v_lshrrev_b64 v[38:39], 1, v[36:37]
	v_lshrrev_b64 v[36:37], 6, v[36:37]
	v_add_co_u32 v38, vcc_lo, v38, v31
	s_delay_alu instid0(VALU_DEP_3) | instskip(NEXT) | instid1(VALU_DEP_2)
	v_add_co_ci_u32_e32 v39, vcc_lo, v39, v32, vcc_lo
	v_add_co_u32 v36, vcc_lo, v38, v36
	s_delay_alu instid0(VALU_DEP_2) | instskip(NEXT) | instid1(VALU_DEP_1)
	v_add_co_ci_u32_e32 v37, vcc_lo, v39, v37, vcc_lo
	v_lshlrev_b64 v[38:39], 1, v[36:37]
	s_delay_alu instid0(VALU_DEP_1) | instskip(NEXT) | instid1(VALU_DEP_2)
	v_add_co_u32 v38, vcc_lo, s18, v38
	v_add_co_ci_u32_e32 v39, vcc_lo, s19, v39, vcc_lo
	global_load_u16 v38, v[38:39], off
	v_add_co_u32 v39, vcc_lo, v36, 1
	v_add_co_ci_u32_e32 v40, vcc_lo, 0, v37, vcc_lo
	s_waitcnt vmcnt(0)
	v_cmp_gt_i16_e32 vcc_lo, v38, v35
	v_dual_cndmask_b32 v30, v30, v37 :: v_dual_cndmask_b32 v29, v29, v36
	s_delay_alu instid0(VALU_DEP_3) | instskip(NEXT) | instid1(VALU_DEP_1)
	v_dual_cndmask_b32 v32, v40, v32 :: v_dual_cndmask_b32 v31, v39, v31
	v_cmp_ge_u64_e32 vcc_lo, v[31:32], v[29:30]
	s_or_b32 s3, vcc_lo, s3
	s_delay_alu instid0(SALU_CYCLE_1)
	s_and_not1_b32 exec_lo, exec_lo, s3
	s_cbranch_execnz .LBB166_46
; %bb.47:
	s_or_b32 exec_lo, exec_lo, s3
	v_cmp_ne_u32_e32 vcc_lo, 1, v34
	s_cbranch_vccnz .LBB166_66
.LBB166_48:
	v_add_nc_u16 v35, v33, 0x3c0
	v_dual_mov_b32 v29, 0 :: v_dual_mov_b32 v34, s21
	v_dual_mov_b32 v30, 0 :: v_dual_mov_b32 v33, s20
	s_mov_b32 s3, 0
	.p2align	6
.LBB166_49:                             ; =>This Inner Loop Header: Depth=1
	s_delay_alu instid0(VALU_DEP_1) | instskip(NEXT) | instid1(VALU_DEP_2)
	v_sub_co_u32 v36, vcc_lo, v33, v29
	v_sub_co_ci_u32_e32 v37, vcc_lo, v34, v30, vcc_lo
	s_delay_alu instid0(VALU_DEP_1) | instskip(SKIP_1) | instid1(VALU_DEP_2)
	v_lshrrev_b64 v[38:39], 1, v[36:37]
	v_lshrrev_b64 v[36:37], 6, v[36:37]
	v_add_co_u32 v38, vcc_lo, v38, v29
	s_delay_alu instid0(VALU_DEP_3) | instskip(NEXT) | instid1(VALU_DEP_2)
	v_add_co_ci_u32_e32 v39, vcc_lo, v39, v30, vcc_lo
	v_add_co_u32 v36, vcc_lo, v38, v36
	s_delay_alu instid0(VALU_DEP_2) | instskip(NEXT) | instid1(VALU_DEP_1)
	v_add_co_ci_u32_e32 v37, vcc_lo, v39, v37, vcc_lo
	v_lshlrev_b64 v[38:39], 1, v[36:37]
	s_delay_alu instid0(VALU_DEP_1) | instskip(NEXT) | instid1(VALU_DEP_2)
	v_add_co_u32 v38, vcc_lo, s18, v38
	v_add_co_ci_u32_e32 v39, vcc_lo, s19, v39, vcc_lo
	global_load_u16 v38, v[38:39], off
	v_add_co_u32 v39, vcc_lo, v36, 1
	v_add_co_ci_u32_e32 v40, vcc_lo, 0, v37, vcc_lo
	s_waitcnt vmcnt(0)
	v_cmp_gt_i16_e32 vcc_lo, v38, v35
	v_dual_cndmask_b32 v34, v34, v37 :: v_dual_cndmask_b32 v33, v33, v36
	s_delay_alu instid0(VALU_DEP_3) | instskip(NEXT) | instid1(VALU_DEP_1)
	v_dual_cndmask_b32 v30, v40, v30 :: v_dual_cndmask_b32 v29, v39, v29
	v_cmp_ge_u64_e32 vcc_lo, v[29:30], v[33:34]
	s_or_b32 s3, vcc_lo, s3
	s_delay_alu instid0(SALU_CYCLE_1)
	s_and_not1_b32 exec_lo, exec_lo, s3
	s_cbranch_execnz .LBB166_49
; %bb.50:
	s_or_b32 exec_lo, exec_lo, s3
	s_branch .LBB166_67
.LBB166_51:
	s_mov_b32 s15, s17
                                        ; implicit-def: $vgpr29_vgpr30
                                        ; implicit-def: $vgpr33_vgpr34
	s_and_b32 vcc_lo, exec_lo, s3
	s_cbranch_vccnz .LBB166_68
	s_branch .LBB166_174
.LBB166_52:
	v_mov_b32_e32 v3, 0
	v_mov_b32_e32 v4, 0
	v_cmp_ne_u32_e32 vcc_lo, 1, v34
	s_cbranch_vccz .LBB166_9
.LBB166_53:
	v_mov_b32_e32 v5, 0
	v_mov_b32_e32 v6, 0
	v_cmp_ne_u32_e32 vcc_lo, 1, v34
	s_cbranch_vccz .LBB166_12
.LBB166_54:
	v_mov_b32_e32 v7, 0
	v_mov_b32_e32 v8, 0
	v_cmp_ne_u32_e32 vcc_lo, 1, v34
	s_cbranch_vccz .LBB166_15
.LBB166_55:
	v_mov_b32_e32 v9, 0
	v_mov_b32_e32 v10, 0
	v_cmp_ne_u32_e32 vcc_lo, 1, v34
	s_cbranch_vccz .LBB166_18
.LBB166_56:
	v_mov_b32_e32 v11, 0
	v_mov_b32_e32 v12, 0
	v_cmp_ne_u32_e32 vcc_lo, 1, v34
	s_cbranch_vccz .LBB166_21
.LBB166_57:
	v_mov_b32_e32 v13, 0
	v_mov_b32_e32 v14, 0
	v_cmp_ne_u32_e32 vcc_lo, 1, v34
	s_cbranch_vccz .LBB166_24
.LBB166_58:
	v_mov_b32_e32 v15, 0
	v_mov_b32_e32 v16, 0
	v_cmp_ne_u32_e32 vcc_lo, 1, v34
	s_cbranch_vccz .LBB166_27
.LBB166_59:
	v_mov_b32_e32 v17, 0
	v_mov_b32_e32 v18, 0
	v_cmp_ne_u32_e32 vcc_lo, 1, v34
	s_cbranch_vccz .LBB166_30
.LBB166_60:
	v_mov_b32_e32 v19, 0
	v_mov_b32_e32 v20, 0
	v_cmp_ne_u32_e32 vcc_lo, 1, v34
	s_cbranch_vccz .LBB166_33
.LBB166_61:
	v_mov_b32_e32 v21, 0
	v_mov_b32_e32 v22, 0
	v_cmp_ne_u32_e32 vcc_lo, 1, v34
	s_cbranch_vccz .LBB166_36
.LBB166_62:
	v_mov_b32_e32 v23, 0
	v_mov_b32_e32 v24, 0
	v_cmp_ne_u32_e32 vcc_lo, 1, v34
	s_cbranch_vccz .LBB166_39
.LBB166_63:
	v_mov_b32_e32 v25, 0
	v_mov_b32_e32 v26, 0
	v_cmp_ne_u32_e32 vcc_lo, 1, v34
	s_cbranch_vccz .LBB166_42
.LBB166_64:
	v_mov_b32_e32 v27, 0
	v_mov_b32_e32 v28, 0
	v_cmp_ne_u32_e32 vcc_lo, 1, v34
	s_cbranch_vccz .LBB166_45
.LBB166_65:
	v_mov_b32_e32 v31, 0
	v_mov_b32_e32 v32, 0
	v_cmp_ne_u32_e32 vcc_lo, 1, v34
	s_cbranch_vccz .LBB166_48
.LBB166_66:
	v_mov_b32_e32 v29, 0
	v_mov_b32_e32 v30, 0
.LBB166_67:
	v_lshlrev_b32_e32 v35, 3, v0
	s_lshl_b64 s[4:5], s[16:17], 3
	s_delay_alu instid0(SALU_CYCLE_1) | instskip(SKIP_1) | instid1(VALU_DEP_1)
	s_add_u32 s4, s22, s4
	s_addc_u32 s5, s23, s5
	v_add_co_u32 v33, s6, s4, v35
	s_delay_alu instid0(VALU_DEP_1)
	v_add_co_ci_u32_e64 v34, null, s5, 0, s6
	s_clause 0x3
	global_store_b64 v35, v[1:2], s[4:5]
	global_store_b64 v35, v[3:4], s[4:5] offset:512
	global_store_b64 v35, v[5:6], s[4:5] offset:1024
	;; [unrolled: 1-line block ×3, first 2 shown]
	v_add_co_u32 v1, vcc_lo, 0x1000, v33
	v_add_co_ci_u32_e32 v2, vcc_lo, 0, v34, vcc_lo
	s_clause 0x7
	global_store_b64 v35, v[9:10], s[4:5] offset:2048
	global_store_b64 v35, v[11:12], s[4:5] offset:2560
	;; [unrolled: 1-line block ×4, first 2 shown]
	global_store_b64 v[1:2], v[17:18], off
	global_store_b64 v[1:2], v[19:20], off offset:512
	global_store_b64 v[1:2], v[21:22], off offset:1024
	;; [unrolled: 1-line block ×3, first 2 shown]
	s_mov_b32 s15, -1
	s_clause 0x2
	global_store_b64 v[1:2], v[25:26], off offset:2048
	global_store_b64 v[1:2], v[27:28], off offset:2560
	;; [unrolled: 1-line block ×3, first 2 shown]
	s_branch .LBB166_174
.LBB166_68:
	s_load_b32 s0, s[0:1], 0x10
	v_or_b32_e32 v1, 64, v0
	s_add_i32 s2, s2, s16
	v_or_b32_e32 v2, 0x80, v0
	v_or_b32_e32 v3, 0xc0, v0
	;; [unrolled: 1-line block ×4, first 2 shown]
	v_add_nc_u16 v5, s2, v0
	v_add_nc_u16 v8, s2, v1
	v_or_b32_e32 v7, 0x180, v0
	v_add_nc_u16 v9, s2, v2
	v_add_nc_u16 v10, s2, v3
	;; [unrolled: 1-line block ×4, first 2 shown]
	v_perm_b32 v8, v8, v5, 0x5040100
	v_and_b32_e32 v13, 0xffff, v9
	v_perm_b32 v9, v10, v9, 0x5040100
	v_or_b32_e32 v10, 0x200, v0
	s_waitcnt lgkmcnt(0)
	s_sub_i32 s14, s0, s16
	s_cmp_lg_u64 s[20:21], 0
	v_cmp_gt_u32_e64 s13, s14, v1
	v_or_b32_e32 v1, 0x1c0, v0
	v_cmp_gt_u32_e64 s12, s14, v2
	v_cmp_gt_u32_e64 s10, s14, v3
	;; [unrolled: 1-line block ×3, first 2 shown]
	v_cndmask_b32_e64 v5, v5, v8, s13
	v_and_b32_e32 v2, 0xffff, v11
	v_perm_b32 v3, v12, v11, 0x5040100
	v_add_nc_u16 v4, s2, v7
	v_add_nc_u16 v8, s2, v1
	v_or_b32_e32 v11, 0x240, v0
	v_cmp_gt_u32_e64 s11, s14, v6
	v_cndmask_b32_e64 v9, v13, v9, s10
	v_cmp_gt_u32_e64 s7, s14, v1
	v_cmp_gt_u32_e64 s9, s14, v7
	v_add_nc_u16 v6, s2, v11
	v_cndmask_b32_e64 v13, v2, v3, s11
	v_and_b32_e32 v2, 0xffff, v4
	v_perm_b32 v3, v8, v4, 0x5040100
	v_add_nc_u16 v4, s2, v10
	v_or_b32_e32 v7, 0x280, v0
	v_cmp_gt_u32_e64 s5, s14, v11
	v_cmp_gt_u32_e64 s6, s14, v10
	v_cndmask_b32_e64 v17, v2, v3, s7
	v_perm_b32 v1, v6, v4, 0x5040100
	v_or_b32_e32 v2, 0x2c0, v0
	v_add_nc_u16 v3, s2, v7
	v_cmp_gt_u32_e64 s3, s14, v7
	v_or_b32_e32 v7, 0x340, v0
	v_cndmask_b32_e64 v21, v4, v1, s5
	v_add_nc_u16 v1, s2, v2
	v_or_b32_e32 v4, 0x300, v0
	v_and_b32_e32 v6, 0xffff, v3
	v_or_b32_e32 v8, 0x380, v0
	v_or_b32_e32 v10, 0x3c0, v0
	v_perm_b32 v1, v1, v3, 0x5040100
	v_cmp_gt_u32_e64 s4, s14, v2
	v_add_nc_u16 v3, s2, v4
	v_add_nc_u16 v11, s2, v7
	;; [unrolled: 1-line block ×3, first 2 shown]
	v_cmp_gt_u32_e64 s1, s14, v7
	v_cndmask_b32_e64 v25, v6, v1, s4
	v_add_nc_u16 v1, s2, v8
	v_and_b32_e32 v6, 0xffff, v3
	v_perm_b32 v3, v11, v3, 0x5040100
	v_cmp_gt_u32_e64 s2, s14, v4
	v_cmp_gt_u32_e64 s15, s14, v10
	v_and_b32_e32 v4, 0xffff, v1
	v_perm_b32 v1, v2, v1, 0x5040100
	v_cndmask_b32_e64 v29, v6, v3, s1
	v_cmp_gt_u32_e64 s0, s14, v8
	v_cmp_gt_u32_e64 s14, s14, v0
	s_cselect_b32 s24, -1, 0
	v_cndmask_b32_e64 v33, v4, v1, s15
                                        ; implicit-def: $vgpr1_vgpr2
	s_delay_alu instid0(VALU_DEP_2)
	s_and_saveexec_b32 s25, s14
	s_cbranch_execz .LBB166_73
; %bb.69:
	v_mov_b32_e32 v1, 0
	v_mov_b32_e32 v2, 0
	s_and_not1_b32 vcc_lo, exec_lo, s24
	s_cbranch_vccnz .LBB166_73
; %bb.70:
	v_dual_mov_b32 v3, s20 :: v_dual_mov_b32 v4, s21
	s_mov_b32 s26, 0
	.p2align	6
.LBB166_71:                             ; =>This Inner Loop Header: Depth=1
	s_delay_alu instid0(VALU_DEP_1) | instskip(NEXT) | instid1(VALU_DEP_2)
	v_sub_co_u32 v6, vcc_lo, v3, v1
	v_sub_co_ci_u32_e32 v7, vcc_lo, v4, v2, vcc_lo
	s_delay_alu instid0(VALU_DEP_1) | instskip(SKIP_1) | instid1(VALU_DEP_2)
	v_lshrrev_b64 v[10:11], 1, v[6:7]
	v_lshrrev_b64 v[6:7], 6, v[6:7]
	v_add_co_u32 v8, vcc_lo, v10, v1
	s_delay_alu instid0(VALU_DEP_3) | instskip(NEXT) | instid1(VALU_DEP_2)
	v_add_co_ci_u32_e32 v10, vcc_lo, v11, v2, vcc_lo
	v_add_co_u32 v6, vcc_lo, v8, v6
	s_delay_alu instid0(VALU_DEP_2) | instskip(NEXT) | instid1(VALU_DEP_1)
	v_add_co_ci_u32_e32 v7, vcc_lo, v10, v7, vcc_lo
	v_lshlrev_b64 v[10:11], 1, v[6:7]
	s_delay_alu instid0(VALU_DEP_1) | instskip(NEXT) | instid1(VALU_DEP_2)
	v_add_co_u32 v10, vcc_lo, s18, v10
	v_add_co_ci_u32_e32 v11, vcc_lo, s19, v11, vcc_lo
	global_load_u16 v8, v[10:11], off
	v_add_co_u32 v10, vcc_lo, v6, 1
	v_add_co_ci_u32_e32 v11, vcc_lo, 0, v7, vcc_lo
	s_waitcnt vmcnt(0)
	v_cmp_gt_i16_e32 vcc_lo, v8, v5
	v_dual_cndmask_b32 v4, v4, v7 :: v_dual_cndmask_b32 v3, v3, v6
	s_delay_alu instid0(VALU_DEP_3) | instskip(NEXT) | instid1(VALU_DEP_1)
	v_dual_cndmask_b32 v2, v11, v2 :: v_dual_cndmask_b32 v1, v10, v1
	v_cmp_ge_u64_e32 vcc_lo, v[1:2], v[3:4]
	s_or_b32 s26, vcc_lo, s26
	s_delay_alu instid0(SALU_CYCLE_1)
	s_and_not1_b32 exec_lo, exec_lo, s26
	s_cbranch_execnz .LBB166_71
; %bb.72:
	s_or_b32 exec_lo, exec_lo, s26
.LBB166_73:
	s_delay_alu instid0(SALU_CYCLE_1)
	s_or_b32 exec_lo, exec_lo, s25
                                        ; implicit-def: $vgpr3_vgpr4
	s_and_saveexec_b32 s25, s13
	s_cbranch_execz .LBB166_78
; %bb.74:
	s_and_not1_b32 vcc_lo, exec_lo, s24
	s_cbranch_vccnz .LBB166_83
; %bb.75:
	v_mov_b32_e32 v3, 0
	v_lshrrev_b32_e32 v7, 16, v5
	v_dual_mov_b32 v4, 0 :: v_dual_mov_b32 v5, s20
	v_mov_b32_e32 v6, s21
	s_mov_b32 s26, 0
	.p2align	6
.LBB166_76:                             ; =>This Inner Loop Header: Depth=1
	s_delay_alu instid0(VALU_DEP_2) | instskip(NEXT) | instid1(VALU_DEP_2)
	v_sub_co_u32 v10, vcc_lo, v5, v3
	v_sub_co_ci_u32_e32 v11, vcc_lo, v6, v4, vcc_lo
	s_delay_alu instid0(VALU_DEP_1) | instskip(SKIP_1) | instid1(VALU_DEP_2)
	v_lshrrev_b64 v[14:15], 1, v[10:11]
	v_lshrrev_b64 v[10:11], 6, v[10:11]
	v_add_co_u32 v8, vcc_lo, v14, v3
	s_delay_alu instid0(VALU_DEP_3) | instskip(NEXT) | instid1(VALU_DEP_2)
	v_add_co_ci_u32_e32 v12, vcc_lo, v15, v4, vcc_lo
	v_add_co_u32 v10, vcc_lo, v8, v10
	s_delay_alu instid0(VALU_DEP_2) | instskip(NEXT) | instid1(VALU_DEP_1)
	v_add_co_ci_u32_e32 v11, vcc_lo, v12, v11, vcc_lo
	v_lshlrev_b64 v[14:15], 1, v[10:11]
	s_delay_alu instid0(VALU_DEP_1) | instskip(NEXT) | instid1(VALU_DEP_2)
	v_add_co_u32 v14, vcc_lo, s18, v14
	v_add_co_ci_u32_e32 v15, vcc_lo, s19, v15, vcc_lo
	v_add_co_u32 v12, vcc_lo, v10, 1
	global_load_u16 v8, v[14:15], off
	v_add_co_ci_u32_e32 v14, vcc_lo, 0, v11, vcc_lo
	s_waitcnt vmcnt(0)
	v_cmp_gt_i16_e32 vcc_lo, v8, v7
	v_dual_cndmask_b32 v6, v6, v11 :: v_dual_cndmask_b32 v5, v5, v10
	s_delay_alu instid0(VALU_DEP_3) | instskip(NEXT) | instid1(VALU_DEP_1)
	v_dual_cndmask_b32 v4, v14, v4 :: v_dual_cndmask_b32 v3, v12, v3
	v_cmp_ge_u64_e32 vcc_lo, v[3:4], v[5:6]
	s_or_b32 s26, vcc_lo, s26
	s_delay_alu instid0(SALU_CYCLE_1)
	s_and_not1_b32 exec_lo, exec_lo, s26
	s_cbranch_execnz .LBB166_76
; %bb.77:
	s_or_b32 exec_lo, exec_lo, s26
.LBB166_78:
	s_delay_alu instid0(SALU_CYCLE_1)
	s_or_b32 exec_lo, exec_lo, s25
                                        ; implicit-def: $vgpr5_vgpr6
	s_and_saveexec_b32 s25, s12
	s_cbranch_execz .LBB166_84
.LBB166_79:
	v_mov_b32_e32 v5, 0
	v_mov_b32_e32 v6, 0
	s_and_not1_b32 vcc_lo, exec_lo, s24
	s_cbranch_vccnz .LBB166_84
; %bb.80:
	v_dual_mov_b32 v7, s20 :: v_dual_mov_b32 v8, s21
	s_mov_b32 s26, 0
	.p2align	6
.LBB166_81:                             ; =>This Inner Loop Header: Depth=1
	s_delay_alu instid0(VALU_DEP_1) | instskip(NEXT) | instid1(VALU_DEP_2)
	v_sub_co_u32 v10, vcc_lo, v7, v5
	v_sub_co_ci_u32_e32 v11, vcc_lo, v8, v6, vcc_lo
	s_delay_alu instid0(VALU_DEP_1) | instskip(SKIP_1) | instid1(VALU_DEP_2)
	v_lshrrev_b64 v[14:15], 1, v[10:11]
	v_lshrrev_b64 v[10:11], 6, v[10:11]
	v_add_co_u32 v12, vcc_lo, v14, v5
	s_delay_alu instid0(VALU_DEP_3) | instskip(NEXT) | instid1(VALU_DEP_2)
	v_add_co_ci_u32_e32 v14, vcc_lo, v15, v6, vcc_lo
	v_add_co_u32 v10, vcc_lo, v12, v10
	s_delay_alu instid0(VALU_DEP_2) | instskip(NEXT) | instid1(VALU_DEP_1)
	v_add_co_ci_u32_e32 v11, vcc_lo, v14, v11, vcc_lo
	v_lshlrev_b64 v[14:15], 1, v[10:11]
	s_delay_alu instid0(VALU_DEP_1) | instskip(NEXT) | instid1(VALU_DEP_2)
	v_add_co_u32 v14, vcc_lo, s18, v14
	v_add_co_ci_u32_e32 v15, vcc_lo, s19, v15, vcc_lo
	global_load_u16 v12, v[14:15], off
	v_add_co_u32 v14, vcc_lo, v10, 1
	v_add_co_ci_u32_e32 v15, vcc_lo, 0, v11, vcc_lo
	s_waitcnt vmcnt(0)
	v_cmp_gt_i16_e32 vcc_lo, v12, v9
	v_dual_cndmask_b32 v8, v8, v11 :: v_dual_cndmask_b32 v7, v7, v10
	s_delay_alu instid0(VALU_DEP_3) | instskip(NEXT) | instid1(VALU_DEP_1)
	v_dual_cndmask_b32 v6, v15, v6 :: v_dual_cndmask_b32 v5, v14, v5
	v_cmp_ge_u64_e32 vcc_lo, v[5:6], v[7:8]
	s_or_b32 s26, vcc_lo, s26
	s_delay_alu instid0(SALU_CYCLE_1)
	s_and_not1_b32 exec_lo, exec_lo, s26
	s_cbranch_execnz .LBB166_81
; %bb.82:
	s_or_b32 exec_lo, exec_lo, s26
	s_branch .LBB166_84
.LBB166_83:
	v_mov_b32_e32 v3, 0
	v_mov_b32_e32 v4, 0
	s_or_b32 exec_lo, exec_lo, s25
                                        ; implicit-def: $vgpr5_vgpr6
	s_and_saveexec_b32 s25, s12
	s_cbranch_execnz .LBB166_79
.LBB166_84:
	s_or_b32 exec_lo, exec_lo, s25
                                        ; implicit-def: $vgpr7_vgpr8
	s_and_saveexec_b32 s25, s10
	s_cbranch_execz .LBB166_89
; %bb.85:
	s_and_not1_b32 vcc_lo, exec_lo, s24
	s_cbranch_vccnz .LBB166_94
; %bb.86:
	v_mov_b32_e32 v7, 0
	v_lshrrev_b32_e32 v11, 16, v9
	v_dual_mov_b32 v8, 0 :: v_dual_mov_b32 v9, s20
	v_mov_b32_e32 v10, s21
	s_mov_b32 s26, 0
	.p2align	6
.LBB166_87:                             ; =>This Inner Loop Header: Depth=1
	s_delay_alu instid0(VALU_DEP_2) | instskip(NEXT) | instid1(VALU_DEP_2)
	v_sub_co_u32 v14, vcc_lo, v9, v7
	v_sub_co_ci_u32_e32 v15, vcc_lo, v10, v8, vcc_lo
	s_delay_alu instid0(VALU_DEP_1) | instskip(SKIP_1) | instid1(VALU_DEP_2)
	v_lshrrev_b64 v[18:19], 1, v[14:15]
	v_lshrrev_b64 v[14:15], 6, v[14:15]
	v_add_co_u32 v12, vcc_lo, v18, v7
	s_delay_alu instid0(VALU_DEP_3) | instskip(NEXT) | instid1(VALU_DEP_2)
	v_add_co_ci_u32_e32 v16, vcc_lo, v19, v8, vcc_lo
	v_add_co_u32 v14, vcc_lo, v12, v14
	s_delay_alu instid0(VALU_DEP_2) | instskip(NEXT) | instid1(VALU_DEP_1)
	v_add_co_ci_u32_e32 v15, vcc_lo, v16, v15, vcc_lo
	v_lshlrev_b64 v[18:19], 1, v[14:15]
	s_delay_alu instid0(VALU_DEP_1) | instskip(NEXT) | instid1(VALU_DEP_2)
	v_add_co_u32 v18, vcc_lo, s18, v18
	v_add_co_ci_u32_e32 v19, vcc_lo, s19, v19, vcc_lo
	v_add_co_u32 v16, vcc_lo, v14, 1
	global_load_u16 v12, v[18:19], off
	v_add_co_ci_u32_e32 v18, vcc_lo, 0, v15, vcc_lo
	s_waitcnt vmcnt(0)
	v_cmp_gt_i16_e32 vcc_lo, v12, v11
	v_dual_cndmask_b32 v10, v10, v15 :: v_dual_cndmask_b32 v9, v9, v14
	s_delay_alu instid0(VALU_DEP_3) | instskip(NEXT) | instid1(VALU_DEP_1)
	v_dual_cndmask_b32 v8, v18, v8 :: v_dual_cndmask_b32 v7, v16, v7
	v_cmp_ge_u64_e32 vcc_lo, v[7:8], v[9:10]
	s_or_b32 s26, vcc_lo, s26
	s_delay_alu instid0(SALU_CYCLE_1)
	s_and_not1_b32 exec_lo, exec_lo, s26
	s_cbranch_execnz .LBB166_87
; %bb.88:
	s_or_b32 exec_lo, exec_lo, s26
.LBB166_89:
	s_delay_alu instid0(SALU_CYCLE_1)
	s_or_b32 exec_lo, exec_lo, s25
                                        ; implicit-def: $vgpr9_vgpr10
	s_and_saveexec_b32 s25, s8
	s_cbranch_execz .LBB166_95
.LBB166_90:
	v_mov_b32_e32 v9, 0
	v_mov_b32_e32 v10, 0
	s_and_not1_b32 vcc_lo, exec_lo, s24
	s_cbranch_vccnz .LBB166_95
; %bb.91:
	v_dual_mov_b32 v11, s20 :: v_dual_mov_b32 v12, s21
	s_mov_b32 s26, 0
	.p2align	6
.LBB166_92:                             ; =>This Inner Loop Header: Depth=1
	s_delay_alu instid0(VALU_DEP_1) | instskip(NEXT) | instid1(VALU_DEP_2)
	v_sub_co_u32 v14, vcc_lo, v11, v9
	v_sub_co_ci_u32_e32 v15, vcc_lo, v12, v10, vcc_lo
	s_delay_alu instid0(VALU_DEP_1) | instskip(SKIP_1) | instid1(VALU_DEP_2)
	v_lshrrev_b64 v[18:19], 1, v[14:15]
	v_lshrrev_b64 v[14:15], 6, v[14:15]
	v_add_co_u32 v16, vcc_lo, v18, v9
	s_delay_alu instid0(VALU_DEP_3) | instskip(NEXT) | instid1(VALU_DEP_2)
	v_add_co_ci_u32_e32 v18, vcc_lo, v19, v10, vcc_lo
	v_add_co_u32 v14, vcc_lo, v16, v14
	s_delay_alu instid0(VALU_DEP_2) | instskip(NEXT) | instid1(VALU_DEP_1)
	v_add_co_ci_u32_e32 v15, vcc_lo, v18, v15, vcc_lo
	v_lshlrev_b64 v[18:19], 1, v[14:15]
	s_delay_alu instid0(VALU_DEP_1) | instskip(NEXT) | instid1(VALU_DEP_2)
	v_add_co_u32 v18, vcc_lo, s18, v18
	v_add_co_ci_u32_e32 v19, vcc_lo, s19, v19, vcc_lo
	global_load_u16 v16, v[18:19], off
	v_add_co_u32 v18, vcc_lo, v14, 1
	v_add_co_ci_u32_e32 v19, vcc_lo, 0, v15, vcc_lo
	s_waitcnt vmcnt(0)
	v_cmp_gt_i16_e32 vcc_lo, v16, v13
	v_dual_cndmask_b32 v12, v12, v15 :: v_dual_cndmask_b32 v11, v11, v14
	s_delay_alu instid0(VALU_DEP_3) | instskip(NEXT) | instid1(VALU_DEP_1)
	v_dual_cndmask_b32 v10, v19, v10 :: v_dual_cndmask_b32 v9, v18, v9
	v_cmp_ge_u64_e32 vcc_lo, v[9:10], v[11:12]
	s_or_b32 s26, vcc_lo, s26
	s_delay_alu instid0(SALU_CYCLE_1)
	s_and_not1_b32 exec_lo, exec_lo, s26
	s_cbranch_execnz .LBB166_92
; %bb.93:
	s_or_b32 exec_lo, exec_lo, s26
	s_branch .LBB166_95
.LBB166_94:
	v_mov_b32_e32 v7, 0
	v_mov_b32_e32 v8, 0
	s_or_b32 exec_lo, exec_lo, s25
                                        ; implicit-def: $vgpr9_vgpr10
	s_and_saveexec_b32 s25, s8
	s_cbranch_execnz .LBB166_90
.LBB166_95:
	s_or_b32 exec_lo, exec_lo, s25
                                        ; implicit-def: $vgpr11_vgpr12
	s_and_saveexec_b32 s25, s11
	s_cbranch_execz .LBB166_100
; %bb.96:
	s_and_not1_b32 vcc_lo, exec_lo, s24
	s_cbranch_vccnz .LBB166_105
; %bb.97:
	v_mov_b32_e32 v11, 0
	v_lshrrev_b32_e32 v15, 16, v13
	v_dual_mov_b32 v12, 0 :: v_dual_mov_b32 v13, s20
	v_mov_b32_e32 v14, s21
	s_mov_b32 s26, 0
	.p2align	6
.LBB166_98:                             ; =>This Inner Loop Header: Depth=1
	s_delay_alu instid0(VALU_DEP_2) | instskip(NEXT) | instid1(VALU_DEP_2)
	v_sub_co_u32 v18, vcc_lo, v13, v11
	v_sub_co_ci_u32_e32 v19, vcc_lo, v14, v12, vcc_lo
	s_delay_alu instid0(VALU_DEP_1) | instskip(SKIP_1) | instid1(VALU_DEP_2)
	v_lshrrev_b64 v[22:23], 1, v[18:19]
	v_lshrrev_b64 v[18:19], 6, v[18:19]
	v_add_co_u32 v16, vcc_lo, v22, v11
	s_delay_alu instid0(VALU_DEP_3) | instskip(NEXT) | instid1(VALU_DEP_2)
	v_add_co_ci_u32_e32 v20, vcc_lo, v23, v12, vcc_lo
	v_add_co_u32 v18, vcc_lo, v16, v18
	s_delay_alu instid0(VALU_DEP_2) | instskip(NEXT) | instid1(VALU_DEP_1)
	v_add_co_ci_u32_e32 v19, vcc_lo, v20, v19, vcc_lo
	v_lshlrev_b64 v[22:23], 1, v[18:19]
	s_delay_alu instid0(VALU_DEP_1) | instskip(NEXT) | instid1(VALU_DEP_2)
	v_add_co_u32 v22, vcc_lo, s18, v22
	v_add_co_ci_u32_e32 v23, vcc_lo, s19, v23, vcc_lo
	v_add_co_u32 v20, vcc_lo, v18, 1
	global_load_u16 v16, v[22:23], off
	v_add_co_ci_u32_e32 v22, vcc_lo, 0, v19, vcc_lo
	s_waitcnt vmcnt(0)
	v_cmp_gt_i16_e32 vcc_lo, v16, v15
	v_dual_cndmask_b32 v14, v14, v19 :: v_dual_cndmask_b32 v13, v13, v18
	s_delay_alu instid0(VALU_DEP_3) | instskip(NEXT) | instid1(VALU_DEP_1)
	v_dual_cndmask_b32 v12, v22, v12 :: v_dual_cndmask_b32 v11, v20, v11
	v_cmp_ge_u64_e32 vcc_lo, v[11:12], v[13:14]
	s_or_b32 s26, vcc_lo, s26
	s_delay_alu instid0(SALU_CYCLE_1)
	s_and_not1_b32 exec_lo, exec_lo, s26
	s_cbranch_execnz .LBB166_98
; %bb.99:
	s_or_b32 exec_lo, exec_lo, s26
.LBB166_100:
	s_delay_alu instid0(SALU_CYCLE_1)
	s_or_b32 exec_lo, exec_lo, s25
                                        ; implicit-def: $vgpr13_vgpr14
	s_and_saveexec_b32 s25, s9
	s_cbranch_execz .LBB166_106
.LBB166_101:
	v_mov_b32_e32 v13, 0
	v_mov_b32_e32 v14, 0
	s_and_not1_b32 vcc_lo, exec_lo, s24
	s_cbranch_vccnz .LBB166_106
; %bb.102:
	v_dual_mov_b32 v15, s20 :: v_dual_mov_b32 v16, s21
	s_mov_b32 s26, 0
	.p2align	6
.LBB166_103:                            ; =>This Inner Loop Header: Depth=1
	s_delay_alu instid0(VALU_DEP_1) | instskip(NEXT) | instid1(VALU_DEP_2)
	v_sub_co_u32 v18, vcc_lo, v15, v13
	v_sub_co_ci_u32_e32 v19, vcc_lo, v16, v14, vcc_lo
	s_delay_alu instid0(VALU_DEP_1) | instskip(SKIP_1) | instid1(VALU_DEP_2)
	v_lshrrev_b64 v[22:23], 1, v[18:19]
	v_lshrrev_b64 v[18:19], 6, v[18:19]
	v_add_co_u32 v20, vcc_lo, v22, v13
	s_delay_alu instid0(VALU_DEP_3) | instskip(NEXT) | instid1(VALU_DEP_2)
	v_add_co_ci_u32_e32 v22, vcc_lo, v23, v14, vcc_lo
	v_add_co_u32 v18, vcc_lo, v20, v18
	s_delay_alu instid0(VALU_DEP_2) | instskip(NEXT) | instid1(VALU_DEP_1)
	v_add_co_ci_u32_e32 v19, vcc_lo, v22, v19, vcc_lo
	v_lshlrev_b64 v[22:23], 1, v[18:19]
	s_delay_alu instid0(VALU_DEP_1) | instskip(NEXT) | instid1(VALU_DEP_2)
	v_add_co_u32 v22, vcc_lo, s18, v22
	v_add_co_ci_u32_e32 v23, vcc_lo, s19, v23, vcc_lo
	global_load_u16 v20, v[22:23], off
	v_add_co_u32 v22, vcc_lo, v18, 1
	v_add_co_ci_u32_e32 v23, vcc_lo, 0, v19, vcc_lo
	s_waitcnt vmcnt(0)
	v_cmp_gt_i16_e32 vcc_lo, v20, v17
	v_dual_cndmask_b32 v16, v16, v19 :: v_dual_cndmask_b32 v15, v15, v18
	s_delay_alu instid0(VALU_DEP_3) | instskip(NEXT) | instid1(VALU_DEP_1)
	v_dual_cndmask_b32 v14, v23, v14 :: v_dual_cndmask_b32 v13, v22, v13
	v_cmp_ge_u64_e32 vcc_lo, v[13:14], v[15:16]
	s_or_b32 s26, vcc_lo, s26
	s_delay_alu instid0(SALU_CYCLE_1)
	s_and_not1_b32 exec_lo, exec_lo, s26
	s_cbranch_execnz .LBB166_103
; %bb.104:
	s_or_b32 exec_lo, exec_lo, s26
	s_branch .LBB166_106
.LBB166_105:
	v_mov_b32_e32 v11, 0
	v_mov_b32_e32 v12, 0
	s_or_b32 exec_lo, exec_lo, s25
                                        ; implicit-def: $vgpr13_vgpr14
	s_and_saveexec_b32 s25, s9
	s_cbranch_execnz .LBB166_101
.LBB166_106:
	s_or_b32 exec_lo, exec_lo, s25
                                        ; implicit-def: $vgpr15_vgpr16
	s_and_saveexec_b32 s25, s7
	s_cbranch_execz .LBB166_111
; %bb.107:
	s_and_not1_b32 vcc_lo, exec_lo, s24
	s_cbranch_vccnz .LBB166_116
; %bb.108:
	v_mov_b32_e32 v15, 0
	v_lshrrev_b32_e32 v19, 16, v17
	v_dual_mov_b32 v16, 0 :: v_dual_mov_b32 v17, s20
	v_mov_b32_e32 v18, s21
	s_mov_b32 s26, 0
	.p2align	6
.LBB166_109:                            ; =>This Inner Loop Header: Depth=1
	s_delay_alu instid0(VALU_DEP_2) | instskip(NEXT) | instid1(VALU_DEP_2)
	v_sub_co_u32 v22, vcc_lo, v17, v15
	v_sub_co_ci_u32_e32 v23, vcc_lo, v18, v16, vcc_lo
	s_delay_alu instid0(VALU_DEP_1) | instskip(SKIP_1) | instid1(VALU_DEP_2)
	v_lshrrev_b64 v[26:27], 1, v[22:23]
	v_lshrrev_b64 v[22:23], 6, v[22:23]
	v_add_co_u32 v20, vcc_lo, v26, v15
	s_delay_alu instid0(VALU_DEP_3) | instskip(NEXT) | instid1(VALU_DEP_2)
	v_add_co_ci_u32_e32 v24, vcc_lo, v27, v16, vcc_lo
	v_add_co_u32 v22, vcc_lo, v20, v22
	s_delay_alu instid0(VALU_DEP_2) | instskip(NEXT) | instid1(VALU_DEP_1)
	v_add_co_ci_u32_e32 v23, vcc_lo, v24, v23, vcc_lo
	v_lshlrev_b64 v[26:27], 1, v[22:23]
	s_delay_alu instid0(VALU_DEP_1) | instskip(NEXT) | instid1(VALU_DEP_2)
	v_add_co_u32 v26, vcc_lo, s18, v26
	v_add_co_ci_u32_e32 v27, vcc_lo, s19, v27, vcc_lo
	v_add_co_u32 v24, vcc_lo, v22, 1
	global_load_u16 v20, v[26:27], off
	v_add_co_ci_u32_e32 v26, vcc_lo, 0, v23, vcc_lo
	s_waitcnt vmcnt(0)
	v_cmp_gt_i16_e32 vcc_lo, v20, v19
	v_dual_cndmask_b32 v18, v18, v23 :: v_dual_cndmask_b32 v17, v17, v22
	s_delay_alu instid0(VALU_DEP_3) | instskip(NEXT) | instid1(VALU_DEP_1)
	v_dual_cndmask_b32 v16, v26, v16 :: v_dual_cndmask_b32 v15, v24, v15
	v_cmp_ge_u64_e32 vcc_lo, v[15:16], v[17:18]
	s_or_b32 s26, vcc_lo, s26
	s_delay_alu instid0(SALU_CYCLE_1)
	s_and_not1_b32 exec_lo, exec_lo, s26
	s_cbranch_execnz .LBB166_109
; %bb.110:
	s_or_b32 exec_lo, exec_lo, s26
.LBB166_111:
	s_delay_alu instid0(SALU_CYCLE_1)
	s_or_b32 exec_lo, exec_lo, s25
                                        ; implicit-def: $vgpr17_vgpr18
	s_and_saveexec_b32 s25, s6
	s_cbranch_execz .LBB166_117
.LBB166_112:
	v_mov_b32_e32 v17, 0
	v_mov_b32_e32 v18, 0
	s_and_not1_b32 vcc_lo, exec_lo, s24
	s_cbranch_vccnz .LBB166_117
; %bb.113:
	v_dual_mov_b32 v19, s20 :: v_dual_mov_b32 v20, s21
	s_mov_b32 s26, 0
	.p2align	6
.LBB166_114:                            ; =>This Inner Loop Header: Depth=1
	s_delay_alu instid0(VALU_DEP_1) | instskip(NEXT) | instid1(VALU_DEP_2)
	v_sub_co_u32 v22, vcc_lo, v19, v17
	v_sub_co_ci_u32_e32 v23, vcc_lo, v20, v18, vcc_lo
	s_delay_alu instid0(VALU_DEP_1) | instskip(SKIP_1) | instid1(VALU_DEP_2)
	v_lshrrev_b64 v[26:27], 1, v[22:23]
	v_lshrrev_b64 v[22:23], 6, v[22:23]
	v_add_co_u32 v24, vcc_lo, v26, v17
	s_delay_alu instid0(VALU_DEP_3) | instskip(NEXT) | instid1(VALU_DEP_2)
	v_add_co_ci_u32_e32 v26, vcc_lo, v27, v18, vcc_lo
	v_add_co_u32 v22, vcc_lo, v24, v22
	s_delay_alu instid0(VALU_DEP_2) | instskip(NEXT) | instid1(VALU_DEP_1)
	v_add_co_ci_u32_e32 v23, vcc_lo, v26, v23, vcc_lo
	v_lshlrev_b64 v[26:27], 1, v[22:23]
	s_delay_alu instid0(VALU_DEP_1) | instskip(NEXT) | instid1(VALU_DEP_2)
	v_add_co_u32 v26, vcc_lo, s18, v26
	v_add_co_ci_u32_e32 v27, vcc_lo, s19, v27, vcc_lo
	global_load_u16 v24, v[26:27], off
	v_add_co_u32 v26, vcc_lo, v22, 1
	v_add_co_ci_u32_e32 v27, vcc_lo, 0, v23, vcc_lo
	s_waitcnt vmcnt(0)
	v_cmp_gt_i16_e32 vcc_lo, v24, v21
	v_dual_cndmask_b32 v20, v20, v23 :: v_dual_cndmask_b32 v19, v19, v22
	s_delay_alu instid0(VALU_DEP_3) | instskip(NEXT) | instid1(VALU_DEP_1)
	v_dual_cndmask_b32 v18, v27, v18 :: v_dual_cndmask_b32 v17, v26, v17
	v_cmp_ge_u64_e32 vcc_lo, v[17:18], v[19:20]
	s_or_b32 s26, vcc_lo, s26
	s_delay_alu instid0(SALU_CYCLE_1)
	s_and_not1_b32 exec_lo, exec_lo, s26
	s_cbranch_execnz .LBB166_114
; %bb.115:
	s_or_b32 exec_lo, exec_lo, s26
	s_branch .LBB166_117
.LBB166_116:
	v_mov_b32_e32 v15, 0
	v_mov_b32_e32 v16, 0
	s_or_b32 exec_lo, exec_lo, s25
                                        ; implicit-def: $vgpr17_vgpr18
	s_and_saveexec_b32 s25, s6
	s_cbranch_execnz .LBB166_112
.LBB166_117:
	s_or_b32 exec_lo, exec_lo, s25
                                        ; implicit-def: $vgpr19_vgpr20
	s_and_saveexec_b32 s25, s5
	s_cbranch_execz .LBB166_122
; %bb.118:
	s_and_not1_b32 vcc_lo, exec_lo, s24
	s_cbranch_vccnz .LBB166_127
; %bb.119:
	v_lshrrev_b32_e32 v23, 16, v21
	v_dual_mov_b32 v19, 0 :: v_dual_mov_b32 v22, s21
	v_dual_mov_b32 v20, 0 :: v_dual_mov_b32 v21, s20
	s_mov_b32 s26, 0
	.p2align	6
.LBB166_120:                            ; =>This Inner Loop Header: Depth=1
	s_delay_alu instid0(VALU_DEP_1) | instskip(NEXT) | instid1(VALU_DEP_2)
	v_sub_co_u32 v26, vcc_lo, v21, v19
	v_sub_co_ci_u32_e32 v27, vcc_lo, v22, v20, vcc_lo
	s_delay_alu instid0(VALU_DEP_1) | instskip(SKIP_1) | instid1(VALU_DEP_2)
	v_lshrrev_b64 v[30:31], 1, v[26:27]
	v_lshrrev_b64 v[26:27], 6, v[26:27]
	v_add_co_u32 v24, vcc_lo, v30, v19
	s_delay_alu instid0(VALU_DEP_3) | instskip(NEXT) | instid1(VALU_DEP_2)
	v_add_co_ci_u32_e32 v28, vcc_lo, v31, v20, vcc_lo
	v_add_co_u32 v26, vcc_lo, v24, v26
	s_delay_alu instid0(VALU_DEP_2) | instskip(NEXT) | instid1(VALU_DEP_1)
	v_add_co_ci_u32_e32 v27, vcc_lo, v28, v27, vcc_lo
	v_lshlrev_b64 v[30:31], 1, v[26:27]
	s_delay_alu instid0(VALU_DEP_1) | instskip(NEXT) | instid1(VALU_DEP_2)
	v_add_co_u32 v30, vcc_lo, s18, v30
	v_add_co_ci_u32_e32 v31, vcc_lo, s19, v31, vcc_lo
	v_add_co_u32 v28, vcc_lo, v26, 1
	global_load_u16 v24, v[30:31], off
	v_add_co_ci_u32_e32 v30, vcc_lo, 0, v27, vcc_lo
	s_waitcnt vmcnt(0)
	v_cmp_gt_i16_e32 vcc_lo, v24, v23
	v_dual_cndmask_b32 v22, v22, v27 :: v_dual_cndmask_b32 v21, v21, v26
	s_delay_alu instid0(VALU_DEP_3) | instskip(NEXT) | instid1(VALU_DEP_1)
	v_dual_cndmask_b32 v20, v30, v20 :: v_dual_cndmask_b32 v19, v28, v19
	v_cmp_ge_u64_e32 vcc_lo, v[19:20], v[21:22]
	s_or_b32 s26, vcc_lo, s26
	s_delay_alu instid0(SALU_CYCLE_1)
	s_and_not1_b32 exec_lo, exec_lo, s26
	s_cbranch_execnz .LBB166_120
; %bb.121:
	s_or_b32 exec_lo, exec_lo, s26
.LBB166_122:
	s_delay_alu instid0(SALU_CYCLE_1)
	s_or_b32 exec_lo, exec_lo, s25
                                        ; implicit-def: $vgpr21_vgpr22
	s_and_saveexec_b32 s25, s3
	s_cbranch_execz .LBB166_128
.LBB166_123:
	v_mov_b32_e32 v21, 0
	v_mov_b32_e32 v22, 0
	s_and_not1_b32 vcc_lo, exec_lo, s24
	s_cbranch_vccnz .LBB166_128
; %bb.124:
	v_dual_mov_b32 v24, s21 :: v_dual_mov_b32 v23, s20
	s_mov_b32 s26, 0
	.p2align	6
.LBB166_125:                            ; =>This Inner Loop Header: Depth=1
	s_delay_alu instid0(VALU_DEP_1) | instskip(NEXT) | instid1(VALU_DEP_2)
	v_sub_co_u32 v26, vcc_lo, v23, v21
	v_sub_co_ci_u32_e32 v27, vcc_lo, v24, v22, vcc_lo
	s_delay_alu instid0(VALU_DEP_1) | instskip(SKIP_1) | instid1(VALU_DEP_2)
	v_lshrrev_b64 v[30:31], 1, v[26:27]
	v_lshrrev_b64 v[26:27], 6, v[26:27]
	v_add_co_u32 v28, vcc_lo, v30, v21
	s_delay_alu instid0(VALU_DEP_3) | instskip(NEXT) | instid1(VALU_DEP_2)
	v_add_co_ci_u32_e32 v30, vcc_lo, v31, v22, vcc_lo
	v_add_co_u32 v26, vcc_lo, v28, v26
	s_delay_alu instid0(VALU_DEP_2) | instskip(NEXT) | instid1(VALU_DEP_1)
	v_add_co_ci_u32_e32 v27, vcc_lo, v30, v27, vcc_lo
	v_lshlrev_b64 v[30:31], 1, v[26:27]
	s_delay_alu instid0(VALU_DEP_1) | instskip(NEXT) | instid1(VALU_DEP_2)
	v_add_co_u32 v30, vcc_lo, s18, v30
	v_add_co_ci_u32_e32 v31, vcc_lo, s19, v31, vcc_lo
	global_load_u16 v28, v[30:31], off
	v_add_co_u32 v30, vcc_lo, v26, 1
	v_add_co_ci_u32_e32 v31, vcc_lo, 0, v27, vcc_lo
	s_waitcnt vmcnt(0)
	v_cmp_gt_i16_e32 vcc_lo, v28, v25
	v_dual_cndmask_b32 v24, v24, v27 :: v_dual_cndmask_b32 v23, v23, v26
	s_delay_alu instid0(VALU_DEP_3) | instskip(NEXT) | instid1(VALU_DEP_1)
	v_dual_cndmask_b32 v22, v31, v22 :: v_dual_cndmask_b32 v21, v30, v21
	v_cmp_ge_u64_e32 vcc_lo, v[21:22], v[23:24]
	s_or_b32 s26, vcc_lo, s26
	s_delay_alu instid0(SALU_CYCLE_1)
	s_and_not1_b32 exec_lo, exec_lo, s26
	s_cbranch_execnz .LBB166_125
; %bb.126:
	s_or_b32 exec_lo, exec_lo, s26
	s_branch .LBB166_128
.LBB166_127:
	v_mov_b32_e32 v19, 0
	v_mov_b32_e32 v20, 0
	s_or_b32 exec_lo, exec_lo, s25
                                        ; implicit-def: $vgpr21_vgpr22
	s_and_saveexec_b32 s25, s3
	s_cbranch_execnz .LBB166_123
.LBB166_128:
	s_or_b32 exec_lo, exec_lo, s25
                                        ; implicit-def: $vgpr23_vgpr24
	s_and_saveexec_b32 s25, s4
	s_cbranch_execz .LBB166_133
; %bb.129:
	s_and_not1_b32 vcc_lo, exec_lo, s24
	s_cbranch_vccnz .LBB166_138
; %bb.130:
	v_lshrrev_b32_e32 v27, 16, v25
	v_dual_mov_b32 v23, 0 :: v_dual_mov_b32 v26, s21
	v_dual_mov_b32 v24, 0 :: v_dual_mov_b32 v25, s20
	s_mov_b32 s26, 0
	.p2align	6
.LBB166_131:                            ; =>This Inner Loop Header: Depth=1
	s_delay_alu instid0(VALU_DEP_1) | instskip(NEXT) | instid1(VALU_DEP_2)
	v_sub_co_u32 v30, vcc_lo, v25, v23
	v_sub_co_ci_u32_e32 v31, vcc_lo, v26, v24, vcc_lo
	s_delay_alu instid0(VALU_DEP_1) | instskip(SKIP_1) | instid1(VALU_DEP_2)
	v_lshrrev_b64 v[34:35], 1, v[30:31]
	v_lshrrev_b64 v[30:31], 6, v[30:31]
	v_add_co_u32 v28, vcc_lo, v34, v23
	s_delay_alu instid0(VALU_DEP_3) | instskip(NEXT) | instid1(VALU_DEP_2)
	v_add_co_ci_u32_e32 v32, vcc_lo, v35, v24, vcc_lo
	v_add_co_u32 v30, vcc_lo, v28, v30
	s_delay_alu instid0(VALU_DEP_2) | instskip(NEXT) | instid1(VALU_DEP_1)
	v_add_co_ci_u32_e32 v31, vcc_lo, v32, v31, vcc_lo
	v_lshlrev_b64 v[34:35], 1, v[30:31]
	s_delay_alu instid0(VALU_DEP_1) | instskip(NEXT) | instid1(VALU_DEP_2)
	v_add_co_u32 v34, vcc_lo, s18, v34
	v_add_co_ci_u32_e32 v35, vcc_lo, s19, v35, vcc_lo
	v_add_co_u32 v32, vcc_lo, v30, 1
	global_load_u16 v28, v[34:35], off
	v_add_co_ci_u32_e32 v34, vcc_lo, 0, v31, vcc_lo
	s_waitcnt vmcnt(0)
	v_cmp_gt_i16_e32 vcc_lo, v28, v27
	v_dual_cndmask_b32 v26, v26, v31 :: v_dual_cndmask_b32 v25, v25, v30
	s_delay_alu instid0(VALU_DEP_3) | instskip(NEXT) | instid1(VALU_DEP_1)
	v_dual_cndmask_b32 v24, v34, v24 :: v_dual_cndmask_b32 v23, v32, v23
	v_cmp_ge_u64_e32 vcc_lo, v[23:24], v[25:26]
	s_or_b32 s26, vcc_lo, s26
	s_delay_alu instid0(SALU_CYCLE_1)
	s_and_not1_b32 exec_lo, exec_lo, s26
	s_cbranch_execnz .LBB166_131
; %bb.132:
	s_or_b32 exec_lo, exec_lo, s26
.LBB166_133:
	s_delay_alu instid0(SALU_CYCLE_1)
	s_or_b32 exec_lo, exec_lo, s25
                                        ; implicit-def: $vgpr25_vgpr26
	s_and_saveexec_b32 s25, s2
	s_cbranch_execz .LBB166_139
.LBB166_134:
	v_mov_b32_e32 v25, 0
	v_mov_b32_e32 v26, 0
	s_and_not1_b32 vcc_lo, exec_lo, s24
	s_cbranch_vccnz .LBB166_139
; %bb.135:
	v_dual_mov_b32 v28, s21 :: v_dual_mov_b32 v27, s20
	s_mov_b32 s26, 0
	.p2align	6
.LBB166_136:                            ; =>This Inner Loop Header: Depth=1
	s_delay_alu instid0(VALU_DEP_1) | instskip(NEXT) | instid1(VALU_DEP_2)
	v_sub_co_u32 v30, vcc_lo, v27, v25
	v_sub_co_ci_u32_e32 v31, vcc_lo, v28, v26, vcc_lo
	s_delay_alu instid0(VALU_DEP_1) | instskip(SKIP_1) | instid1(VALU_DEP_2)
	v_lshrrev_b64 v[34:35], 1, v[30:31]
	v_lshrrev_b64 v[30:31], 6, v[30:31]
	v_add_co_u32 v32, vcc_lo, v34, v25
	s_delay_alu instid0(VALU_DEP_3) | instskip(NEXT) | instid1(VALU_DEP_2)
	v_add_co_ci_u32_e32 v34, vcc_lo, v35, v26, vcc_lo
	v_add_co_u32 v30, vcc_lo, v32, v30
	s_delay_alu instid0(VALU_DEP_2) | instskip(NEXT) | instid1(VALU_DEP_1)
	v_add_co_ci_u32_e32 v31, vcc_lo, v34, v31, vcc_lo
	v_lshlrev_b64 v[34:35], 1, v[30:31]
	s_delay_alu instid0(VALU_DEP_1) | instskip(NEXT) | instid1(VALU_DEP_2)
	v_add_co_u32 v34, vcc_lo, s18, v34
	v_add_co_ci_u32_e32 v35, vcc_lo, s19, v35, vcc_lo
	global_load_u16 v32, v[34:35], off
	v_add_co_u32 v34, vcc_lo, v30, 1
	v_add_co_ci_u32_e32 v35, vcc_lo, 0, v31, vcc_lo
	s_waitcnt vmcnt(0)
	v_cmp_gt_i16_e32 vcc_lo, v32, v29
	v_dual_cndmask_b32 v28, v28, v31 :: v_dual_cndmask_b32 v27, v27, v30
	s_delay_alu instid0(VALU_DEP_3) | instskip(NEXT) | instid1(VALU_DEP_1)
	v_dual_cndmask_b32 v26, v35, v26 :: v_dual_cndmask_b32 v25, v34, v25
	v_cmp_ge_u64_e32 vcc_lo, v[25:26], v[27:28]
	s_or_b32 s26, vcc_lo, s26
	s_delay_alu instid0(SALU_CYCLE_1)
	s_and_not1_b32 exec_lo, exec_lo, s26
	s_cbranch_execnz .LBB166_136
; %bb.137:
	s_or_b32 exec_lo, exec_lo, s26
	s_branch .LBB166_139
.LBB166_138:
	v_mov_b32_e32 v23, 0
	v_mov_b32_e32 v24, 0
	s_or_b32 exec_lo, exec_lo, s25
                                        ; implicit-def: $vgpr25_vgpr26
	s_and_saveexec_b32 s25, s2
	s_cbranch_execnz .LBB166_134
.LBB166_139:
	s_or_b32 exec_lo, exec_lo, s25
                                        ; implicit-def: $vgpr27_vgpr28
	s_and_saveexec_b32 s25, s1
	s_cbranch_execz .LBB166_144
; %bb.140:
	s_and_not1_b32 vcc_lo, exec_lo, s24
	s_cbranch_vccnz .LBB166_149
; %bb.141:
	v_lshrrev_b32_e32 v31, 16, v29
	v_dual_mov_b32 v27, 0 :: v_dual_mov_b32 v30, s21
	v_dual_mov_b32 v28, 0 :: v_dual_mov_b32 v29, s20
	s_mov_b32 s26, 0
	.p2align	6
.LBB166_142:                            ; =>This Inner Loop Header: Depth=1
	s_delay_alu instid0(VALU_DEP_1) | instskip(NEXT) | instid1(VALU_DEP_2)
	v_sub_co_u32 v34, vcc_lo, v29, v27
	v_sub_co_ci_u32_e32 v35, vcc_lo, v30, v28, vcc_lo
	s_delay_alu instid0(VALU_DEP_1) | instskip(SKIP_1) | instid1(VALU_DEP_2)
	v_lshrrev_b64 v[36:37], 1, v[34:35]
	v_lshrrev_b64 v[34:35], 6, v[34:35]
	v_add_co_u32 v32, vcc_lo, v36, v27
	s_delay_alu instid0(VALU_DEP_3) | instskip(NEXT) | instid1(VALU_DEP_2)
	v_add_co_ci_u32_e32 v36, vcc_lo, v37, v28, vcc_lo
	v_add_co_u32 v34, vcc_lo, v32, v34
	s_delay_alu instid0(VALU_DEP_2) | instskip(NEXT) | instid1(VALU_DEP_1)
	v_add_co_ci_u32_e32 v35, vcc_lo, v36, v35, vcc_lo
	v_lshlrev_b64 v[36:37], 1, v[34:35]
	s_delay_alu instid0(VALU_DEP_1) | instskip(NEXT) | instid1(VALU_DEP_2)
	v_add_co_u32 v36, vcc_lo, s18, v36
	v_add_co_ci_u32_e32 v37, vcc_lo, s19, v37, vcc_lo
	global_load_u16 v32, v[36:37], off
	v_add_co_u32 v36, vcc_lo, v34, 1
	v_add_co_ci_u32_e32 v37, vcc_lo, 0, v35, vcc_lo
	s_waitcnt vmcnt(0)
	v_cmp_gt_i16_e32 vcc_lo, v32, v31
	v_dual_cndmask_b32 v30, v30, v35 :: v_dual_cndmask_b32 v29, v29, v34
	s_delay_alu instid0(VALU_DEP_3) | instskip(NEXT) | instid1(VALU_DEP_1)
	v_dual_cndmask_b32 v28, v37, v28 :: v_dual_cndmask_b32 v27, v36, v27
	v_cmp_ge_u64_e32 vcc_lo, v[27:28], v[29:30]
	s_or_b32 s26, vcc_lo, s26
	s_delay_alu instid0(SALU_CYCLE_1)
	s_and_not1_b32 exec_lo, exec_lo, s26
	s_cbranch_execnz .LBB166_142
; %bb.143:
	s_or_b32 exec_lo, exec_lo, s26
.LBB166_144:
	s_delay_alu instid0(SALU_CYCLE_1)
	s_or_b32 exec_lo, exec_lo, s25
                                        ; implicit-def: $vgpr31_vgpr32
	s_and_saveexec_b32 s25, s0
	s_cbranch_execz .LBB166_150
.LBB166_145:
	v_mov_b32_e32 v31, 0
	v_mov_b32_e32 v32, 0
	s_and_not1_b32 vcc_lo, exec_lo, s24
	s_cbranch_vccnz .LBB166_150
; %bb.146:
	v_dual_mov_b32 v30, s21 :: v_dual_mov_b32 v29, s20
	s_mov_b32 s26, 0
	.p2align	6
.LBB166_147:                            ; =>This Inner Loop Header: Depth=1
	s_delay_alu instid0(VALU_DEP_1) | instskip(NEXT) | instid1(VALU_DEP_2)
	v_sub_co_u32 v34, vcc_lo, v29, v31
	v_sub_co_ci_u32_e32 v35, vcc_lo, v30, v32, vcc_lo
	s_delay_alu instid0(VALU_DEP_1) | instskip(SKIP_1) | instid1(VALU_DEP_2)
	v_lshrrev_b64 v[36:37], 1, v[34:35]
	v_lshrrev_b64 v[34:35], 6, v[34:35]
	v_add_co_u32 v36, vcc_lo, v36, v31
	s_delay_alu instid0(VALU_DEP_3) | instskip(NEXT) | instid1(VALU_DEP_2)
	v_add_co_ci_u32_e32 v37, vcc_lo, v37, v32, vcc_lo
	v_add_co_u32 v34, vcc_lo, v36, v34
	s_delay_alu instid0(VALU_DEP_2) | instskip(NEXT) | instid1(VALU_DEP_1)
	v_add_co_ci_u32_e32 v35, vcc_lo, v37, v35, vcc_lo
	v_lshlrev_b64 v[36:37], 1, v[34:35]
	s_delay_alu instid0(VALU_DEP_1) | instskip(NEXT) | instid1(VALU_DEP_2)
	v_add_co_u32 v36, vcc_lo, s18, v36
	v_add_co_ci_u32_e32 v37, vcc_lo, s19, v37, vcc_lo
	global_load_u16 v36, v[36:37], off
	v_add_co_u32 v37, vcc_lo, v34, 1
	v_add_co_ci_u32_e32 v38, vcc_lo, 0, v35, vcc_lo
	s_waitcnt vmcnt(0)
	v_cmp_gt_i16_e32 vcc_lo, v36, v33
	v_dual_cndmask_b32 v30, v30, v35 :: v_dual_cndmask_b32 v29, v29, v34
	s_delay_alu instid0(VALU_DEP_3) | instskip(NEXT) | instid1(VALU_DEP_1)
	v_dual_cndmask_b32 v32, v38, v32 :: v_dual_cndmask_b32 v31, v37, v31
	v_cmp_ge_u64_e32 vcc_lo, v[31:32], v[29:30]
	s_or_b32 s26, vcc_lo, s26
	s_delay_alu instid0(SALU_CYCLE_1)
	s_and_not1_b32 exec_lo, exec_lo, s26
	s_cbranch_execnz .LBB166_147
; %bb.148:
	s_or_b32 exec_lo, exec_lo, s26
	s_branch .LBB166_150
.LBB166_149:
	v_mov_b32_e32 v27, 0
	v_mov_b32_e32 v28, 0
	s_or_b32 exec_lo, exec_lo, s25
                                        ; implicit-def: $vgpr31_vgpr32
	s_and_saveexec_b32 s25, s0
	s_cbranch_execnz .LBB166_145
.LBB166_150:
	s_or_b32 exec_lo, exec_lo, s25
                                        ; implicit-def: $vgpr29_vgpr30
	s_and_saveexec_b32 s25, s15
	s_cbranch_execz .LBB166_156
; %bb.151:
	s_and_not1_b32 vcc_lo, exec_lo, s24
	s_cbranch_vccnz .LBB166_155
; %bb.152:
	v_lshrrev_b32_e32 v35, 16, v33
	v_dual_mov_b32 v29, 0 :: v_dual_mov_b32 v34, s21
	v_dual_mov_b32 v30, 0 :: v_dual_mov_b32 v33, s20
	s_mov_b32 s20, 0
	.p2align	6
.LBB166_153:                            ; =>This Inner Loop Header: Depth=1
	s_delay_alu instid0(VALU_DEP_1) | instskip(NEXT) | instid1(VALU_DEP_2)
	v_sub_co_u32 v36, vcc_lo, v33, v29
	v_sub_co_ci_u32_e32 v37, vcc_lo, v34, v30, vcc_lo
	s_delay_alu instid0(VALU_DEP_1) | instskip(SKIP_1) | instid1(VALU_DEP_2)
	v_lshrrev_b64 v[38:39], 1, v[36:37]
	v_lshrrev_b64 v[36:37], 6, v[36:37]
	v_add_co_u32 v38, vcc_lo, v38, v29
	s_delay_alu instid0(VALU_DEP_3) | instskip(NEXT) | instid1(VALU_DEP_2)
	v_add_co_ci_u32_e32 v39, vcc_lo, v39, v30, vcc_lo
	v_add_co_u32 v36, vcc_lo, v38, v36
	s_delay_alu instid0(VALU_DEP_2) | instskip(NEXT) | instid1(VALU_DEP_1)
	v_add_co_ci_u32_e32 v37, vcc_lo, v39, v37, vcc_lo
	v_lshlrev_b64 v[38:39], 1, v[36:37]
	s_delay_alu instid0(VALU_DEP_1) | instskip(NEXT) | instid1(VALU_DEP_2)
	v_add_co_u32 v38, vcc_lo, s18, v38
	v_add_co_ci_u32_e32 v39, vcc_lo, s19, v39, vcc_lo
	global_load_u16 v38, v[38:39], off
	v_add_co_u32 v39, vcc_lo, v36, 1
	v_add_co_ci_u32_e32 v40, vcc_lo, 0, v37, vcc_lo
	s_waitcnt vmcnt(0)
	v_cmp_gt_i16_e32 vcc_lo, v38, v35
	v_dual_cndmask_b32 v34, v34, v37 :: v_dual_cndmask_b32 v33, v33, v36
	s_delay_alu instid0(VALU_DEP_3) | instskip(NEXT) | instid1(VALU_DEP_1)
	v_dual_cndmask_b32 v30, v40, v30 :: v_dual_cndmask_b32 v29, v39, v29
	v_cmp_ge_u64_e32 vcc_lo, v[29:30], v[33:34]
	s_or_b32 s20, vcc_lo, s20
	s_delay_alu instid0(SALU_CYCLE_1)
	s_and_not1_b32 exec_lo, exec_lo, s20
	s_cbranch_execnz .LBB166_153
; %bb.154:
	s_or_b32 exec_lo, exec_lo, s20
	s_branch .LBB166_156
.LBB166_155:
	v_mov_b32_e32 v29, 0
	v_mov_b32_e32 v30, 0
.LBB166_156:
	s_or_b32 exec_lo, exec_lo, s25
	v_lshlrev_b32_e32 v0, 3, v0
	s_lshl_b64 s[16:17], s[16:17], 3
	s_delay_alu instid0(SALU_CYCLE_1) | instskip(SKIP_1) | instid1(VALU_DEP_1)
	s_add_u32 s16, s22, s16
	s_addc_u32 s17, s23, s17
	v_add_co_u32 v33, s16, s16, v0
	s_delay_alu instid0(VALU_DEP_1) | instskip(SKIP_1) | instid1(SALU_CYCLE_1)
	v_add_co_ci_u32_e64 v34, null, s17, 0, s16
	s_and_saveexec_b32 s16, s14
	s_xor_b32 s14, exec_lo, s16
	s_cbranch_execz .LBB166_158
; %bb.157:
	global_store_b64 v[33:34], v[1:2], off
.LBB166_158:
	s_or_b32 exec_lo, exec_lo, s14
	s_and_saveexec_b32 s14, s13
	s_cbranch_execnz .LBB166_177
; %bb.159:
	s_or_b32 exec_lo, exec_lo, s14
	s_and_saveexec_b32 s13, s12
	s_cbranch_execnz .LBB166_178
.LBB166_160:
	s_or_b32 exec_lo, exec_lo, s13
	s_and_saveexec_b32 s12, s10
	s_cbranch_execnz .LBB166_179
.LBB166_161:
	s_or_b32 exec_lo, exec_lo, s12
	s_and_saveexec_b32 s10, s8
	s_cbranch_execnz .LBB166_180
.LBB166_162:
	s_or_b32 exec_lo, exec_lo, s10
	s_and_saveexec_b32 s8, s11
	s_cbranch_execnz .LBB166_181
.LBB166_163:
	s_or_b32 exec_lo, exec_lo, s8
	s_and_saveexec_b32 s8, s9
	s_cbranch_execnz .LBB166_182
.LBB166_164:
	s_or_b32 exec_lo, exec_lo, s8
	s_and_saveexec_b32 s8, s7
	s_cbranch_execnz .LBB166_183
.LBB166_165:
	s_or_b32 exec_lo, exec_lo, s8
	s_and_saveexec_b32 s7, s6
	s_cbranch_execnz .LBB166_184
.LBB166_166:
	s_or_b32 exec_lo, exec_lo, s7
	s_and_saveexec_b32 s6, s5
	s_cbranch_execnz .LBB166_185
.LBB166_167:
	s_or_b32 exec_lo, exec_lo, s6
	s_and_saveexec_b32 s5, s3
	s_cbranch_execnz .LBB166_186
.LBB166_168:
	s_or_b32 exec_lo, exec_lo, s5
	s_and_saveexec_b32 s3, s4
	s_cbranch_execnz .LBB166_187
.LBB166_169:
	s_or_b32 exec_lo, exec_lo, s3
	s_and_saveexec_b32 s3, s2
	s_cbranch_execnz .LBB166_188
.LBB166_170:
	s_or_b32 exec_lo, exec_lo, s3
	s_and_saveexec_b32 s2, s1
	s_cbranch_execnz .LBB166_189
.LBB166_171:
	s_or_b32 exec_lo, exec_lo, s2
	s_and_saveexec_b32 s1, s0
	s_cbranch_execz .LBB166_173
.LBB166_172:
	v_add_co_u32 v0, vcc_lo, 0x1000, v33
	v_add_co_ci_u32_e32 v1, vcc_lo, 0, v34, vcc_lo
	global_store_b64 v[0:1], v[31:32], off offset:3072
.LBB166_173:
	s_or_b32 exec_lo, exec_lo, s1
.LBB166_174:
	s_and_saveexec_b32 s0, s15
	s_cbranch_execnz .LBB166_176
; %bb.175:
	s_nop 0
	s_sendmsg sendmsg(MSG_DEALLOC_VGPRS)
	s_endpgm
.LBB166_176:
	v_add_co_u32 v0, vcc_lo, 0x1000, v33
	v_add_co_ci_u32_e32 v1, vcc_lo, 0, v34, vcc_lo
	global_store_b64 v[0:1], v[29:30], off offset:3584
	s_nop 0
	s_sendmsg sendmsg(MSG_DEALLOC_VGPRS)
	s_endpgm
.LBB166_177:
	global_store_b64 v[33:34], v[3:4], off offset:512
	s_or_b32 exec_lo, exec_lo, s14
	s_and_saveexec_b32 s13, s12
	s_cbranch_execz .LBB166_160
.LBB166_178:
	global_store_b64 v[33:34], v[5:6], off offset:1024
	s_or_b32 exec_lo, exec_lo, s13
	s_and_saveexec_b32 s12, s10
	s_cbranch_execz .LBB166_161
.LBB166_179:
	global_store_b64 v[33:34], v[7:8], off offset:1536
	s_or_b32 exec_lo, exec_lo, s12
	s_and_saveexec_b32 s10, s8
	s_cbranch_execz .LBB166_162
.LBB166_180:
	global_store_b64 v[33:34], v[9:10], off offset:2048
	s_or_b32 exec_lo, exec_lo, s10
	s_and_saveexec_b32 s8, s11
	s_cbranch_execz .LBB166_163
.LBB166_181:
	global_store_b64 v[33:34], v[11:12], off offset:2560
	s_or_b32 exec_lo, exec_lo, s8
	s_and_saveexec_b32 s8, s9
	s_cbranch_execz .LBB166_164
.LBB166_182:
	global_store_b64 v[33:34], v[13:14], off offset:3072
	s_or_b32 exec_lo, exec_lo, s8
	s_and_saveexec_b32 s8, s7
	s_cbranch_execz .LBB166_165
.LBB166_183:
	global_store_b64 v[33:34], v[15:16], off offset:3584
	s_or_b32 exec_lo, exec_lo, s8
	s_and_saveexec_b32 s7, s6
	s_cbranch_execz .LBB166_166
.LBB166_184:
	v_add_co_u32 v0, vcc_lo, 0x1000, v33
	v_add_co_ci_u32_e32 v1, vcc_lo, 0, v34, vcc_lo
	global_store_b64 v[0:1], v[17:18], off
	s_or_b32 exec_lo, exec_lo, s7
	s_and_saveexec_b32 s6, s5
	s_cbranch_execz .LBB166_167
.LBB166_185:
	v_add_co_u32 v0, vcc_lo, 0x1000, v33
	v_add_co_ci_u32_e32 v1, vcc_lo, 0, v34, vcc_lo
	global_store_b64 v[0:1], v[19:20], off offset:512
	s_or_b32 exec_lo, exec_lo, s6
	s_and_saveexec_b32 s5, s3
	s_cbranch_execz .LBB166_168
.LBB166_186:
	v_add_co_u32 v0, vcc_lo, 0x1000, v33
	v_add_co_ci_u32_e32 v1, vcc_lo, 0, v34, vcc_lo
	global_store_b64 v[0:1], v[21:22], off offset:1024
	s_or_b32 exec_lo, exec_lo, s5
	s_and_saveexec_b32 s3, s4
	s_cbranch_execz .LBB166_169
.LBB166_187:
	v_add_co_u32 v0, vcc_lo, 0x1000, v33
	v_add_co_ci_u32_e32 v1, vcc_lo, 0, v34, vcc_lo
	global_store_b64 v[0:1], v[23:24], off offset:1536
	s_or_b32 exec_lo, exec_lo, s3
	s_and_saveexec_b32 s3, s2
	s_cbranch_execz .LBB166_170
.LBB166_188:
	v_add_co_u32 v0, vcc_lo, 0x1000, v33
	v_add_co_ci_u32_e32 v1, vcc_lo, 0, v34, vcc_lo
	global_store_b64 v[0:1], v[25:26], off offset:2048
	s_or_b32 exec_lo, exec_lo, s3
	s_and_saveexec_b32 s2, s1
	s_cbranch_execz .LBB166_171
.LBB166_189:
	v_add_co_u32 v0, vcc_lo, 0x1000, v33
	v_add_co_ci_u32_e32 v1, vcc_lo, 0, v34, vcc_lo
	global_store_b64 v[0:1], v[27:28], off offset:2560
	s_or_b32 exec_lo, exec_lo, s2
	s_and_saveexec_b32 s1, s0
	s_cbranch_execnz .LBB166_172
	s_branch .LBB166_173
	.section	.rodata,"a",@progbits
	.p2align	6, 0x0
	.amdhsa_kernel _ZN7rocprim17ROCPRIM_400000_NS6detail17trampoline_kernelINS0_14default_configENS1_27upper_bound_config_selectorIslEEZNS1_14transform_implILb0ES3_S5_N6thrust23THRUST_200600_302600_NS17counting_iteratorIsNS8_11use_defaultESA_SA_EEPlZNS1_13binary_searchIS3_S5_PsSB_SC_NS1_21upper_bound_search_opENS8_6detail16wrapped_functionINS0_4lessIvEEbEEEE10hipError_tPvRmT1_T2_T3_mmT4_T5_P12ihipStream_tbEUlRKsE_EESL_SP_SQ_mSR_SU_bEUlT_E_NS1_11comp_targetILNS1_3genE9ELNS1_11target_archE1100ELNS1_3gpuE3ELNS1_3repE0EEENS1_30default_config_static_selectorELNS0_4arch9wavefront6targetE0EEEvSO_
		.amdhsa_group_segment_fixed_size 0
		.amdhsa_private_segment_fixed_size 0
		.amdhsa_kernarg_size 312
		.amdhsa_user_sgpr_count 15
		.amdhsa_user_sgpr_dispatch_ptr 0
		.amdhsa_user_sgpr_queue_ptr 0
		.amdhsa_user_sgpr_kernarg_segment_ptr 1
		.amdhsa_user_sgpr_dispatch_id 0
		.amdhsa_user_sgpr_private_segment_size 0
		.amdhsa_wavefront_size32 1
		.amdhsa_uses_dynamic_stack 0
		.amdhsa_enable_private_segment 0
		.amdhsa_system_sgpr_workgroup_id_x 1
		.amdhsa_system_sgpr_workgroup_id_y 0
		.amdhsa_system_sgpr_workgroup_id_z 0
		.amdhsa_system_sgpr_workgroup_info 0
		.amdhsa_system_vgpr_workitem_id 0
		.amdhsa_next_free_vgpr 41
		.amdhsa_next_free_sgpr 27
		.amdhsa_reserve_vcc 1
		.amdhsa_float_round_mode_32 0
		.amdhsa_float_round_mode_16_64 0
		.amdhsa_float_denorm_mode_32 3
		.amdhsa_float_denorm_mode_16_64 3
		.amdhsa_dx10_clamp 1
		.amdhsa_ieee_mode 1
		.amdhsa_fp16_overflow 0
		.amdhsa_workgroup_processor_mode 1
		.amdhsa_memory_ordered 1
		.amdhsa_forward_progress 0
		.amdhsa_shared_vgpr_count 0
		.amdhsa_exception_fp_ieee_invalid_op 0
		.amdhsa_exception_fp_denorm_src 0
		.amdhsa_exception_fp_ieee_div_zero 0
		.amdhsa_exception_fp_ieee_overflow 0
		.amdhsa_exception_fp_ieee_underflow 0
		.amdhsa_exception_fp_ieee_inexact 0
		.amdhsa_exception_int_div_zero 0
	.end_amdhsa_kernel
	.section	.text._ZN7rocprim17ROCPRIM_400000_NS6detail17trampoline_kernelINS0_14default_configENS1_27upper_bound_config_selectorIslEEZNS1_14transform_implILb0ES3_S5_N6thrust23THRUST_200600_302600_NS17counting_iteratorIsNS8_11use_defaultESA_SA_EEPlZNS1_13binary_searchIS3_S5_PsSB_SC_NS1_21upper_bound_search_opENS8_6detail16wrapped_functionINS0_4lessIvEEbEEEE10hipError_tPvRmT1_T2_T3_mmT4_T5_P12ihipStream_tbEUlRKsE_EESL_SP_SQ_mSR_SU_bEUlT_E_NS1_11comp_targetILNS1_3genE9ELNS1_11target_archE1100ELNS1_3gpuE3ELNS1_3repE0EEENS1_30default_config_static_selectorELNS0_4arch9wavefront6targetE0EEEvSO_,"axG",@progbits,_ZN7rocprim17ROCPRIM_400000_NS6detail17trampoline_kernelINS0_14default_configENS1_27upper_bound_config_selectorIslEEZNS1_14transform_implILb0ES3_S5_N6thrust23THRUST_200600_302600_NS17counting_iteratorIsNS8_11use_defaultESA_SA_EEPlZNS1_13binary_searchIS3_S5_PsSB_SC_NS1_21upper_bound_search_opENS8_6detail16wrapped_functionINS0_4lessIvEEbEEEE10hipError_tPvRmT1_T2_T3_mmT4_T5_P12ihipStream_tbEUlRKsE_EESL_SP_SQ_mSR_SU_bEUlT_E_NS1_11comp_targetILNS1_3genE9ELNS1_11target_archE1100ELNS1_3gpuE3ELNS1_3repE0EEENS1_30default_config_static_selectorELNS0_4arch9wavefront6targetE0EEEvSO_,comdat
.Lfunc_end166:
	.size	_ZN7rocprim17ROCPRIM_400000_NS6detail17trampoline_kernelINS0_14default_configENS1_27upper_bound_config_selectorIslEEZNS1_14transform_implILb0ES3_S5_N6thrust23THRUST_200600_302600_NS17counting_iteratorIsNS8_11use_defaultESA_SA_EEPlZNS1_13binary_searchIS3_S5_PsSB_SC_NS1_21upper_bound_search_opENS8_6detail16wrapped_functionINS0_4lessIvEEbEEEE10hipError_tPvRmT1_T2_T3_mmT4_T5_P12ihipStream_tbEUlRKsE_EESL_SP_SQ_mSR_SU_bEUlT_E_NS1_11comp_targetILNS1_3genE9ELNS1_11target_archE1100ELNS1_3gpuE3ELNS1_3repE0EEENS1_30default_config_static_selectorELNS0_4arch9wavefront6targetE0EEEvSO_, .Lfunc_end166-_ZN7rocprim17ROCPRIM_400000_NS6detail17trampoline_kernelINS0_14default_configENS1_27upper_bound_config_selectorIslEEZNS1_14transform_implILb0ES3_S5_N6thrust23THRUST_200600_302600_NS17counting_iteratorIsNS8_11use_defaultESA_SA_EEPlZNS1_13binary_searchIS3_S5_PsSB_SC_NS1_21upper_bound_search_opENS8_6detail16wrapped_functionINS0_4lessIvEEbEEEE10hipError_tPvRmT1_T2_T3_mmT4_T5_P12ihipStream_tbEUlRKsE_EESL_SP_SQ_mSR_SU_bEUlT_E_NS1_11comp_targetILNS1_3genE9ELNS1_11target_archE1100ELNS1_3gpuE3ELNS1_3repE0EEENS1_30default_config_static_selectorELNS0_4arch9wavefront6targetE0EEEvSO_
                                        ; -- End function
	.section	.AMDGPU.csdata,"",@progbits
; Kernel info:
; codeLenInByte = 8612
; NumSgprs: 29
; NumVgprs: 41
; ScratchSize: 0
; MemoryBound: 0
; FloatMode: 240
; IeeeMode: 1
; LDSByteSize: 0 bytes/workgroup (compile time only)
; SGPRBlocks: 3
; VGPRBlocks: 5
; NumSGPRsForWavesPerEU: 29
; NumVGPRsForWavesPerEU: 41
; Occupancy: 16
; WaveLimiterHint : 1
; COMPUTE_PGM_RSRC2:SCRATCH_EN: 0
; COMPUTE_PGM_RSRC2:USER_SGPR: 15
; COMPUTE_PGM_RSRC2:TRAP_HANDLER: 0
; COMPUTE_PGM_RSRC2:TGID_X_EN: 1
; COMPUTE_PGM_RSRC2:TGID_Y_EN: 0
; COMPUTE_PGM_RSRC2:TGID_Z_EN: 0
; COMPUTE_PGM_RSRC2:TIDIG_COMP_CNT: 0
	.section	.text._ZN7rocprim17ROCPRIM_400000_NS6detail17trampoline_kernelINS0_14default_configENS1_27upper_bound_config_selectorIslEEZNS1_14transform_implILb0ES3_S5_N6thrust23THRUST_200600_302600_NS17counting_iteratorIsNS8_11use_defaultESA_SA_EEPlZNS1_13binary_searchIS3_S5_PsSB_SC_NS1_21upper_bound_search_opENS8_6detail16wrapped_functionINS0_4lessIvEEbEEEE10hipError_tPvRmT1_T2_T3_mmT4_T5_P12ihipStream_tbEUlRKsE_EESL_SP_SQ_mSR_SU_bEUlT_E_NS1_11comp_targetILNS1_3genE8ELNS1_11target_archE1030ELNS1_3gpuE2ELNS1_3repE0EEENS1_30default_config_static_selectorELNS0_4arch9wavefront6targetE0EEEvSO_,"axG",@progbits,_ZN7rocprim17ROCPRIM_400000_NS6detail17trampoline_kernelINS0_14default_configENS1_27upper_bound_config_selectorIslEEZNS1_14transform_implILb0ES3_S5_N6thrust23THRUST_200600_302600_NS17counting_iteratorIsNS8_11use_defaultESA_SA_EEPlZNS1_13binary_searchIS3_S5_PsSB_SC_NS1_21upper_bound_search_opENS8_6detail16wrapped_functionINS0_4lessIvEEbEEEE10hipError_tPvRmT1_T2_T3_mmT4_T5_P12ihipStream_tbEUlRKsE_EESL_SP_SQ_mSR_SU_bEUlT_E_NS1_11comp_targetILNS1_3genE8ELNS1_11target_archE1030ELNS1_3gpuE2ELNS1_3repE0EEENS1_30default_config_static_selectorELNS0_4arch9wavefront6targetE0EEEvSO_,comdat
	.protected	_ZN7rocprim17ROCPRIM_400000_NS6detail17trampoline_kernelINS0_14default_configENS1_27upper_bound_config_selectorIslEEZNS1_14transform_implILb0ES3_S5_N6thrust23THRUST_200600_302600_NS17counting_iteratorIsNS8_11use_defaultESA_SA_EEPlZNS1_13binary_searchIS3_S5_PsSB_SC_NS1_21upper_bound_search_opENS8_6detail16wrapped_functionINS0_4lessIvEEbEEEE10hipError_tPvRmT1_T2_T3_mmT4_T5_P12ihipStream_tbEUlRKsE_EESL_SP_SQ_mSR_SU_bEUlT_E_NS1_11comp_targetILNS1_3genE8ELNS1_11target_archE1030ELNS1_3gpuE2ELNS1_3repE0EEENS1_30default_config_static_selectorELNS0_4arch9wavefront6targetE0EEEvSO_ ; -- Begin function _ZN7rocprim17ROCPRIM_400000_NS6detail17trampoline_kernelINS0_14default_configENS1_27upper_bound_config_selectorIslEEZNS1_14transform_implILb0ES3_S5_N6thrust23THRUST_200600_302600_NS17counting_iteratorIsNS8_11use_defaultESA_SA_EEPlZNS1_13binary_searchIS3_S5_PsSB_SC_NS1_21upper_bound_search_opENS8_6detail16wrapped_functionINS0_4lessIvEEbEEEE10hipError_tPvRmT1_T2_T3_mmT4_T5_P12ihipStream_tbEUlRKsE_EESL_SP_SQ_mSR_SU_bEUlT_E_NS1_11comp_targetILNS1_3genE8ELNS1_11target_archE1030ELNS1_3gpuE2ELNS1_3repE0EEENS1_30default_config_static_selectorELNS0_4arch9wavefront6targetE0EEEvSO_
	.globl	_ZN7rocprim17ROCPRIM_400000_NS6detail17trampoline_kernelINS0_14default_configENS1_27upper_bound_config_selectorIslEEZNS1_14transform_implILb0ES3_S5_N6thrust23THRUST_200600_302600_NS17counting_iteratorIsNS8_11use_defaultESA_SA_EEPlZNS1_13binary_searchIS3_S5_PsSB_SC_NS1_21upper_bound_search_opENS8_6detail16wrapped_functionINS0_4lessIvEEbEEEE10hipError_tPvRmT1_T2_T3_mmT4_T5_P12ihipStream_tbEUlRKsE_EESL_SP_SQ_mSR_SU_bEUlT_E_NS1_11comp_targetILNS1_3genE8ELNS1_11target_archE1030ELNS1_3gpuE2ELNS1_3repE0EEENS1_30default_config_static_selectorELNS0_4arch9wavefront6targetE0EEEvSO_
	.p2align	8
	.type	_ZN7rocprim17ROCPRIM_400000_NS6detail17trampoline_kernelINS0_14default_configENS1_27upper_bound_config_selectorIslEEZNS1_14transform_implILb0ES3_S5_N6thrust23THRUST_200600_302600_NS17counting_iteratorIsNS8_11use_defaultESA_SA_EEPlZNS1_13binary_searchIS3_S5_PsSB_SC_NS1_21upper_bound_search_opENS8_6detail16wrapped_functionINS0_4lessIvEEbEEEE10hipError_tPvRmT1_T2_T3_mmT4_T5_P12ihipStream_tbEUlRKsE_EESL_SP_SQ_mSR_SU_bEUlT_E_NS1_11comp_targetILNS1_3genE8ELNS1_11target_archE1030ELNS1_3gpuE2ELNS1_3repE0EEENS1_30default_config_static_selectorELNS0_4arch9wavefront6targetE0EEEvSO_,@function
_ZN7rocprim17ROCPRIM_400000_NS6detail17trampoline_kernelINS0_14default_configENS1_27upper_bound_config_selectorIslEEZNS1_14transform_implILb0ES3_S5_N6thrust23THRUST_200600_302600_NS17counting_iteratorIsNS8_11use_defaultESA_SA_EEPlZNS1_13binary_searchIS3_S5_PsSB_SC_NS1_21upper_bound_search_opENS8_6detail16wrapped_functionINS0_4lessIvEEbEEEE10hipError_tPvRmT1_T2_T3_mmT4_T5_P12ihipStream_tbEUlRKsE_EESL_SP_SQ_mSR_SU_bEUlT_E_NS1_11comp_targetILNS1_3genE8ELNS1_11target_archE1030ELNS1_3gpuE2ELNS1_3repE0EEENS1_30default_config_static_selectorELNS0_4arch9wavefront6targetE0EEEvSO_: ; @_ZN7rocprim17ROCPRIM_400000_NS6detail17trampoline_kernelINS0_14default_configENS1_27upper_bound_config_selectorIslEEZNS1_14transform_implILb0ES3_S5_N6thrust23THRUST_200600_302600_NS17counting_iteratorIsNS8_11use_defaultESA_SA_EEPlZNS1_13binary_searchIS3_S5_PsSB_SC_NS1_21upper_bound_search_opENS8_6detail16wrapped_functionINS0_4lessIvEEbEEEE10hipError_tPvRmT1_T2_T3_mmT4_T5_P12ihipStream_tbEUlRKsE_EESL_SP_SQ_mSR_SU_bEUlT_E_NS1_11comp_targetILNS1_3genE8ELNS1_11target_archE1030ELNS1_3gpuE2ELNS1_3repE0EEENS1_30default_config_static_selectorELNS0_4arch9wavefront6targetE0EEEvSO_
; %bb.0:
	.section	.rodata,"a",@progbits
	.p2align	6, 0x0
	.amdhsa_kernel _ZN7rocprim17ROCPRIM_400000_NS6detail17trampoline_kernelINS0_14default_configENS1_27upper_bound_config_selectorIslEEZNS1_14transform_implILb0ES3_S5_N6thrust23THRUST_200600_302600_NS17counting_iteratorIsNS8_11use_defaultESA_SA_EEPlZNS1_13binary_searchIS3_S5_PsSB_SC_NS1_21upper_bound_search_opENS8_6detail16wrapped_functionINS0_4lessIvEEbEEEE10hipError_tPvRmT1_T2_T3_mmT4_T5_P12ihipStream_tbEUlRKsE_EESL_SP_SQ_mSR_SU_bEUlT_E_NS1_11comp_targetILNS1_3genE8ELNS1_11target_archE1030ELNS1_3gpuE2ELNS1_3repE0EEENS1_30default_config_static_selectorELNS0_4arch9wavefront6targetE0EEEvSO_
		.amdhsa_group_segment_fixed_size 0
		.amdhsa_private_segment_fixed_size 0
		.amdhsa_kernarg_size 56
		.amdhsa_user_sgpr_count 15
		.amdhsa_user_sgpr_dispatch_ptr 0
		.amdhsa_user_sgpr_queue_ptr 0
		.amdhsa_user_sgpr_kernarg_segment_ptr 1
		.amdhsa_user_sgpr_dispatch_id 0
		.amdhsa_user_sgpr_private_segment_size 0
		.amdhsa_wavefront_size32 1
		.amdhsa_uses_dynamic_stack 0
		.amdhsa_enable_private_segment 0
		.amdhsa_system_sgpr_workgroup_id_x 1
		.amdhsa_system_sgpr_workgroup_id_y 0
		.amdhsa_system_sgpr_workgroup_id_z 0
		.amdhsa_system_sgpr_workgroup_info 0
		.amdhsa_system_vgpr_workitem_id 0
		.amdhsa_next_free_vgpr 1
		.amdhsa_next_free_sgpr 1
		.amdhsa_reserve_vcc 0
		.amdhsa_float_round_mode_32 0
		.amdhsa_float_round_mode_16_64 0
		.amdhsa_float_denorm_mode_32 3
		.amdhsa_float_denorm_mode_16_64 3
		.amdhsa_dx10_clamp 1
		.amdhsa_ieee_mode 1
		.amdhsa_fp16_overflow 0
		.amdhsa_workgroup_processor_mode 1
		.amdhsa_memory_ordered 1
		.amdhsa_forward_progress 0
		.amdhsa_shared_vgpr_count 0
		.amdhsa_exception_fp_ieee_invalid_op 0
		.amdhsa_exception_fp_denorm_src 0
		.amdhsa_exception_fp_ieee_div_zero 0
		.amdhsa_exception_fp_ieee_overflow 0
		.amdhsa_exception_fp_ieee_underflow 0
		.amdhsa_exception_fp_ieee_inexact 0
		.amdhsa_exception_int_div_zero 0
	.end_amdhsa_kernel
	.section	.text._ZN7rocprim17ROCPRIM_400000_NS6detail17trampoline_kernelINS0_14default_configENS1_27upper_bound_config_selectorIslEEZNS1_14transform_implILb0ES3_S5_N6thrust23THRUST_200600_302600_NS17counting_iteratorIsNS8_11use_defaultESA_SA_EEPlZNS1_13binary_searchIS3_S5_PsSB_SC_NS1_21upper_bound_search_opENS8_6detail16wrapped_functionINS0_4lessIvEEbEEEE10hipError_tPvRmT1_T2_T3_mmT4_T5_P12ihipStream_tbEUlRKsE_EESL_SP_SQ_mSR_SU_bEUlT_E_NS1_11comp_targetILNS1_3genE8ELNS1_11target_archE1030ELNS1_3gpuE2ELNS1_3repE0EEENS1_30default_config_static_selectorELNS0_4arch9wavefront6targetE0EEEvSO_,"axG",@progbits,_ZN7rocprim17ROCPRIM_400000_NS6detail17trampoline_kernelINS0_14default_configENS1_27upper_bound_config_selectorIslEEZNS1_14transform_implILb0ES3_S5_N6thrust23THRUST_200600_302600_NS17counting_iteratorIsNS8_11use_defaultESA_SA_EEPlZNS1_13binary_searchIS3_S5_PsSB_SC_NS1_21upper_bound_search_opENS8_6detail16wrapped_functionINS0_4lessIvEEbEEEE10hipError_tPvRmT1_T2_T3_mmT4_T5_P12ihipStream_tbEUlRKsE_EESL_SP_SQ_mSR_SU_bEUlT_E_NS1_11comp_targetILNS1_3genE8ELNS1_11target_archE1030ELNS1_3gpuE2ELNS1_3repE0EEENS1_30default_config_static_selectorELNS0_4arch9wavefront6targetE0EEEvSO_,comdat
.Lfunc_end167:
	.size	_ZN7rocprim17ROCPRIM_400000_NS6detail17trampoline_kernelINS0_14default_configENS1_27upper_bound_config_selectorIslEEZNS1_14transform_implILb0ES3_S5_N6thrust23THRUST_200600_302600_NS17counting_iteratorIsNS8_11use_defaultESA_SA_EEPlZNS1_13binary_searchIS3_S5_PsSB_SC_NS1_21upper_bound_search_opENS8_6detail16wrapped_functionINS0_4lessIvEEbEEEE10hipError_tPvRmT1_T2_T3_mmT4_T5_P12ihipStream_tbEUlRKsE_EESL_SP_SQ_mSR_SU_bEUlT_E_NS1_11comp_targetILNS1_3genE8ELNS1_11target_archE1030ELNS1_3gpuE2ELNS1_3repE0EEENS1_30default_config_static_selectorELNS0_4arch9wavefront6targetE0EEEvSO_, .Lfunc_end167-_ZN7rocprim17ROCPRIM_400000_NS6detail17trampoline_kernelINS0_14default_configENS1_27upper_bound_config_selectorIslEEZNS1_14transform_implILb0ES3_S5_N6thrust23THRUST_200600_302600_NS17counting_iteratorIsNS8_11use_defaultESA_SA_EEPlZNS1_13binary_searchIS3_S5_PsSB_SC_NS1_21upper_bound_search_opENS8_6detail16wrapped_functionINS0_4lessIvEEbEEEE10hipError_tPvRmT1_T2_T3_mmT4_T5_P12ihipStream_tbEUlRKsE_EESL_SP_SQ_mSR_SU_bEUlT_E_NS1_11comp_targetILNS1_3genE8ELNS1_11target_archE1030ELNS1_3gpuE2ELNS1_3repE0EEENS1_30default_config_static_selectorELNS0_4arch9wavefront6targetE0EEEvSO_
                                        ; -- End function
	.section	.AMDGPU.csdata,"",@progbits
; Kernel info:
; codeLenInByte = 0
; NumSgprs: 0
; NumVgprs: 0
; ScratchSize: 0
; MemoryBound: 0
; FloatMode: 240
; IeeeMode: 1
; LDSByteSize: 0 bytes/workgroup (compile time only)
; SGPRBlocks: 0
; VGPRBlocks: 0
; NumSGPRsForWavesPerEU: 1
; NumVGPRsForWavesPerEU: 1
; Occupancy: 16
; WaveLimiterHint : 0
; COMPUTE_PGM_RSRC2:SCRATCH_EN: 0
; COMPUTE_PGM_RSRC2:USER_SGPR: 15
; COMPUTE_PGM_RSRC2:TRAP_HANDLER: 0
; COMPUTE_PGM_RSRC2:TGID_X_EN: 1
; COMPUTE_PGM_RSRC2:TGID_Y_EN: 0
; COMPUTE_PGM_RSRC2:TGID_Z_EN: 0
; COMPUTE_PGM_RSRC2:TIDIG_COMP_CNT: 0
	.section	.text._ZN6thrust23THRUST_200600_302600_NS11hip_rocprim14__parallel_for6kernelILj256ENS1_20__uninitialized_fill7functorINS0_10device_ptrIbEEbEEmLj1EEEvT0_T1_SA_,"axG",@progbits,_ZN6thrust23THRUST_200600_302600_NS11hip_rocprim14__parallel_for6kernelILj256ENS1_20__uninitialized_fill7functorINS0_10device_ptrIbEEbEEmLj1EEEvT0_T1_SA_,comdat
	.protected	_ZN6thrust23THRUST_200600_302600_NS11hip_rocprim14__parallel_for6kernelILj256ENS1_20__uninitialized_fill7functorINS0_10device_ptrIbEEbEEmLj1EEEvT0_T1_SA_ ; -- Begin function _ZN6thrust23THRUST_200600_302600_NS11hip_rocprim14__parallel_for6kernelILj256ENS1_20__uninitialized_fill7functorINS0_10device_ptrIbEEbEEmLj1EEEvT0_T1_SA_
	.globl	_ZN6thrust23THRUST_200600_302600_NS11hip_rocprim14__parallel_for6kernelILj256ENS1_20__uninitialized_fill7functorINS0_10device_ptrIbEEbEEmLj1EEEvT0_T1_SA_
	.p2align	8
	.type	_ZN6thrust23THRUST_200600_302600_NS11hip_rocprim14__parallel_for6kernelILj256ENS1_20__uninitialized_fill7functorINS0_10device_ptrIbEEbEEmLj1EEEvT0_T1_SA_,@function
_ZN6thrust23THRUST_200600_302600_NS11hip_rocprim14__parallel_for6kernelILj256ENS1_20__uninitialized_fill7functorINS0_10device_ptrIbEEbEEmLj1EEEvT0_T1_SA_: ; @_ZN6thrust23THRUST_200600_302600_NS11hip_rocprim14__parallel_for6kernelILj256ENS1_20__uninitialized_fill7functorINS0_10device_ptrIbEEbEEmLj1EEEvT0_T1_SA_
; %bb.0:
	s_load_b128 s[8:11], s[0:1], 0x10
	s_lshl_b32 s2, s15, 8
	s_waitcnt lgkmcnt(0)
	s_add_u32 s4, s2, s10
	s_addc_u32 s5, 0, s11
	s_sub_u32 s2, s8, s4
	s_subb_u32 s3, s9, s5
	s_delay_alu instid0(SALU_CYCLE_1) | instskip(NEXT) | instid1(VALU_DEP_1)
	v_cmp_gt_u64_e64 s3, 0x100, s[2:3]
	s_and_b32 vcc_lo, exec_lo, s3
	s_mov_b32 s3, 0
	s_cbranch_vccz .LBB168_2
; %bb.1:
	v_cmp_gt_u32_e32 vcc_lo, s2, v0
	s_and_b32 s3, vcc_lo, exec_lo
	s_cbranch_execz .LBB168_3
	s_branch .LBB168_4
.LBB168_2:
.LBB168_3:
	s_or_b32 s3, s3, exec_lo
.LBB168_4:
	s_delay_alu instid0(SALU_CYCLE_1)
	s_and_saveexec_b32 s2, s3
	s_cbranch_execnz .LBB168_6
; %bb.5:
	s_endpgm
.LBB168_6:
	s_clause 0x1
	s_load_b64 s[2:3], s[0:1], 0x0
	s_load_b32 s0, s[0:1], 0x8
	s_waitcnt lgkmcnt(0)
	s_add_u32 s1, s2, s4
	s_addc_u32 s2, s3, s5
	v_add_co_u32 v0, s1, s1, v0
	s_delay_alu instid0(VALU_DEP_1)
	v_add_co_ci_u32_e64 v1, null, s2, 0, s1
	v_mov_b32_e32 v2, s0
	flat_store_b8 v[0:1], v2
	s_endpgm
	.section	.rodata,"a",@progbits
	.p2align	6, 0x0
	.amdhsa_kernel _ZN6thrust23THRUST_200600_302600_NS11hip_rocprim14__parallel_for6kernelILj256ENS1_20__uninitialized_fill7functorINS0_10device_ptrIbEEbEEmLj1EEEvT0_T1_SA_
		.amdhsa_group_segment_fixed_size 0
		.amdhsa_private_segment_fixed_size 0
		.amdhsa_kernarg_size 32
		.amdhsa_user_sgpr_count 15
		.amdhsa_user_sgpr_dispatch_ptr 0
		.amdhsa_user_sgpr_queue_ptr 0
		.amdhsa_user_sgpr_kernarg_segment_ptr 1
		.amdhsa_user_sgpr_dispatch_id 0
		.amdhsa_user_sgpr_private_segment_size 0
		.amdhsa_wavefront_size32 1
		.amdhsa_uses_dynamic_stack 0
		.amdhsa_enable_private_segment 0
		.amdhsa_system_sgpr_workgroup_id_x 1
		.amdhsa_system_sgpr_workgroup_id_y 0
		.amdhsa_system_sgpr_workgroup_id_z 0
		.amdhsa_system_sgpr_workgroup_info 0
		.amdhsa_system_vgpr_workitem_id 0
		.amdhsa_next_free_vgpr 3
		.amdhsa_next_free_sgpr 16
		.amdhsa_reserve_vcc 1
		.amdhsa_float_round_mode_32 0
		.amdhsa_float_round_mode_16_64 0
		.amdhsa_float_denorm_mode_32 3
		.amdhsa_float_denorm_mode_16_64 3
		.amdhsa_dx10_clamp 1
		.amdhsa_ieee_mode 1
		.amdhsa_fp16_overflow 0
		.amdhsa_workgroup_processor_mode 1
		.amdhsa_memory_ordered 1
		.amdhsa_forward_progress 0
		.amdhsa_shared_vgpr_count 0
		.amdhsa_exception_fp_ieee_invalid_op 0
		.amdhsa_exception_fp_denorm_src 0
		.amdhsa_exception_fp_ieee_div_zero 0
		.amdhsa_exception_fp_ieee_overflow 0
		.amdhsa_exception_fp_ieee_underflow 0
		.amdhsa_exception_fp_ieee_inexact 0
		.amdhsa_exception_int_div_zero 0
	.end_amdhsa_kernel
	.section	.text._ZN6thrust23THRUST_200600_302600_NS11hip_rocprim14__parallel_for6kernelILj256ENS1_20__uninitialized_fill7functorINS0_10device_ptrIbEEbEEmLj1EEEvT0_T1_SA_,"axG",@progbits,_ZN6thrust23THRUST_200600_302600_NS11hip_rocprim14__parallel_for6kernelILj256ENS1_20__uninitialized_fill7functorINS0_10device_ptrIbEEbEEmLj1EEEvT0_T1_SA_,comdat
.Lfunc_end168:
	.size	_ZN6thrust23THRUST_200600_302600_NS11hip_rocprim14__parallel_for6kernelILj256ENS1_20__uninitialized_fill7functorINS0_10device_ptrIbEEbEEmLj1EEEvT0_T1_SA_, .Lfunc_end168-_ZN6thrust23THRUST_200600_302600_NS11hip_rocprim14__parallel_for6kernelILj256ENS1_20__uninitialized_fill7functorINS0_10device_ptrIbEEbEEmLj1EEEvT0_T1_SA_
                                        ; -- End function
	.section	.AMDGPU.csdata,"",@progbits
; Kernel info:
; codeLenInByte = 164
; NumSgprs: 18
; NumVgprs: 3
; ScratchSize: 0
; MemoryBound: 0
; FloatMode: 240
; IeeeMode: 1
; LDSByteSize: 0 bytes/workgroup (compile time only)
; SGPRBlocks: 2
; VGPRBlocks: 0
; NumSGPRsForWavesPerEU: 18
; NumVGPRsForWavesPerEU: 3
; Occupancy: 16
; WaveLimiterHint : 0
; COMPUTE_PGM_RSRC2:SCRATCH_EN: 0
; COMPUTE_PGM_RSRC2:USER_SGPR: 15
; COMPUTE_PGM_RSRC2:TRAP_HANDLER: 0
; COMPUTE_PGM_RSRC2:TGID_X_EN: 1
; COMPUTE_PGM_RSRC2:TGID_Y_EN: 0
; COMPUTE_PGM_RSRC2:TGID_Z_EN: 0
; COMPUTE_PGM_RSRC2:TIDIG_COMP_CNT: 0
	.section	.text._Z20binary_search_kernelIdEvmPT_Pb,"axG",@progbits,_Z20binary_search_kernelIdEvmPT_Pb,comdat
	.protected	_Z20binary_search_kernelIdEvmPT_Pb ; -- Begin function _Z20binary_search_kernelIdEvmPT_Pb
	.globl	_Z20binary_search_kernelIdEvmPT_Pb
	.p2align	8
	.type	_Z20binary_search_kernelIdEvmPT_Pb,@function
_Z20binary_search_kernelIdEvmPT_Pb:     ; @_Z20binary_search_kernelIdEvmPT_Pb
; %bb.0:
	s_clause 0x1
	s_load_b128 s[4:7], s[0:1], 0x0
	s_load_b64 s[2:3], s[0:1], 0x10
	v_mov_b32_e32 v0, 0
	v_mov_b32_e32 v1, 0
	s_waitcnt lgkmcnt(0)
	s_lshl_b64 s[0:1], s[4:5], 3
	s_delay_alu instid0(SALU_CYCLE_1) | instskip(NEXT) | instid1(SALU_CYCLE_1)
	s_ashr_i64 s[8:9], s[0:1], 3
	v_cmp_gt_i64_e64 s0, s[8:9], 0
	s_delay_alu instid0(VALU_DEP_1) | instskip(NEXT) | instid1(VALU_DEP_1)
	v_cndmask_b32_e64 v2, 0, 1, s0
	v_cmp_ne_u32_e64 s0, 1, v2
	v_mov_b32_e32 v2, 0
	s_branch .LBB169_2
.LBB169_1:                              ;   in Loop: Header=BB169_2 Depth=1
	v_add_f64 v[0:1], v[0:1], 1.0
	s_delay_alu instid0(VALU_DEP_1) | instskip(NEXT) | instid1(VALU_DEP_1)
	v_add_f64 v[3:4], 0x40240000, -v[0:1]
	v_trunc_f64_e32 v[3:4], v[3:4]
	s_delay_alu instid0(VALU_DEP_1) | instskip(NEXT) | instid1(VALU_DEP_1)
	v_ldexp_f64 v[5:6], v[3:4], 0xffffffe0
	v_floor_f64_e32 v[5:6], v[5:6]
	s_delay_alu instid0(VALU_DEP_1) | instskip(NEXT) | instid1(VALU_DEP_1)
	v_fma_f64 v[3:4], 0xc1f00000, v[5:6], v[3:4]
	v_cvt_u32_f64_e32 v3, v[3:4]
	v_cvt_i32_f64_e32 v4, v[5:6]
	v_cndmask_b32_e64 v5, 0, 1, s1
	global_store_b8 v2, v5, s[2:3]
	s_add_u32 s2, s2, 1
	s_addc_u32 s3, s3, 0
	v_cmp_ne_u64_e32 vcc_lo, 0, v[3:4]
	s_cbranch_vccz .LBB169_7
.LBB169_2:                              ; =>This Loop Header: Depth=1
                                        ;     Child Loop BB169_4 Depth 2
	s_delay_alu instid0(VALU_DEP_2)
	s_and_b32 vcc_lo, exec_lo, s0
	s_mov_b64 s[10:11], 0
	s_cbranch_vccnz .LBB169_5
; %bb.3:                                ;   in Loop: Header=BB169_2 Depth=1
	s_mov_b64 s[12:13], s[8:9]
	.p2align	6
.LBB169_4:                              ;   Parent Loop BB169_2 Depth=1
                                        ; =>  This Inner Loop Header: Depth=2
	s_delay_alu instid0(SALU_CYCLE_1) | instskip(SKIP_1) | instid1(SALU_CYCLE_1)
	s_sub_u32 s1, s12, s10
	s_subb_u32 s15, s13, s11
	s_lshr_b32 s14, s15, 31
	s_delay_alu instid0(SALU_CYCLE_1) | instskip(SKIP_1) | instid1(SALU_CYCLE_1)
	s_add_u32 s14, s1, s14
	s_addc_u32 s15, s15, 0
	s_ashr_i64 s[14:15], s[14:15], 1
	s_delay_alu instid0(SALU_CYCLE_1) | instskip(SKIP_1) | instid1(SALU_CYCLE_1)
	s_add_u32 s14, s14, s10
	s_addc_u32 s15, s15, s11
	s_lshl_b64 s[16:17], s[14:15], 3
	s_delay_alu instid0(SALU_CYCLE_1)
	s_add_u32 s16, s6, s16
	s_addc_u32 s17, s7, s17
	s_add_u32 s1, s14, 1
	s_load_b64 s[16:17], s[16:17], 0x0
	s_waitcnt lgkmcnt(0)
	v_cmp_lt_f64_e32 vcc_lo, s[16:17], v[0:1]
	s_addc_u32 s16, s15, 0
	s_and_b32 s17, vcc_lo, exec_lo
	s_cselect_b32 s11, s16, s11
	s_cselect_b32 s10, s1, s10
	;; [unrolled: 1-line block ×4, first 2 shown]
	s_delay_alu instid0(SALU_CYCLE_1) | instskip(NEXT) | instid1(VALU_DEP_1)
	v_cmp_lt_i64_e64 s1, s[10:11], s[12:13]
	s_and_b32 vcc_lo, exec_lo, s1
	s_cbranch_vccnz .LBB169_4
.LBB169_5:                              ;   in Loop: Header=BB169_2 Depth=1
	s_cmp_eq_u64 s[10:11], s[4:5]
	s_mov_b32 s1, 0
	s_cbranch_scc1 .LBB169_1
; %bb.6:                                ;   in Loop: Header=BB169_2 Depth=1
	s_lshl_b64 s[10:11], s[10:11], 3
	s_delay_alu instid0(SALU_CYCLE_1)
	s_add_u32 s10, s6, s10
	s_addc_u32 s11, s7, s11
	s_load_b64 s[10:11], s[10:11], 0x0
	s_waitcnt lgkmcnt(0)
	v_cmp_ngt_f64_e64 s1, s[10:11], v[0:1]
	s_branch .LBB169_1
.LBB169_7:
	s_nop 0
	s_sendmsg sendmsg(MSG_DEALLOC_VGPRS)
	s_endpgm
	.section	.rodata,"a",@progbits
	.p2align	6, 0x0
	.amdhsa_kernel _Z20binary_search_kernelIdEvmPT_Pb
		.amdhsa_group_segment_fixed_size 0
		.amdhsa_private_segment_fixed_size 0
		.amdhsa_kernarg_size 24
		.amdhsa_user_sgpr_count 15
		.amdhsa_user_sgpr_dispatch_ptr 0
		.amdhsa_user_sgpr_queue_ptr 0
		.amdhsa_user_sgpr_kernarg_segment_ptr 1
		.amdhsa_user_sgpr_dispatch_id 0
		.amdhsa_user_sgpr_private_segment_size 0
		.amdhsa_wavefront_size32 1
		.amdhsa_uses_dynamic_stack 0
		.amdhsa_enable_private_segment 0
		.amdhsa_system_sgpr_workgroup_id_x 1
		.amdhsa_system_sgpr_workgroup_id_y 0
		.amdhsa_system_sgpr_workgroup_id_z 0
		.amdhsa_system_sgpr_workgroup_info 0
		.amdhsa_system_vgpr_workitem_id 0
		.amdhsa_next_free_vgpr 7
		.amdhsa_next_free_sgpr 18
		.amdhsa_reserve_vcc 1
		.amdhsa_float_round_mode_32 0
		.amdhsa_float_round_mode_16_64 0
		.amdhsa_float_denorm_mode_32 3
		.amdhsa_float_denorm_mode_16_64 3
		.amdhsa_dx10_clamp 1
		.amdhsa_ieee_mode 1
		.amdhsa_fp16_overflow 0
		.amdhsa_workgroup_processor_mode 1
		.amdhsa_memory_ordered 1
		.amdhsa_forward_progress 0
		.amdhsa_shared_vgpr_count 0
		.amdhsa_exception_fp_ieee_invalid_op 0
		.amdhsa_exception_fp_denorm_src 0
		.amdhsa_exception_fp_ieee_div_zero 0
		.amdhsa_exception_fp_ieee_overflow 0
		.amdhsa_exception_fp_ieee_underflow 0
		.amdhsa_exception_fp_ieee_inexact 0
		.amdhsa_exception_int_div_zero 0
	.end_amdhsa_kernel
	.section	.text._Z20binary_search_kernelIdEvmPT_Pb,"axG",@progbits,_Z20binary_search_kernelIdEvmPT_Pb,comdat
.Lfunc_end169:
	.size	_Z20binary_search_kernelIdEvmPT_Pb, .Lfunc_end169-_Z20binary_search_kernelIdEvmPT_Pb
                                        ; -- End function
	.section	.AMDGPU.csdata,"",@progbits
; Kernel info:
; codeLenInByte = 392
; NumSgprs: 20
; NumVgprs: 7
; ScratchSize: 0
; MemoryBound: 0
; FloatMode: 240
; IeeeMode: 1
; LDSByteSize: 0 bytes/workgroup (compile time only)
; SGPRBlocks: 2
; VGPRBlocks: 0
; NumSGPRsForWavesPerEU: 20
; NumVGPRsForWavesPerEU: 7
; Occupancy: 16
; WaveLimiterHint : 0
; COMPUTE_PGM_RSRC2:SCRATCH_EN: 0
; COMPUTE_PGM_RSRC2:USER_SGPR: 15
; COMPUTE_PGM_RSRC2:TRAP_HANDLER: 0
; COMPUTE_PGM_RSRC2:TGID_X_EN: 1
; COMPUTE_PGM_RSRC2:TGID_Y_EN: 0
; COMPUTE_PGM_RSRC2:TGID_Z_EN: 0
; COMPUTE_PGM_RSRC2:TIDIG_COMP_CNT: 0
	.section	.text._ZN7rocprim17ROCPRIM_400000_NS6detail17trampoline_kernelINS0_14default_configENS1_29binary_search_config_selectorIdbEEZNS1_14transform_implILb0ES3_S5_N6thrust23THRUST_200600_302600_NS17counting_iteratorIdNS8_11use_defaultESA_SA_EEPbZNS1_13binary_searchIS3_S5_PdSB_SC_NS1_16binary_search_opENS8_6detail16wrapped_functionINS0_4lessIvEEbEEEE10hipError_tPvRmT1_T2_T3_mmT4_T5_P12ihipStream_tbEUlRKdE_EESL_SP_SQ_mSR_SU_bEUlT_E_NS1_11comp_targetILNS1_3genE0ELNS1_11target_archE4294967295ELNS1_3gpuE0ELNS1_3repE0EEENS1_30default_config_static_selectorELNS0_4arch9wavefront6targetE0EEEvSO_,"axG",@progbits,_ZN7rocprim17ROCPRIM_400000_NS6detail17trampoline_kernelINS0_14default_configENS1_29binary_search_config_selectorIdbEEZNS1_14transform_implILb0ES3_S5_N6thrust23THRUST_200600_302600_NS17counting_iteratorIdNS8_11use_defaultESA_SA_EEPbZNS1_13binary_searchIS3_S5_PdSB_SC_NS1_16binary_search_opENS8_6detail16wrapped_functionINS0_4lessIvEEbEEEE10hipError_tPvRmT1_T2_T3_mmT4_T5_P12ihipStream_tbEUlRKdE_EESL_SP_SQ_mSR_SU_bEUlT_E_NS1_11comp_targetILNS1_3genE0ELNS1_11target_archE4294967295ELNS1_3gpuE0ELNS1_3repE0EEENS1_30default_config_static_selectorELNS0_4arch9wavefront6targetE0EEEvSO_,comdat
	.protected	_ZN7rocprim17ROCPRIM_400000_NS6detail17trampoline_kernelINS0_14default_configENS1_29binary_search_config_selectorIdbEEZNS1_14transform_implILb0ES3_S5_N6thrust23THRUST_200600_302600_NS17counting_iteratorIdNS8_11use_defaultESA_SA_EEPbZNS1_13binary_searchIS3_S5_PdSB_SC_NS1_16binary_search_opENS8_6detail16wrapped_functionINS0_4lessIvEEbEEEE10hipError_tPvRmT1_T2_T3_mmT4_T5_P12ihipStream_tbEUlRKdE_EESL_SP_SQ_mSR_SU_bEUlT_E_NS1_11comp_targetILNS1_3genE0ELNS1_11target_archE4294967295ELNS1_3gpuE0ELNS1_3repE0EEENS1_30default_config_static_selectorELNS0_4arch9wavefront6targetE0EEEvSO_ ; -- Begin function _ZN7rocprim17ROCPRIM_400000_NS6detail17trampoline_kernelINS0_14default_configENS1_29binary_search_config_selectorIdbEEZNS1_14transform_implILb0ES3_S5_N6thrust23THRUST_200600_302600_NS17counting_iteratorIdNS8_11use_defaultESA_SA_EEPbZNS1_13binary_searchIS3_S5_PdSB_SC_NS1_16binary_search_opENS8_6detail16wrapped_functionINS0_4lessIvEEbEEEE10hipError_tPvRmT1_T2_T3_mmT4_T5_P12ihipStream_tbEUlRKdE_EESL_SP_SQ_mSR_SU_bEUlT_E_NS1_11comp_targetILNS1_3genE0ELNS1_11target_archE4294967295ELNS1_3gpuE0ELNS1_3repE0EEENS1_30default_config_static_selectorELNS0_4arch9wavefront6targetE0EEEvSO_
	.globl	_ZN7rocprim17ROCPRIM_400000_NS6detail17trampoline_kernelINS0_14default_configENS1_29binary_search_config_selectorIdbEEZNS1_14transform_implILb0ES3_S5_N6thrust23THRUST_200600_302600_NS17counting_iteratorIdNS8_11use_defaultESA_SA_EEPbZNS1_13binary_searchIS3_S5_PdSB_SC_NS1_16binary_search_opENS8_6detail16wrapped_functionINS0_4lessIvEEbEEEE10hipError_tPvRmT1_T2_T3_mmT4_T5_P12ihipStream_tbEUlRKdE_EESL_SP_SQ_mSR_SU_bEUlT_E_NS1_11comp_targetILNS1_3genE0ELNS1_11target_archE4294967295ELNS1_3gpuE0ELNS1_3repE0EEENS1_30default_config_static_selectorELNS0_4arch9wavefront6targetE0EEEvSO_
	.p2align	8
	.type	_ZN7rocprim17ROCPRIM_400000_NS6detail17trampoline_kernelINS0_14default_configENS1_29binary_search_config_selectorIdbEEZNS1_14transform_implILb0ES3_S5_N6thrust23THRUST_200600_302600_NS17counting_iteratorIdNS8_11use_defaultESA_SA_EEPbZNS1_13binary_searchIS3_S5_PdSB_SC_NS1_16binary_search_opENS8_6detail16wrapped_functionINS0_4lessIvEEbEEEE10hipError_tPvRmT1_T2_T3_mmT4_T5_P12ihipStream_tbEUlRKdE_EESL_SP_SQ_mSR_SU_bEUlT_E_NS1_11comp_targetILNS1_3genE0ELNS1_11target_archE4294967295ELNS1_3gpuE0ELNS1_3repE0EEENS1_30default_config_static_selectorELNS0_4arch9wavefront6targetE0EEEvSO_,@function
_ZN7rocprim17ROCPRIM_400000_NS6detail17trampoline_kernelINS0_14default_configENS1_29binary_search_config_selectorIdbEEZNS1_14transform_implILb0ES3_S5_N6thrust23THRUST_200600_302600_NS17counting_iteratorIdNS8_11use_defaultESA_SA_EEPbZNS1_13binary_searchIS3_S5_PdSB_SC_NS1_16binary_search_opENS8_6detail16wrapped_functionINS0_4lessIvEEbEEEE10hipError_tPvRmT1_T2_T3_mmT4_T5_P12ihipStream_tbEUlRKdE_EESL_SP_SQ_mSR_SU_bEUlT_E_NS1_11comp_targetILNS1_3genE0ELNS1_11target_archE4294967295ELNS1_3gpuE0ELNS1_3repE0EEENS1_30default_config_static_selectorELNS0_4arch9wavefront6targetE0EEEvSO_: ; @_ZN7rocprim17ROCPRIM_400000_NS6detail17trampoline_kernelINS0_14default_configENS1_29binary_search_config_selectorIdbEEZNS1_14transform_implILb0ES3_S5_N6thrust23THRUST_200600_302600_NS17counting_iteratorIdNS8_11use_defaultESA_SA_EEPbZNS1_13binary_searchIS3_S5_PdSB_SC_NS1_16binary_search_opENS8_6detail16wrapped_functionINS0_4lessIvEEbEEEE10hipError_tPvRmT1_T2_T3_mmT4_T5_P12ihipStream_tbEUlRKdE_EESL_SP_SQ_mSR_SU_bEUlT_E_NS1_11comp_targetILNS1_3genE0ELNS1_11target_archE4294967295ELNS1_3gpuE0ELNS1_3repE0EEENS1_30default_config_static_selectorELNS0_4arch9wavefront6targetE0EEEvSO_
; %bb.0:
	.section	.rodata,"a",@progbits
	.p2align	6, 0x0
	.amdhsa_kernel _ZN7rocprim17ROCPRIM_400000_NS6detail17trampoline_kernelINS0_14default_configENS1_29binary_search_config_selectorIdbEEZNS1_14transform_implILb0ES3_S5_N6thrust23THRUST_200600_302600_NS17counting_iteratorIdNS8_11use_defaultESA_SA_EEPbZNS1_13binary_searchIS3_S5_PdSB_SC_NS1_16binary_search_opENS8_6detail16wrapped_functionINS0_4lessIvEEbEEEE10hipError_tPvRmT1_T2_T3_mmT4_T5_P12ihipStream_tbEUlRKdE_EESL_SP_SQ_mSR_SU_bEUlT_E_NS1_11comp_targetILNS1_3genE0ELNS1_11target_archE4294967295ELNS1_3gpuE0ELNS1_3repE0EEENS1_30default_config_static_selectorELNS0_4arch9wavefront6targetE0EEEvSO_
		.amdhsa_group_segment_fixed_size 0
		.amdhsa_private_segment_fixed_size 0
		.amdhsa_kernarg_size 56
		.amdhsa_user_sgpr_count 15
		.amdhsa_user_sgpr_dispatch_ptr 0
		.amdhsa_user_sgpr_queue_ptr 0
		.amdhsa_user_sgpr_kernarg_segment_ptr 1
		.amdhsa_user_sgpr_dispatch_id 0
		.amdhsa_user_sgpr_private_segment_size 0
		.amdhsa_wavefront_size32 1
		.amdhsa_uses_dynamic_stack 0
		.amdhsa_enable_private_segment 0
		.amdhsa_system_sgpr_workgroup_id_x 1
		.amdhsa_system_sgpr_workgroup_id_y 0
		.amdhsa_system_sgpr_workgroup_id_z 0
		.amdhsa_system_sgpr_workgroup_info 0
		.amdhsa_system_vgpr_workitem_id 0
		.amdhsa_next_free_vgpr 1
		.amdhsa_next_free_sgpr 1
		.amdhsa_reserve_vcc 0
		.amdhsa_float_round_mode_32 0
		.amdhsa_float_round_mode_16_64 0
		.amdhsa_float_denorm_mode_32 3
		.amdhsa_float_denorm_mode_16_64 3
		.amdhsa_dx10_clamp 1
		.amdhsa_ieee_mode 1
		.amdhsa_fp16_overflow 0
		.amdhsa_workgroup_processor_mode 1
		.amdhsa_memory_ordered 1
		.amdhsa_forward_progress 0
		.amdhsa_shared_vgpr_count 0
		.amdhsa_exception_fp_ieee_invalid_op 0
		.amdhsa_exception_fp_denorm_src 0
		.amdhsa_exception_fp_ieee_div_zero 0
		.amdhsa_exception_fp_ieee_overflow 0
		.amdhsa_exception_fp_ieee_underflow 0
		.amdhsa_exception_fp_ieee_inexact 0
		.amdhsa_exception_int_div_zero 0
	.end_amdhsa_kernel
	.section	.text._ZN7rocprim17ROCPRIM_400000_NS6detail17trampoline_kernelINS0_14default_configENS1_29binary_search_config_selectorIdbEEZNS1_14transform_implILb0ES3_S5_N6thrust23THRUST_200600_302600_NS17counting_iteratorIdNS8_11use_defaultESA_SA_EEPbZNS1_13binary_searchIS3_S5_PdSB_SC_NS1_16binary_search_opENS8_6detail16wrapped_functionINS0_4lessIvEEbEEEE10hipError_tPvRmT1_T2_T3_mmT4_T5_P12ihipStream_tbEUlRKdE_EESL_SP_SQ_mSR_SU_bEUlT_E_NS1_11comp_targetILNS1_3genE0ELNS1_11target_archE4294967295ELNS1_3gpuE0ELNS1_3repE0EEENS1_30default_config_static_selectorELNS0_4arch9wavefront6targetE0EEEvSO_,"axG",@progbits,_ZN7rocprim17ROCPRIM_400000_NS6detail17trampoline_kernelINS0_14default_configENS1_29binary_search_config_selectorIdbEEZNS1_14transform_implILb0ES3_S5_N6thrust23THRUST_200600_302600_NS17counting_iteratorIdNS8_11use_defaultESA_SA_EEPbZNS1_13binary_searchIS3_S5_PdSB_SC_NS1_16binary_search_opENS8_6detail16wrapped_functionINS0_4lessIvEEbEEEE10hipError_tPvRmT1_T2_T3_mmT4_T5_P12ihipStream_tbEUlRKdE_EESL_SP_SQ_mSR_SU_bEUlT_E_NS1_11comp_targetILNS1_3genE0ELNS1_11target_archE4294967295ELNS1_3gpuE0ELNS1_3repE0EEENS1_30default_config_static_selectorELNS0_4arch9wavefront6targetE0EEEvSO_,comdat
.Lfunc_end170:
	.size	_ZN7rocprim17ROCPRIM_400000_NS6detail17trampoline_kernelINS0_14default_configENS1_29binary_search_config_selectorIdbEEZNS1_14transform_implILb0ES3_S5_N6thrust23THRUST_200600_302600_NS17counting_iteratorIdNS8_11use_defaultESA_SA_EEPbZNS1_13binary_searchIS3_S5_PdSB_SC_NS1_16binary_search_opENS8_6detail16wrapped_functionINS0_4lessIvEEbEEEE10hipError_tPvRmT1_T2_T3_mmT4_T5_P12ihipStream_tbEUlRKdE_EESL_SP_SQ_mSR_SU_bEUlT_E_NS1_11comp_targetILNS1_3genE0ELNS1_11target_archE4294967295ELNS1_3gpuE0ELNS1_3repE0EEENS1_30default_config_static_selectorELNS0_4arch9wavefront6targetE0EEEvSO_, .Lfunc_end170-_ZN7rocprim17ROCPRIM_400000_NS6detail17trampoline_kernelINS0_14default_configENS1_29binary_search_config_selectorIdbEEZNS1_14transform_implILb0ES3_S5_N6thrust23THRUST_200600_302600_NS17counting_iteratorIdNS8_11use_defaultESA_SA_EEPbZNS1_13binary_searchIS3_S5_PdSB_SC_NS1_16binary_search_opENS8_6detail16wrapped_functionINS0_4lessIvEEbEEEE10hipError_tPvRmT1_T2_T3_mmT4_T5_P12ihipStream_tbEUlRKdE_EESL_SP_SQ_mSR_SU_bEUlT_E_NS1_11comp_targetILNS1_3genE0ELNS1_11target_archE4294967295ELNS1_3gpuE0ELNS1_3repE0EEENS1_30default_config_static_selectorELNS0_4arch9wavefront6targetE0EEEvSO_
                                        ; -- End function
	.section	.AMDGPU.csdata,"",@progbits
; Kernel info:
; codeLenInByte = 0
; NumSgprs: 0
; NumVgprs: 0
; ScratchSize: 0
; MemoryBound: 0
; FloatMode: 240
; IeeeMode: 1
; LDSByteSize: 0 bytes/workgroup (compile time only)
; SGPRBlocks: 0
; VGPRBlocks: 0
; NumSGPRsForWavesPerEU: 1
; NumVGPRsForWavesPerEU: 1
; Occupancy: 16
; WaveLimiterHint : 0
; COMPUTE_PGM_RSRC2:SCRATCH_EN: 0
; COMPUTE_PGM_RSRC2:USER_SGPR: 15
; COMPUTE_PGM_RSRC2:TRAP_HANDLER: 0
; COMPUTE_PGM_RSRC2:TGID_X_EN: 1
; COMPUTE_PGM_RSRC2:TGID_Y_EN: 0
; COMPUTE_PGM_RSRC2:TGID_Z_EN: 0
; COMPUTE_PGM_RSRC2:TIDIG_COMP_CNT: 0
	.section	.text._ZN7rocprim17ROCPRIM_400000_NS6detail17trampoline_kernelINS0_14default_configENS1_29binary_search_config_selectorIdbEEZNS1_14transform_implILb0ES3_S5_N6thrust23THRUST_200600_302600_NS17counting_iteratorIdNS8_11use_defaultESA_SA_EEPbZNS1_13binary_searchIS3_S5_PdSB_SC_NS1_16binary_search_opENS8_6detail16wrapped_functionINS0_4lessIvEEbEEEE10hipError_tPvRmT1_T2_T3_mmT4_T5_P12ihipStream_tbEUlRKdE_EESL_SP_SQ_mSR_SU_bEUlT_E_NS1_11comp_targetILNS1_3genE5ELNS1_11target_archE942ELNS1_3gpuE9ELNS1_3repE0EEENS1_30default_config_static_selectorELNS0_4arch9wavefront6targetE0EEEvSO_,"axG",@progbits,_ZN7rocprim17ROCPRIM_400000_NS6detail17trampoline_kernelINS0_14default_configENS1_29binary_search_config_selectorIdbEEZNS1_14transform_implILb0ES3_S5_N6thrust23THRUST_200600_302600_NS17counting_iteratorIdNS8_11use_defaultESA_SA_EEPbZNS1_13binary_searchIS3_S5_PdSB_SC_NS1_16binary_search_opENS8_6detail16wrapped_functionINS0_4lessIvEEbEEEE10hipError_tPvRmT1_T2_T3_mmT4_T5_P12ihipStream_tbEUlRKdE_EESL_SP_SQ_mSR_SU_bEUlT_E_NS1_11comp_targetILNS1_3genE5ELNS1_11target_archE942ELNS1_3gpuE9ELNS1_3repE0EEENS1_30default_config_static_selectorELNS0_4arch9wavefront6targetE0EEEvSO_,comdat
	.protected	_ZN7rocprim17ROCPRIM_400000_NS6detail17trampoline_kernelINS0_14default_configENS1_29binary_search_config_selectorIdbEEZNS1_14transform_implILb0ES3_S5_N6thrust23THRUST_200600_302600_NS17counting_iteratorIdNS8_11use_defaultESA_SA_EEPbZNS1_13binary_searchIS3_S5_PdSB_SC_NS1_16binary_search_opENS8_6detail16wrapped_functionINS0_4lessIvEEbEEEE10hipError_tPvRmT1_T2_T3_mmT4_T5_P12ihipStream_tbEUlRKdE_EESL_SP_SQ_mSR_SU_bEUlT_E_NS1_11comp_targetILNS1_3genE5ELNS1_11target_archE942ELNS1_3gpuE9ELNS1_3repE0EEENS1_30default_config_static_selectorELNS0_4arch9wavefront6targetE0EEEvSO_ ; -- Begin function _ZN7rocprim17ROCPRIM_400000_NS6detail17trampoline_kernelINS0_14default_configENS1_29binary_search_config_selectorIdbEEZNS1_14transform_implILb0ES3_S5_N6thrust23THRUST_200600_302600_NS17counting_iteratorIdNS8_11use_defaultESA_SA_EEPbZNS1_13binary_searchIS3_S5_PdSB_SC_NS1_16binary_search_opENS8_6detail16wrapped_functionINS0_4lessIvEEbEEEE10hipError_tPvRmT1_T2_T3_mmT4_T5_P12ihipStream_tbEUlRKdE_EESL_SP_SQ_mSR_SU_bEUlT_E_NS1_11comp_targetILNS1_3genE5ELNS1_11target_archE942ELNS1_3gpuE9ELNS1_3repE0EEENS1_30default_config_static_selectorELNS0_4arch9wavefront6targetE0EEEvSO_
	.globl	_ZN7rocprim17ROCPRIM_400000_NS6detail17trampoline_kernelINS0_14default_configENS1_29binary_search_config_selectorIdbEEZNS1_14transform_implILb0ES3_S5_N6thrust23THRUST_200600_302600_NS17counting_iteratorIdNS8_11use_defaultESA_SA_EEPbZNS1_13binary_searchIS3_S5_PdSB_SC_NS1_16binary_search_opENS8_6detail16wrapped_functionINS0_4lessIvEEbEEEE10hipError_tPvRmT1_T2_T3_mmT4_T5_P12ihipStream_tbEUlRKdE_EESL_SP_SQ_mSR_SU_bEUlT_E_NS1_11comp_targetILNS1_3genE5ELNS1_11target_archE942ELNS1_3gpuE9ELNS1_3repE0EEENS1_30default_config_static_selectorELNS0_4arch9wavefront6targetE0EEEvSO_
	.p2align	8
	.type	_ZN7rocprim17ROCPRIM_400000_NS6detail17trampoline_kernelINS0_14default_configENS1_29binary_search_config_selectorIdbEEZNS1_14transform_implILb0ES3_S5_N6thrust23THRUST_200600_302600_NS17counting_iteratorIdNS8_11use_defaultESA_SA_EEPbZNS1_13binary_searchIS3_S5_PdSB_SC_NS1_16binary_search_opENS8_6detail16wrapped_functionINS0_4lessIvEEbEEEE10hipError_tPvRmT1_T2_T3_mmT4_T5_P12ihipStream_tbEUlRKdE_EESL_SP_SQ_mSR_SU_bEUlT_E_NS1_11comp_targetILNS1_3genE5ELNS1_11target_archE942ELNS1_3gpuE9ELNS1_3repE0EEENS1_30default_config_static_selectorELNS0_4arch9wavefront6targetE0EEEvSO_,@function
_ZN7rocprim17ROCPRIM_400000_NS6detail17trampoline_kernelINS0_14default_configENS1_29binary_search_config_selectorIdbEEZNS1_14transform_implILb0ES3_S5_N6thrust23THRUST_200600_302600_NS17counting_iteratorIdNS8_11use_defaultESA_SA_EEPbZNS1_13binary_searchIS3_S5_PdSB_SC_NS1_16binary_search_opENS8_6detail16wrapped_functionINS0_4lessIvEEbEEEE10hipError_tPvRmT1_T2_T3_mmT4_T5_P12ihipStream_tbEUlRKdE_EESL_SP_SQ_mSR_SU_bEUlT_E_NS1_11comp_targetILNS1_3genE5ELNS1_11target_archE942ELNS1_3gpuE9ELNS1_3repE0EEENS1_30default_config_static_selectorELNS0_4arch9wavefront6targetE0EEEvSO_: ; @_ZN7rocprim17ROCPRIM_400000_NS6detail17trampoline_kernelINS0_14default_configENS1_29binary_search_config_selectorIdbEEZNS1_14transform_implILb0ES3_S5_N6thrust23THRUST_200600_302600_NS17counting_iteratorIdNS8_11use_defaultESA_SA_EEPbZNS1_13binary_searchIS3_S5_PdSB_SC_NS1_16binary_search_opENS8_6detail16wrapped_functionINS0_4lessIvEEbEEEE10hipError_tPvRmT1_T2_T3_mmT4_T5_P12ihipStream_tbEUlRKdE_EESL_SP_SQ_mSR_SU_bEUlT_E_NS1_11comp_targetILNS1_3genE5ELNS1_11target_archE942ELNS1_3gpuE9ELNS1_3repE0EEENS1_30default_config_static_selectorELNS0_4arch9wavefront6targetE0EEEvSO_
; %bb.0:
	.section	.rodata,"a",@progbits
	.p2align	6, 0x0
	.amdhsa_kernel _ZN7rocprim17ROCPRIM_400000_NS6detail17trampoline_kernelINS0_14default_configENS1_29binary_search_config_selectorIdbEEZNS1_14transform_implILb0ES3_S5_N6thrust23THRUST_200600_302600_NS17counting_iteratorIdNS8_11use_defaultESA_SA_EEPbZNS1_13binary_searchIS3_S5_PdSB_SC_NS1_16binary_search_opENS8_6detail16wrapped_functionINS0_4lessIvEEbEEEE10hipError_tPvRmT1_T2_T3_mmT4_T5_P12ihipStream_tbEUlRKdE_EESL_SP_SQ_mSR_SU_bEUlT_E_NS1_11comp_targetILNS1_3genE5ELNS1_11target_archE942ELNS1_3gpuE9ELNS1_3repE0EEENS1_30default_config_static_selectorELNS0_4arch9wavefront6targetE0EEEvSO_
		.amdhsa_group_segment_fixed_size 0
		.amdhsa_private_segment_fixed_size 0
		.amdhsa_kernarg_size 56
		.amdhsa_user_sgpr_count 15
		.amdhsa_user_sgpr_dispatch_ptr 0
		.amdhsa_user_sgpr_queue_ptr 0
		.amdhsa_user_sgpr_kernarg_segment_ptr 1
		.amdhsa_user_sgpr_dispatch_id 0
		.amdhsa_user_sgpr_private_segment_size 0
		.amdhsa_wavefront_size32 1
		.amdhsa_uses_dynamic_stack 0
		.amdhsa_enable_private_segment 0
		.amdhsa_system_sgpr_workgroup_id_x 1
		.amdhsa_system_sgpr_workgroup_id_y 0
		.amdhsa_system_sgpr_workgroup_id_z 0
		.amdhsa_system_sgpr_workgroup_info 0
		.amdhsa_system_vgpr_workitem_id 0
		.amdhsa_next_free_vgpr 1
		.amdhsa_next_free_sgpr 1
		.amdhsa_reserve_vcc 0
		.amdhsa_float_round_mode_32 0
		.amdhsa_float_round_mode_16_64 0
		.amdhsa_float_denorm_mode_32 3
		.amdhsa_float_denorm_mode_16_64 3
		.amdhsa_dx10_clamp 1
		.amdhsa_ieee_mode 1
		.amdhsa_fp16_overflow 0
		.amdhsa_workgroup_processor_mode 1
		.amdhsa_memory_ordered 1
		.amdhsa_forward_progress 0
		.amdhsa_shared_vgpr_count 0
		.amdhsa_exception_fp_ieee_invalid_op 0
		.amdhsa_exception_fp_denorm_src 0
		.amdhsa_exception_fp_ieee_div_zero 0
		.amdhsa_exception_fp_ieee_overflow 0
		.amdhsa_exception_fp_ieee_underflow 0
		.amdhsa_exception_fp_ieee_inexact 0
		.amdhsa_exception_int_div_zero 0
	.end_amdhsa_kernel
	.section	.text._ZN7rocprim17ROCPRIM_400000_NS6detail17trampoline_kernelINS0_14default_configENS1_29binary_search_config_selectorIdbEEZNS1_14transform_implILb0ES3_S5_N6thrust23THRUST_200600_302600_NS17counting_iteratorIdNS8_11use_defaultESA_SA_EEPbZNS1_13binary_searchIS3_S5_PdSB_SC_NS1_16binary_search_opENS8_6detail16wrapped_functionINS0_4lessIvEEbEEEE10hipError_tPvRmT1_T2_T3_mmT4_T5_P12ihipStream_tbEUlRKdE_EESL_SP_SQ_mSR_SU_bEUlT_E_NS1_11comp_targetILNS1_3genE5ELNS1_11target_archE942ELNS1_3gpuE9ELNS1_3repE0EEENS1_30default_config_static_selectorELNS0_4arch9wavefront6targetE0EEEvSO_,"axG",@progbits,_ZN7rocprim17ROCPRIM_400000_NS6detail17trampoline_kernelINS0_14default_configENS1_29binary_search_config_selectorIdbEEZNS1_14transform_implILb0ES3_S5_N6thrust23THRUST_200600_302600_NS17counting_iteratorIdNS8_11use_defaultESA_SA_EEPbZNS1_13binary_searchIS3_S5_PdSB_SC_NS1_16binary_search_opENS8_6detail16wrapped_functionINS0_4lessIvEEbEEEE10hipError_tPvRmT1_T2_T3_mmT4_T5_P12ihipStream_tbEUlRKdE_EESL_SP_SQ_mSR_SU_bEUlT_E_NS1_11comp_targetILNS1_3genE5ELNS1_11target_archE942ELNS1_3gpuE9ELNS1_3repE0EEENS1_30default_config_static_selectorELNS0_4arch9wavefront6targetE0EEEvSO_,comdat
.Lfunc_end171:
	.size	_ZN7rocprim17ROCPRIM_400000_NS6detail17trampoline_kernelINS0_14default_configENS1_29binary_search_config_selectorIdbEEZNS1_14transform_implILb0ES3_S5_N6thrust23THRUST_200600_302600_NS17counting_iteratorIdNS8_11use_defaultESA_SA_EEPbZNS1_13binary_searchIS3_S5_PdSB_SC_NS1_16binary_search_opENS8_6detail16wrapped_functionINS0_4lessIvEEbEEEE10hipError_tPvRmT1_T2_T3_mmT4_T5_P12ihipStream_tbEUlRKdE_EESL_SP_SQ_mSR_SU_bEUlT_E_NS1_11comp_targetILNS1_3genE5ELNS1_11target_archE942ELNS1_3gpuE9ELNS1_3repE0EEENS1_30default_config_static_selectorELNS0_4arch9wavefront6targetE0EEEvSO_, .Lfunc_end171-_ZN7rocprim17ROCPRIM_400000_NS6detail17trampoline_kernelINS0_14default_configENS1_29binary_search_config_selectorIdbEEZNS1_14transform_implILb0ES3_S5_N6thrust23THRUST_200600_302600_NS17counting_iteratorIdNS8_11use_defaultESA_SA_EEPbZNS1_13binary_searchIS3_S5_PdSB_SC_NS1_16binary_search_opENS8_6detail16wrapped_functionINS0_4lessIvEEbEEEE10hipError_tPvRmT1_T2_T3_mmT4_T5_P12ihipStream_tbEUlRKdE_EESL_SP_SQ_mSR_SU_bEUlT_E_NS1_11comp_targetILNS1_3genE5ELNS1_11target_archE942ELNS1_3gpuE9ELNS1_3repE0EEENS1_30default_config_static_selectorELNS0_4arch9wavefront6targetE0EEEvSO_
                                        ; -- End function
	.section	.AMDGPU.csdata,"",@progbits
; Kernel info:
; codeLenInByte = 0
; NumSgprs: 0
; NumVgprs: 0
; ScratchSize: 0
; MemoryBound: 0
; FloatMode: 240
; IeeeMode: 1
; LDSByteSize: 0 bytes/workgroup (compile time only)
; SGPRBlocks: 0
; VGPRBlocks: 0
; NumSGPRsForWavesPerEU: 1
; NumVGPRsForWavesPerEU: 1
; Occupancy: 16
; WaveLimiterHint : 0
; COMPUTE_PGM_RSRC2:SCRATCH_EN: 0
; COMPUTE_PGM_RSRC2:USER_SGPR: 15
; COMPUTE_PGM_RSRC2:TRAP_HANDLER: 0
; COMPUTE_PGM_RSRC2:TGID_X_EN: 1
; COMPUTE_PGM_RSRC2:TGID_Y_EN: 0
; COMPUTE_PGM_RSRC2:TGID_Z_EN: 0
; COMPUTE_PGM_RSRC2:TIDIG_COMP_CNT: 0
	.section	.text._ZN7rocprim17ROCPRIM_400000_NS6detail17trampoline_kernelINS0_14default_configENS1_29binary_search_config_selectorIdbEEZNS1_14transform_implILb0ES3_S5_N6thrust23THRUST_200600_302600_NS17counting_iteratorIdNS8_11use_defaultESA_SA_EEPbZNS1_13binary_searchIS3_S5_PdSB_SC_NS1_16binary_search_opENS8_6detail16wrapped_functionINS0_4lessIvEEbEEEE10hipError_tPvRmT1_T2_T3_mmT4_T5_P12ihipStream_tbEUlRKdE_EESL_SP_SQ_mSR_SU_bEUlT_E_NS1_11comp_targetILNS1_3genE4ELNS1_11target_archE910ELNS1_3gpuE8ELNS1_3repE0EEENS1_30default_config_static_selectorELNS0_4arch9wavefront6targetE0EEEvSO_,"axG",@progbits,_ZN7rocprim17ROCPRIM_400000_NS6detail17trampoline_kernelINS0_14default_configENS1_29binary_search_config_selectorIdbEEZNS1_14transform_implILb0ES3_S5_N6thrust23THRUST_200600_302600_NS17counting_iteratorIdNS8_11use_defaultESA_SA_EEPbZNS1_13binary_searchIS3_S5_PdSB_SC_NS1_16binary_search_opENS8_6detail16wrapped_functionINS0_4lessIvEEbEEEE10hipError_tPvRmT1_T2_T3_mmT4_T5_P12ihipStream_tbEUlRKdE_EESL_SP_SQ_mSR_SU_bEUlT_E_NS1_11comp_targetILNS1_3genE4ELNS1_11target_archE910ELNS1_3gpuE8ELNS1_3repE0EEENS1_30default_config_static_selectorELNS0_4arch9wavefront6targetE0EEEvSO_,comdat
	.protected	_ZN7rocprim17ROCPRIM_400000_NS6detail17trampoline_kernelINS0_14default_configENS1_29binary_search_config_selectorIdbEEZNS1_14transform_implILb0ES3_S5_N6thrust23THRUST_200600_302600_NS17counting_iteratorIdNS8_11use_defaultESA_SA_EEPbZNS1_13binary_searchIS3_S5_PdSB_SC_NS1_16binary_search_opENS8_6detail16wrapped_functionINS0_4lessIvEEbEEEE10hipError_tPvRmT1_T2_T3_mmT4_T5_P12ihipStream_tbEUlRKdE_EESL_SP_SQ_mSR_SU_bEUlT_E_NS1_11comp_targetILNS1_3genE4ELNS1_11target_archE910ELNS1_3gpuE8ELNS1_3repE0EEENS1_30default_config_static_selectorELNS0_4arch9wavefront6targetE0EEEvSO_ ; -- Begin function _ZN7rocprim17ROCPRIM_400000_NS6detail17trampoline_kernelINS0_14default_configENS1_29binary_search_config_selectorIdbEEZNS1_14transform_implILb0ES3_S5_N6thrust23THRUST_200600_302600_NS17counting_iteratorIdNS8_11use_defaultESA_SA_EEPbZNS1_13binary_searchIS3_S5_PdSB_SC_NS1_16binary_search_opENS8_6detail16wrapped_functionINS0_4lessIvEEbEEEE10hipError_tPvRmT1_T2_T3_mmT4_T5_P12ihipStream_tbEUlRKdE_EESL_SP_SQ_mSR_SU_bEUlT_E_NS1_11comp_targetILNS1_3genE4ELNS1_11target_archE910ELNS1_3gpuE8ELNS1_3repE0EEENS1_30default_config_static_selectorELNS0_4arch9wavefront6targetE0EEEvSO_
	.globl	_ZN7rocprim17ROCPRIM_400000_NS6detail17trampoline_kernelINS0_14default_configENS1_29binary_search_config_selectorIdbEEZNS1_14transform_implILb0ES3_S5_N6thrust23THRUST_200600_302600_NS17counting_iteratorIdNS8_11use_defaultESA_SA_EEPbZNS1_13binary_searchIS3_S5_PdSB_SC_NS1_16binary_search_opENS8_6detail16wrapped_functionINS0_4lessIvEEbEEEE10hipError_tPvRmT1_T2_T3_mmT4_T5_P12ihipStream_tbEUlRKdE_EESL_SP_SQ_mSR_SU_bEUlT_E_NS1_11comp_targetILNS1_3genE4ELNS1_11target_archE910ELNS1_3gpuE8ELNS1_3repE0EEENS1_30default_config_static_selectorELNS0_4arch9wavefront6targetE0EEEvSO_
	.p2align	8
	.type	_ZN7rocprim17ROCPRIM_400000_NS6detail17trampoline_kernelINS0_14default_configENS1_29binary_search_config_selectorIdbEEZNS1_14transform_implILb0ES3_S5_N6thrust23THRUST_200600_302600_NS17counting_iteratorIdNS8_11use_defaultESA_SA_EEPbZNS1_13binary_searchIS3_S5_PdSB_SC_NS1_16binary_search_opENS8_6detail16wrapped_functionINS0_4lessIvEEbEEEE10hipError_tPvRmT1_T2_T3_mmT4_T5_P12ihipStream_tbEUlRKdE_EESL_SP_SQ_mSR_SU_bEUlT_E_NS1_11comp_targetILNS1_3genE4ELNS1_11target_archE910ELNS1_3gpuE8ELNS1_3repE0EEENS1_30default_config_static_selectorELNS0_4arch9wavefront6targetE0EEEvSO_,@function
_ZN7rocprim17ROCPRIM_400000_NS6detail17trampoline_kernelINS0_14default_configENS1_29binary_search_config_selectorIdbEEZNS1_14transform_implILb0ES3_S5_N6thrust23THRUST_200600_302600_NS17counting_iteratorIdNS8_11use_defaultESA_SA_EEPbZNS1_13binary_searchIS3_S5_PdSB_SC_NS1_16binary_search_opENS8_6detail16wrapped_functionINS0_4lessIvEEbEEEE10hipError_tPvRmT1_T2_T3_mmT4_T5_P12ihipStream_tbEUlRKdE_EESL_SP_SQ_mSR_SU_bEUlT_E_NS1_11comp_targetILNS1_3genE4ELNS1_11target_archE910ELNS1_3gpuE8ELNS1_3repE0EEENS1_30default_config_static_selectorELNS0_4arch9wavefront6targetE0EEEvSO_: ; @_ZN7rocprim17ROCPRIM_400000_NS6detail17trampoline_kernelINS0_14default_configENS1_29binary_search_config_selectorIdbEEZNS1_14transform_implILb0ES3_S5_N6thrust23THRUST_200600_302600_NS17counting_iteratorIdNS8_11use_defaultESA_SA_EEPbZNS1_13binary_searchIS3_S5_PdSB_SC_NS1_16binary_search_opENS8_6detail16wrapped_functionINS0_4lessIvEEbEEEE10hipError_tPvRmT1_T2_T3_mmT4_T5_P12ihipStream_tbEUlRKdE_EESL_SP_SQ_mSR_SU_bEUlT_E_NS1_11comp_targetILNS1_3genE4ELNS1_11target_archE910ELNS1_3gpuE8ELNS1_3repE0EEENS1_30default_config_static_selectorELNS0_4arch9wavefront6targetE0EEEvSO_
; %bb.0:
	.section	.rodata,"a",@progbits
	.p2align	6, 0x0
	.amdhsa_kernel _ZN7rocprim17ROCPRIM_400000_NS6detail17trampoline_kernelINS0_14default_configENS1_29binary_search_config_selectorIdbEEZNS1_14transform_implILb0ES3_S5_N6thrust23THRUST_200600_302600_NS17counting_iteratorIdNS8_11use_defaultESA_SA_EEPbZNS1_13binary_searchIS3_S5_PdSB_SC_NS1_16binary_search_opENS8_6detail16wrapped_functionINS0_4lessIvEEbEEEE10hipError_tPvRmT1_T2_T3_mmT4_T5_P12ihipStream_tbEUlRKdE_EESL_SP_SQ_mSR_SU_bEUlT_E_NS1_11comp_targetILNS1_3genE4ELNS1_11target_archE910ELNS1_3gpuE8ELNS1_3repE0EEENS1_30default_config_static_selectorELNS0_4arch9wavefront6targetE0EEEvSO_
		.amdhsa_group_segment_fixed_size 0
		.amdhsa_private_segment_fixed_size 0
		.amdhsa_kernarg_size 56
		.amdhsa_user_sgpr_count 15
		.amdhsa_user_sgpr_dispatch_ptr 0
		.amdhsa_user_sgpr_queue_ptr 0
		.amdhsa_user_sgpr_kernarg_segment_ptr 1
		.amdhsa_user_sgpr_dispatch_id 0
		.amdhsa_user_sgpr_private_segment_size 0
		.amdhsa_wavefront_size32 1
		.amdhsa_uses_dynamic_stack 0
		.amdhsa_enable_private_segment 0
		.amdhsa_system_sgpr_workgroup_id_x 1
		.amdhsa_system_sgpr_workgroup_id_y 0
		.amdhsa_system_sgpr_workgroup_id_z 0
		.amdhsa_system_sgpr_workgroup_info 0
		.amdhsa_system_vgpr_workitem_id 0
		.amdhsa_next_free_vgpr 1
		.amdhsa_next_free_sgpr 1
		.amdhsa_reserve_vcc 0
		.amdhsa_float_round_mode_32 0
		.amdhsa_float_round_mode_16_64 0
		.amdhsa_float_denorm_mode_32 3
		.amdhsa_float_denorm_mode_16_64 3
		.amdhsa_dx10_clamp 1
		.amdhsa_ieee_mode 1
		.amdhsa_fp16_overflow 0
		.amdhsa_workgroup_processor_mode 1
		.amdhsa_memory_ordered 1
		.amdhsa_forward_progress 0
		.amdhsa_shared_vgpr_count 0
		.amdhsa_exception_fp_ieee_invalid_op 0
		.amdhsa_exception_fp_denorm_src 0
		.amdhsa_exception_fp_ieee_div_zero 0
		.amdhsa_exception_fp_ieee_overflow 0
		.amdhsa_exception_fp_ieee_underflow 0
		.amdhsa_exception_fp_ieee_inexact 0
		.amdhsa_exception_int_div_zero 0
	.end_amdhsa_kernel
	.section	.text._ZN7rocprim17ROCPRIM_400000_NS6detail17trampoline_kernelINS0_14default_configENS1_29binary_search_config_selectorIdbEEZNS1_14transform_implILb0ES3_S5_N6thrust23THRUST_200600_302600_NS17counting_iteratorIdNS8_11use_defaultESA_SA_EEPbZNS1_13binary_searchIS3_S5_PdSB_SC_NS1_16binary_search_opENS8_6detail16wrapped_functionINS0_4lessIvEEbEEEE10hipError_tPvRmT1_T2_T3_mmT4_T5_P12ihipStream_tbEUlRKdE_EESL_SP_SQ_mSR_SU_bEUlT_E_NS1_11comp_targetILNS1_3genE4ELNS1_11target_archE910ELNS1_3gpuE8ELNS1_3repE0EEENS1_30default_config_static_selectorELNS0_4arch9wavefront6targetE0EEEvSO_,"axG",@progbits,_ZN7rocprim17ROCPRIM_400000_NS6detail17trampoline_kernelINS0_14default_configENS1_29binary_search_config_selectorIdbEEZNS1_14transform_implILb0ES3_S5_N6thrust23THRUST_200600_302600_NS17counting_iteratorIdNS8_11use_defaultESA_SA_EEPbZNS1_13binary_searchIS3_S5_PdSB_SC_NS1_16binary_search_opENS8_6detail16wrapped_functionINS0_4lessIvEEbEEEE10hipError_tPvRmT1_T2_T3_mmT4_T5_P12ihipStream_tbEUlRKdE_EESL_SP_SQ_mSR_SU_bEUlT_E_NS1_11comp_targetILNS1_3genE4ELNS1_11target_archE910ELNS1_3gpuE8ELNS1_3repE0EEENS1_30default_config_static_selectorELNS0_4arch9wavefront6targetE0EEEvSO_,comdat
.Lfunc_end172:
	.size	_ZN7rocprim17ROCPRIM_400000_NS6detail17trampoline_kernelINS0_14default_configENS1_29binary_search_config_selectorIdbEEZNS1_14transform_implILb0ES3_S5_N6thrust23THRUST_200600_302600_NS17counting_iteratorIdNS8_11use_defaultESA_SA_EEPbZNS1_13binary_searchIS3_S5_PdSB_SC_NS1_16binary_search_opENS8_6detail16wrapped_functionINS0_4lessIvEEbEEEE10hipError_tPvRmT1_T2_T3_mmT4_T5_P12ihipStream_tbEUlRKdE_EESL_SP_SQ_mSR_SU_bEUlT_E_NS1_11comp_targetILNS1_3genE4ELNS1_11target_archE910ELNS1_3gpuE8ELNS1_3repE0EEENS1_30default_config_static_selectorELNS0_4arch9wavefront6targetE0EEEvSO_, .Lfunc_end172-_ZN7rocprim17ROCPRIM_400000_NS6detail17trampoline_kernelINS0_14default_configENS1_29binary_search_config_selectorIdbEEZNS1_14transform_implILb0ES3_S5_N6thrust23THRUST_200600_302600_NS17counting_iteratorIdNS8_11use_defaultESA_SA_EEPbZNS1_13binary_searchIS3_S5_PdSB_SC_NS1_16binary_search_opENS8_6detail16wrapped_functionINS0_4lessIvEEbEEEE10hipError_tPvRmT1_T2_T3_mmT4_T5_P12ihipStream_tbEUlRKdE_EESL_SP_SQ_mSR_SU_bEUlT_E_NS1_11comp_targetILNS1_3genE4ELNS1_11target_archE910ELNS1_3gpuE8ELNS1_3repE0EEENS1_30default_config_static_selectorELNS0_4arch9wavefront6targetE0EEEvSO_
                                        ; -- End function
	.section	.AMDGPU.csdata,"",@progbits
; Kernel info:
; codeLenInByte = 0
; NumSgprs: 0
; NumVgprs: 0
; ScratchSize: 0
; MemoryBound: 0
; FloatMode: 240
; IeeeMode: 1
; LDSByteSize: 0 bytes/workgroup (compile time only)
; SGPRBlocks: 0
; VGPRBlocks: 0
; NumSGPRsForWavesPerEU: 1
; NumVGPRsForWavesPerEU: 1
; Occupancy: 16
; WaveLimiterHint : 0
; COMPUTE_PGM_RSRC2:SCRATCH_EN: 0
; COMPUTE_PGM_RSRC2:USER_SGPR: 15
; COMPUTE_PGM_RSRC2:TRAP_HANDLER: 0
; COMPUTE_PGM_RSRC2:TGID_X_EN: 1
; COMPUTE_PGM_RSRC2:TGID_Y_EN: 0
; COMPUTE_PGM_RSRC2:TGID_Z_EN: 0
; COMPUTE_PGM_RSRC2:TIDIG_COMP_CNT: 0
	.section	.text._ZN7rocprim17ROCPRIM_400000_NS6detail17trampoline_kernelINS0_14default_configENS1_29binary_search_config_selectorIdbEEZNS1_14transform_implILb0ES3_S5_N6thrust23THRUST_200600_302600_NS17counting_iteratorIdNS8_11use_defaultESA_SA_EEPbZNS1_13binary_searchIS3_S5_PdSB_SC_NS1_16binary_search_opENS8_6detail16wrapped_functionINS0_4lessIvEEbEEEE10hipError_tPvRmT1_T2_T3_mmT4_T5_P12ihipStream_tbEUlRKdE_EESL_SP_SQ_mSR_SU_bEUlT_E_NS1_11comp_targetILNS1_3genE3ELNS1_11target_archE908ELNS1_3gpuE7ELNS1_3repE0EEENS1_30default_config_static_selectorELNS0_4arch9wavefront6targetE0EEEvSO_,"axG",@progbits,_ZN7rocprim17ROCPRIM_400000_NS6detail17trampoline_kernelINS0_14default_configENS1_29binary_search_config_selectorIdbEEZNS1_14transform_implILb0ES3_S5_N6thrust23THRUST_200600_302600_NS17counting_iteratorIdNS8_11use_defaultESA_SA_EEPbZNS1_13binary_searchIS3_S5_PdSB_SC_NS1_16binary_search_opENS8_6detail16wrapped_functionINS0_4lessIvEEbEEEE10hipError_tPvRmT1_T2_T3_mmT4_T5_P12ihipStream_tbEUlRKdE_EESL_SP_SQ_mSR_SU_bEUlT_E_NS1_11comp_targetILNS1_3genE3ELNS1_11target_archE908ELNS1_3gpuE7ELNS1_3repE0EEENS1_30default_config_static_selectorELNS0_4arch9wavefront6targetE0EEEvSO_,comdat
	.protected	_ZN7rocprim17ROCPRIM_400000_NS6detail17trampoline_kernelINS0_14default_configENS1_29binary_search_config_selectorIdbEEZNS1_14transform_implILb0ES3_S5_N6thrust23THRUST_200600_302600_NS17counting_iteratorIdNS8_11use_defaultESA_SA_EEPbZNS1_13binary_searchIS3_S5_PdSB_SC_NS1_16binary_search_opENS8_6detail16wrapped_functionINS0_4lessIvEEbEEEE10hipError_tPvRmT1_T2_T3_mmT4_T5_P12ihipStream_tbEUlRKdE_EESL_SP_SQ_mSR_SU_bEUlT_E_NS1_11comp_targetILNS1_3genE3ELNS1_11target_archE908ELNS1_3gpuE7ELNS1_3repE0EEENS1_30default_config_static_selectorELNS0_4arch9wavefront6targetE0EEEvSO_ ; -- Begin function _ZN7rocprim17ROCPRIM_400000_NS6detail17trampoline_kernelINS0_14default_configENS1_29binary_search_config_selectorIdbEEZNS1_14transform_implILb0ES3_S5_N6thrust23THRUST_200600_302600_NS17counting_iteratorIdNS8_11use_defaultESA_SA_EEPbZNS1_13binary_searchIS3_S5_PdSB_SC_NS1_16binary_search_opENS8_6detail16wrapped_functionINS0_4lessIvEEbEEEE10hipError_tPvRmT1_T2_T3_mmT4_T5_P12ihipStream_tbEUlRKdE_EESL_SP_SQ_mSR_SU_bEUlT_E_NS1_11comp_targetILNS1_3genE3ELNS1_11target_archE908ELNS1_3gpuE7ELNS1_3repE0EEENS1_30default_config_static_selectorELNS0_4arch9wavefront6targetE0EEEvSO_
	.globl	_ZN7rocprim17ROCPRIM_400000_NS6detail17trampoline_kernelINS0_14default_configENS1_29binary_search_config_selectorIdbEEZNS1_14transform_implILb0ES3_S5_N6thrust23THRUST_200600_302600_NS17counting_iteratorIdNS8_11use_defaultESA_SA_EEPbZNS1_13binary_searchIS3_S5_PdSB_SC_NS1_16binary_search_opENS8_6detail16wrapped_functionINS0_4lessIvEEbEEEE10hipError_tPvRmT1_T2_T3_mmT4_T5_P12ihipStream_tbEUlRKdE_EESL_SP_SQ_mSR_SU_bEUlT_E_NS1_11comp_targetILNS1_3genE3ELNS1_11target_archE908ELNS1_3gpuE7ELNS1_3repE0EEENS1_30default_config_static_selectorELNS0_4arch9wavefront6targetE0EEEvSO_
	.p2align	8
	.type	_ZN7rocprim17ROCPRIM_400000_NS6detail17trampoline_kernelINS0_14default_configENS1_29binary_search_config_selectorIdbEEZNS1_14transform_implILb0ES3_S5_N6thrust23THRUST_200600_302600_NS17counting_iteratorIdNS8_11use_defaultESA_SA_EEPbZNS1_13binary_searchIS3_S5_PdSB_SC_NS1_16binary_search_opENS8_6detail16wrapped_functionINS0_4lessIvEEbEEEE10hipError_tPvRmT1_T2_T3_mmT4_T5_P12ihipStream_tbEUlRKdE_EESL_SP_SQ_mSR_SU_bEUlT_E_NS1_11comp_targetILNS1_3genE3ELNS1_11target_archE908ELNS1_3gpuE7ELNS1_3repE0EEENS1_30default_config_static_selectorELNS0_4arch9wavefront6targetE0EEEvSO_,@function
_ZN7rocprim17ROCPRIM_400000_NS6detail17trampoline_kernelINS0_14default_configENS1_29binary_search_config_selectorIdbEEZNS1_14transform_implILb0ES3_S5_N6thrust23THRUST_200600_302600_NS17counting_iteratorIdNS8_11use_defaultESA_SA_EEPbZNS1_13binary_searchIS3_S5_PdSB_SC_NS1_16binary_search_opENS8_6detail16wrapped_functionINS0_4lessIvEEbEEEE10hipError_tPvRmT1_T2_T3_mmT4_T5_P12ihipStream_tbEUlRKdE_EESL_SP_SQ_mSR_SU_bEUlT_E_NS1_11comp_targetILNS1_3genE3ELNS1_11target_archE908ELNS1_3gpuE7ELNS1_3repE0EEENS1_30default_config_static_selectorELNS0_4arch9wavefront6targetE0EEEvSO_: ; @_ZN7rocprim17ROCPRIM_400000_NS6detail17trampoline_kernelINS0_14default_configENS1_29binary_search_config_selectorIdbEEZNS1_14transform_implILb0ES3_S5_N6thrust23THRUST_200600_302600_NS17counting_iteratorIdNS8_11use_defaultESA_SA_EEPbZNS1_13binary_searchIS3_S5_PdSB_SC_NS1_16binary_search_opENS8_6detail16wrapped_functionINS0_4lessIvEEbEEEE10hipError_tPvRmT1_T2_T3_mmT4_T5_P12ihipStream_tbEUlRKdE_EESL_SP_SQ_mSR_SU_bEUlT_E_NS1_11comp_targetILNS1_3genE3ELNS1_11target_archE908ELNS1_3gpuE7ELNS1_3repE0EEENS1_30default_config_static_selectorELNS0_4arch9wavefront6targetE0EEEvSO_
; %bb.0:
	.section	.rodata,"a",@progbits
	.p2align	6, 0x0
	.amdhsa_kernel _ZN7rocprim17ROCPRIM_400000_NS6detail17trampoline_kernelINS0_14default_configENS1_29binary_search_config_selectorIdbEEZNS1_14transform_implILb0ES3_S5_N6thrust23THRUST_200600_302600_NS17counting_iteratorIdNS8_11use_defaultESA_SA_EEPbZNS1_13binary_searchIS3_S5_PdSB_SC_NS1_16binary_search_opENS8_6detail16wrapped_functionINS0_4lessIvEEbEEEE10hipError_tPvRmT1_T2_T3_mmT4_T5_P12ihipStream_tbEUlRKdE_EESL_SP_SQ_mSR_SU_bEUlT_E_NS1_11comp_targetILNS1_3genE3ELNS1_11target_archE908ELNS1_3gpuE7ELNS1_3repE0EEENS1_30default_config_static_selectorELNS0_4arch9wavefront6targetE0EEEvSO_
		.amdhsa_group_segment_fixed_size 0
		.amdhsa_private_segment_fixed_size 0
		.amdhsa_kernarg_size 56
		.amdhsa_user_sgpr_count 15
		.amdhsa_user_sgpr_dispatch_ptr 0
		.amdhsa_user_sgpr_queue_ptr 0
		.amdhsa_user_sgpr_kernarg_segment_ptr 1
		.amdhsa_user_sgpr_dispatch_id 0
		.amdhsa_user_sgpr_private_segment_size 0
		.amdhsa_wavefront_size32 1
		.amdhsa_uses_dynamic_stack 0
		.amdhsa_enable_private_segment 0
		.amdhsa_system_sgpr_workgroup_id_x 1
		.amdhsa_system_sgpr_workgroup_id_y 0
		.amdhsa_system_sgpr_workgroup_id_z 0
		.amdhsa_system_sgpr_workgroup_info 0
		.amdhsa_system_vgpr_workitem_id 0
		.amdhsa_next_free_vgpr 1
		.amdhsa_next_free_sgpr 1
		.amdhsa_reserve_vcc 0
		.amdhsa_float_round_mode_32 0
		.amdhsa_float_round_mode_16_64 0
		.amdhsa_float_denorm_mode_32 3
		.amdhsa_float_denorm_mode_16_64 3
		.amdhsa_dx10_clamp 1
		.amdhsa_ieee_mode 1
		.amdhsa_fp16_overflow 0
		.amdhsa_workgroup_processor_mode 1
		.amdhsa_memory_ordered 1
		.amdhsa_forward_progress 0
		.amdhsa_shared_vgpr_count 0
		.amdhsa_exception_fp_ieee_invalid_op 0
		.amdhsa_exception_fp_denorm_src 0
		.amdhsa_exception_fp_ieee_div_zero 0
		.amdhsa_exception_fp_ieee_overflow 0
		.amdhsa_exception_fp_ieee_underflow 0
		.amdhsa_exception_fp_ieee_inexact 0
		.amdhsa_exception_int_div_zero 0
	.end_amdhsa_kernel
	.section	.text._ZN7rocprim17ROCPRIM_400000_NS6detail17trampoline_kernelINS0_14default_configENS1_29binary_search_config_selectorIdbEEZNS1_14transform_implILb0ES3_S5_N6thrust23THRUST_200600_302600_NS17counting_iteratorIdNS8_11use_defaultESA_SA_EEPbZNS1_13binary_searchIS3_S5_PdSB_SC_NS1_16binary_search_opENS8_6detail16wrapped_functionINS0_4lessIvEEbEEEE10hipError_tPvRmT1_T2_T3_mmT4_T5_P12ihipStream_tbEUlRKdE_EESL_SP_SQ_mSR_SU_bEUlT_E_NS1_11comp_targetILNS1_3genE3ELNS1_11target_archE908ELNS1_3gpuE7ELNS1_3repE0EEENS1_30default_config_static_selectorELNS0_4arch9wavefront6targetE0EEEvSO_,"axG",@progbits,_ZN7rocprim17ROCPRIM_400000_NS6detail17trampoline_kernelINS0_14default_configENS1_29binary_search_config_selectorIdbEEZNS1_14transform_implILb0ES3_S5_N6thrust23THRUST_200600_302600_NS17counting_iteratorIdNS8_11use_defaultESA_SA_EEPbZNS1_13binary_searchIS3_S5_PdSB_SC_NS1_16binary_search_opENS8_6detail16wrapped_functionINS0_4lessIvEEbEEEE10hipError_tPvRmT1_T2_T3_mmT4_T5_P12ihipStream_tbEUlRKdE_EESL_SP_SQ_mSR_SU_bEUlT_E_NS1_11comp_targetILNS1_3genE3ELNS1_11target_archE908ELNS1_3gpuE7ELNS1_3repE0EEENS1_30default_config_static_selectorELNS0_4arch9wavefront6targetE0EEEvSO_,comdat
.Lfunc_end173:
	.size	_ZN7rocprim17ROCPRIM_400000_NS6detail17trampoline_kernelINS0_14default_configENS1_29binary_search_config_selectorIdbEEZNS1_14transform_implILb0ES3_S5_N6thrust23THRUST_200600_302600_NS17counting_iteratorIdNS8_11use_defaultESA_SA_EEPbZNS1_13binary_searchIS3_S5_PdSB_SC_NS1_16binary_search_opENS8_6detail16wrapped_functionINS0_4lessIvEEbEEEE10hipError_tPvRmT1_T2_T3_mmT4_T5_P12ihipStream_tbEUlRKdE_EESL_SP_SQ_mSR_SU_bEUlT_E_NS1_11comp_targetILNS1_3genE3ELNS1_11target_archE908ELNS1_3gpuE7ELNS1_3repE0EEENS1_30default_config_static_selectorELNS0_4arch9wavefront6targetE0EEEvSO_, .Lfunc_end173-_ZN7rocprim17ROCPRIM_400000_NS6detail17trampoline_kernelINS0_14default_configENS1_29binary_search_config_selectorIdbEEZNS1_14transform_implILb0ES3_S5_N6thrust23THRUST_200600_302600_NS17counting_iteratorIdNS8_11use_defaultESA_SA_EEPbZNS1_13binary_searchIS3_S5_PdSB_SC_NS1_16binary_search_opENS8_6detail16wrapped_functionINS0_4lessIvEEbEEEE10hipError_tPvRmT1_T2_T3_mmT4_T5_P12ihipStream_tbEUlRKdE_EESL_SP_SQ_mSR_SU_bEUlT_E_NS1_11comp_targetILNS1_3genE3ELNS1_11target_archE908ELNS1_3gpuE7ELNS1_3repE0EEENS1_30default_config_static_selectorELNS0_4arch9wavefront6targetE0EEEvSO_
                                        ; -- End function
	.section	.AMDGPU.csdata,"",@progbits
; Kernel info:
; codeLenInByte = 0
; NumSgprs: 0
; NumVgprs: 0
; ScratchSize: 0
; MemoryBound: 0
; FloatMode: 240
; IeeeMode: 1
; LDSByteSize: 0 bytes/workgroup (compile time only)
; SGPRBlocks: 0
; VGPRBlocks: 0
; NumSGPRsForWavesPerEU: 1
; NumVGPRsForWavesPerEU: 1
; Occupancy: 16
; WaveLimiterHint : 0
; COMPUTE_PGM_RSRC2:SCRATCH_EN: 0
; COMPUTE_PGM_RSRC2:USER_SGPR: 15
; COMPUTE_PGM_RSRC2:TRAP_HANDLER: 0
; COMPUTE_PGM_RSRC2:TGID_X_EN: 1
; COMPUTE_PGM_RSRC2:TGID_Y_EN: 0
; COMPUTE_PGM_RSRC2:TGID_Z_EN: 0
; COMPUTE_PGM_RSRC2:TIDIG_COMP_CNT: 0
	.section	.text._ZN7rocprim17ROCPRIM_400000_NS6detail17trampoline_kernelINS0_14default_configENS1_29binary_search_config_selectorIdbEEZNS1_14transform_implILb0ES3_S5_N6thrust23THRUST_200600_302600_NS17counting_iteratorIdNS8_11use_defaultESA_SA_EEPbZNS1_13binary_searchIS3_S5_PdSB_SC_NS1_16binary_search_opENS8_6detail16wrapped_functionINS0_4lessIvEEbEEEE10hipError_tPvRmT1_T2_T3_mmT4_T5_P12ihipStream_tbEUlRKdE_EESL_SP_SQ_mSR_SU_bEUlT_E_NS1_11comp_targetILNS1_3genE2ELNS1_11target_archE906ELNS1_3gpuE6ELNS1_3repE0EEENS1_30default_config_static_selectorELNS0_4arch9wavefront6targetE0EEEvSO_,"axG",@progbits,_ZN7rocprim17ROCPRIM_400000_NS6detail17trampoline_kernelINS0_14default_configENS1_29binary_search_config_selectorIdbEEZNS1_14transform_implILb0ES3_S5_N6thrust23THRUST_200600_302600_NS17counting_iteratorIdNS8_11use_defaultESA_SA_EEPbZNS1_13binary_searchIS3_S5_PdSB_SC_NS1_16binary_search_opENS8_6detail16wrapped_functionINS0_4lessIvEEbEEEE10hipError_tPvRmT1_T2_T3_mmT4_T5_P12ihipStream_tbEUlRKdE_EESL_SP_SQ_mSR_SU_bEUlT_E_NS1_11comp_targetILNS1_3genE2ELNS1_11target_archE906ELNS1_3gpuE6ELNS1_3repE0EEENS1_30default_config_static_selectorELNS0_4arch9wavefront6targetE0EEEvSO_,comdat
	.protected	_ZN7rocprim17ROCPRIM_400000_NS6detail17trampoline_kernelINS0_14default_configENS1_29binary_search_config_selectorIdbEEZNS1_14transform_implILb0ES3_S5_N6thrust23THRUST_200600_302600_NS17counting_iteratorIdNS8_11use_defaultESA_SA_EEPbZNS1_13binary_searchIS3_S5_PdSB_SC_NS1_16binary_search_opENS8_6detail16wrapped_functionINS0_4lessIvEEbEEEE10hipError_tPvRmT1_T2_T3_mmT4_T5_P12ihipStream_tbEUlRKdE_EESL_SP_SQ_mSR_SU_bEUlT_E_NS1_11comp_targetILNS1_3genE2ELNS1_11target_archE906ELNS1_3gpuE6ELNS1_3repE0EEENS1_30default_config_static_selectorELNS0_4arch9wavefront6targetE0EEEvSO_ ; -- Begin function _ZN7rocprim17ROCPRIM_400000_NS6detail17trampoline_kernelINS0_14default_configENS1_29binary_search_config_selectorIdbEEZNS1_14transform_implILb0ES3_S5_N6thrust23THRUST_200600_302600_NS17counting_iteratorIdNS8_11use_defaultESA_SA_EEPbZNS1_13binary_searchIS3_S5_PdSB_SC_NS1_16binary_search_opENS8_6detail16wrapped_functionINS0_4lessIvEEbEEEE10hipError_tPvRmT1_T2_T3_mmT4_T5_P12ihipStream_tbEUlRKdE_EESL_SP_SQ_mSR_SU_bEUlT_E_NS1_11comp_targetILNS1_3genE2ELNS1_11target_archE906ELNS1_3gpuE6ELNS1_3repE0EEENS1_30default_config_static_selectorELNS0_4arch9wavefront6targetE0EEEvSO_
	.globl	_ZN7rocprim17ROCPRIM_400000_NS6detail17trampoline_kernelINS0_14default_configENS1_29binary_search_config_selectorIdbEEZNS1_14transform_implILb0ES3_S5_N6thrust23THRUST_200600_302600_NS17counting_iteratorIdNS8_11use_defaultESA_SA_EEPbZNS1_13binary_searchIS3_S5_PdSB_SC_NS1_16binary_search_opENS8_6detail16wrapped_functionINS0_4lessIvEEbEEEE10hipError_tPvRmT1_T2_T3_mmT4_T5_P12ihipStream_tbEUlRKdE_EESL_SP_SQ_mSR_SU_bEUlT_E_NS1_11comp_targetILNS1_3genE2ELNS1_11target_archE906ELNS1_3gpuE6ELNS1_3repE0EEENS1_30default_config_static_selectorELNS0_4arch9wavefront6targetE0EEEvSO_
	.p2align	8
	.type	_ZN7rocprim17ROCPRIM_400000_NS6detail17trampoline_kernelINS0_14default_configENS1_29binary_search_config_selectorIdbEEZNS1_14transform_implILb0ES3_S5_N6thrust23THRUST_200600_302600_NS17counting_iteratorIdNS8_11use_defaultESA_SA_EEPbZNS1_13binary_searchIS3_S5_PdSB_SC_NS1_16binary_search_opENS8_6detail16wrapped_functionINS0_4lessIvEEbEEEE10hipError_tPvRmT1_T2_T3_mmT4_T5_P12ihipStream_tbEUlRKdE_EESL_SP_SQ_mSR_SU_bEUlT_E_NS1_11comp_targetILNS1_3genE2ELNS1_11target_archE906ELNS1_3gpuE6ELNS1_3repE0EEENS1_30default_config_static_selectorELNS0_4arch9wavefront6targetE0EEEvSO_,@function
_ZN7rocprim17ROCPRIM_400000_NS6detail17trampoline_kernelINS0_14default_configENS1_29binary_search_config_selectorIdbEEZNS1_14transform_implILb0ES3_S5_N6thrust23THRUST_200600_302600_NS17counting_iteratorIdNS8_11use_defaultESA_SA_EEPbZNS1_13binary_searchIS3_S5_PdSB_SC_NS1_16binary_search_opENS8_6detail16wrapped_functionINS0_4lessIvEEbEEEE10hipError_tPvRmT1_T2_T3_mmT4_T5_P12ihipStream_tbEUlRKdE_EESL_SP_SQ_mSR_SU_bEUlT_E_NS1_11comp_targetILNS1_3genE2ELNS1_11target_archE906ELNS1_3gpuE6ELNS1_3repE0EEENS1_30default_config_static_selectorELNS0_4arch9wavefront6targetE0EEEvSO_: ; @_ZN7rocprim17ROCPRIM_400000_NS6detail17trampoline_kernelINS0_14default_configENS1_29binary_search_config_selectorIdbEEZNS1_14transform_implILb0ES3_S5_N6thrust23THRUST_200600_302600_NS17counting_iteratorIdNS8_11use_defaultESA_SA_EEPbZNS1_13binary_searchIS3_S5_PdSB_SC_NS1_16binary_search_opENS8_6detail16wrapped_functionINS0_4lessIvEEbEEEE10hipError_tPvRmT1_T2_T3_mmT4_T5_P12ihipStream_tbEUlRKdE_EESL_SP_SQ_mSR_SU_bEUlT_E_NS1_11comp_targetILNS1_3genE2ELNS1_11target_archE906ELNS1_3gpuE6ELNS1_3repE0EEENS1_30default_config_static_selectorELNS0_4arch9wavefront6targetE0EEEvSO_
; %bb.0:
	.section	.rodata,"a",@progbits
	.p2align	6, 0x0
	.amdhsa_kernel _ZN7rocprim17ROCPRIM_400000_NS6detail17trampoline_kernelINS0_14default_configENS1_29binary_search_config_selectorIdbEEZNS1_14transform_implILb0ES3_S5_N6thrust23THRUST_200600_302600_NS17counting_iteratorIdNS8_11use_defaultESA_SA_EEPbZNS1_13binary_searchIS3_S5_PdSB_SC_NS1_16binary_search_opENS8_6detail16wrapped_functionINS0_4lessIvEEbEEEE10hipError_tPvRmT1_T2_T3_mmT4_T5_P12ihipStream_tbEUlRKdE_EESL_SP_SQ_mSR_SU_bEUlT_E_NS1_11comp_targetILNS1_3genE2ELNS1_11target_archE906ELNS1_3gpuE6ELNS1_3repE0EEENS1_30default_config_static_selectorELNS0_4arch9wavefront6targetE0EEEvSO_
		.amdhsa_group_segment_fixed_size 0
		.amdhsa_private_segment_fixed_size 0
		.amdhsa_kernarg_size 56
		.amdhsa_user_sgpr_count 15
		.amdhsa_user_sgpr_dispatch_ptr 0
		.amdhsa_user_sgpr_queue_ptr 0
		.amdhsa_user_sgpr_kernarg_segment_ptr 1
		.amdhsa_user_sgpr_dispatch_id 0
		.amdhsa_user_sgpr_private_segment_size 0
		.amdhsa_wavefront_size32 1
		.amdhsa_uses_dynamic_stack 0
		.amdhsa_enable_private_segment 0
		.amdhsa_system_sgpr_workgroup_id_x 1
		.amdhsa_system_sgpr_workgroup_id_y 0
		.amdhsa_system_sgpr_workgroup_id_z 0
		.amdhsa_system_sgpr_workgroup_info 0
		.amdhsa_system_vgpr_workitem_id 0
		.amdhsa_next_free_vgpr 1
		.amdhsa_next_free_sgpr 1
		.amdhsa_reserve_vcc 0
		.amdhsa_float_round_mode_32 0
		.amdhsa_float_round_mode_16_64 0
		.amdhsa_float_denorm_mode_32 3
		.amdhsa_float_denorm_mode_16_64 3
		.amdhsa_dx10_clamp 1
		.amdhsa_ieee_mode 1
		.amdhsa_fp16_overflow 0
		.amdhsa_workgroup_processor_mode 1
		.amdhsa_memory_ordered 1
		.amdhsa_forward_progress 0
		.amdhsa_shared_vgpr_count 0
		.amdhsa_exception_fp_ieee_invalid_op 0
		.amdhsa_exception_fp_denorm_src 0
		.amdhsa_exception_fp_ieee_div_zero 0
		.amdhsa_exception_fp_ieee_overflow 0
		.amdhsa_exception_fp_ieee_underflow 0
		.amdhsa_exception_fp_ieee_inexact 0
		.amdhsa_exception_int_div_zero 0
	.end_amdhsa_kernel
	.section	.text._ZN7rocprim17ROCPRIM_400000_NS6detail17trampoline_kernelINS0_14default_configENS1_29binary_search_config_selectorIdbEEZNS1_14transform_implILb0ES3_S5_N6thrust23THRUST_200600_302600_NS17counting_iteratorIdNS8_11use_defaultESA_SA_EEPbZNS1_13binary_searchIS3_S5_PdSB_SC_NS1_16binary_search_opENS8_6detail16wrapped_functionINS0_4lessIvEEbEEEE10hipError_tPvRmT1_T2_T3_mmT4_T5_P12ihipStream_tbEUlRKdE_EESL_SP_SQ_mSR_SU_bEUlT_E_NS1_11comp_targetILNS1_3genE2ELNS1_11target_archE906ELNS1_3gpuE6ELNS1_3repE0EEENS1_30default_config_static_selectorELNS0_4arch9wavefront6targetE0EEEvSO_,"axG",@progbits,_ZN7rocprim17ROCPRIM_400000_NS6detail17trampoline_kernelINS0_14default_configENS1_29binary_search_config_selectorIdbEEZNS1_14transform_implILb0ES3_S5_N6thrust23THRUST_200600_302600_NS17counting_iteratorIdNS8_11use_defaultESA_SA_EEPbZNS1_13binary_searchIS3_S5_PdSB_SC_NS1_16binary_search_opENS8_6detail16wrapped_functionINS0_4lessIvEEbEEEE10hipError_tPvRmT1_T2_T3_mmT4_T5_P12ihipStream_tbEUlRKdE_EESL_SP_SQ_mSR_SU_bEUlT_E_NS1_11comp_targetILNS1_3genE2ELNS1_11target_archE906ELNS1_3gpuE6ELNS1_3repE0EEENS1_30default_config_static_selectorELNS0_4arch9wavefront6targetE0EEEvSO_,comdat
.Lfunc_end174:
	.size	_ZN7rocprim17ROCPRIM_400000_NS6detail17trampoline_kernelINS0_14default_configENS1_29binary_search_config_selectorIdbEEZNS1_14transform_implILb0ES3_S5_N6thrust23THRUST_200600_302600_NS17counting_iteratorIdNS8_11use_defaultESA_SA_EEPbZNS1_13binary_searchIS3_S5_PdSB_SC_NS1_16binary_search_opENS8_6detail16wrapped_functionINS0_4lessIvEEbEEEE10hipError_tPvRmT1_T2_T3_mmT4_T5_P12ihipStream_tbEUlRKdE_EESL_SP_SQ_mSR_SU_bEUlT_E_NS1_11comp_targetILNS1_3genE2ELNS1_11target_archE906ELNS1_3gpuE6ELNS1_3repE0EEENS1_30default_config_static_selectorELNS0_4arch9wavefront6targetE0EEEvSO_, .Lfunc_end174-_ZN7rocprim17ROCPRIM_400000_NS6detail17trampoline_kernelINS0_14default_configENS1_29binary_search_config_selectorIdbEEZNS1_14transform_implILb0ES3_S5_N6thrust23THRUST_200600_302600_NS17counting_iteratorIdNS8_11use_defaultESA_SA_EEPbZNS1_13binary_searchIS3_S5_PdSB_SC_NS1_16binary_search_opENS8_6detail16wrapped_functionINS0_4lessIvEEbEEEE10hipError_tPvRmT1_T2_T3_mmT4_T5_P12ihipStream_tbEUlRKdE_EESL_SP_SQ_mSR_SU_bEUlT_E_NS1_11comp_targetILNS1_3genE2ELNS1_11target_archE906ELNS1_3gpuE6ELNS1_3repE0EEENS1_30default_config_static_selectorELNS0_4arch9wavefront6targetE0EEEvSO_
                                        ; -- End function
	.section	.AMDGPU.csdata,"",@progbits
; Kernel info:
; codeLenInByte = 0
; NumSgprs: 0
; NumVgprs: 0
; ScratchSize: 0
; MemoryBound: 0
; FloatMode: 240
; IeeeMode: 1
; LDSByteSize: 0 bytes/workgroup (compile time only)
; SGPRBlocks: 0
; VGPRBlocks: 0
; NumSGPRsForWavesPerEU: 1
; NumVGPRsForWavesPerEU: 1
; Occupancy: 16
; WaveLimiterHint : 0
; COMPUTE_PGM_RSRC2:SCRATCH_EN: 0
; COMPUTE_PGM_RSRC2:USER_SGPR: 15
; COMPUTE_PGM_RSRC2:TRAP_HANDLER: 0
; COMPUTE_PGM_RSRC2:TGID_X_EN: 1
; COMPUTE_PGM_RSRC2:TGID_Y_EN: 0
; COMPUTE_PGM_RSRC2:TGID_Z_EN: 0
; COMPUTE_PGM_RSRC2:TIDIG_COMP_CNT: 0
	.section	.text._ZN7rocprim17ROCPRIM_400000_NS6detail17trampoline_kernelINS0_14default_configENS1_29binary_search_config_selectorIdbEEZNS1_14transform_implILb0ES3_S5_N6thrust23THRUST_200600_302600_NS17counting_iteratorIdNS8_11use_defaultESA_SA_EEPbZNS1_13binary_searchIS3_S5_PdSB_SC_NS1_16binary_search_opENS8_6detail16wrapped_functionINS0_4lessIvEEbEEEE10hipError_tPvRmT1_T2_T3_mmT4_T5_P12ihipStream_tbEUlRKdE_EESL_SP_SQ_mSR_SU_bEUlT_E_NS1_11comp_targetILNS1_3genE10ELNS1_11target_archE1201ELNS1_3gpuE5ELNS1_3repE0EEENS1_30default_config_static_selectorELNS0_4arch9wavefront6targetE0EEEvSO_,"axG",@progbits,_ZN7rocprim17ROCPRIM_400000_NS6detail17trampoline_kernelINS0_14default_configENS1_29binary_search_config_selectorIdbEEZNS1_14transform_implILb0ES3_S5_N6thrust23THRUST_200600_302600_NS17counting_iteratorIdNS8_11use_defaultESA_SA_EEPbZNS1_13binary_searchIS3_S5_PdSB_SC_NS1_16binary_search_opENS8_6detail16wrapped_functionINS0_4lessIvEEbEEEE10hipError_tPvRmT1_T2_T3_mmT4_T5_P12ihipStream_tbEUlRKdE_EESL_SP_SQ_mSR_SU_bEUlT_E_NS1_11comp_targetILNS1_3genE10ELNS1_11target_archE1201ELNS1_3gpuE5ELNS1_3repE0EEENS1_30default_config_static_selectorELNS0_4arch9wavefront6targetE0EEEvSO_,comdat
	.protected	_ZN7rocprim17ROCPRIM_400000_NS6detail17trampoline_kernelINS0_14default_configENS1_29binary_search_config_selectorIdbEEZNS1_14transform_implILb0ES3_S5_N6thrust23THRUST_200600_302600_NS17counting_iteratorIdNS8_11use_defaultESA_SA_EEPbZNS1_13binary_searchIS3_S5_PdSB_SC_NS1_16binary_search_opENS8_6detail16wrapped_functionINS0_4lessIvEEbEEEE10hipError_tPvRmT1_T2_T3_mmT4_T5_P12ihipStream_tbEUlRKdE_EESL_SP_SQ_mSR_SU_bEUlT_E_NS1_11comp_targetILNS1_3genE10ELNS1_11target_archE1201ELNS1_3gpuE5ELNS1_3repE0EEENS1_30default_config_static_selectorELNS0_4arch9wavefront6targetE0EEEvSO_ ; -- Begin function _ZN7rocprim17ROCPRIM_400000_NS6detail17trampoline_kernelINS0_14default_configENS1_29binary_search_config_selectorIdbEEZNS1_14transform_implILb0ES3_S5_N6thrust23THRUST_200600_302600_NS17counting_iteratorIdNS8_11use_defaultESA_SA_EEPbZNS1_13binary_searchIS3_S5_PdSB_SC_NS1_16binary_search_opENS8_6detail16wrapped_functionINS0_4lessIvEEbEEEE10hipError_tPvRmT1_T2_T3_mmT4_T5_P12ihipStream_tbEUlRKdE_EESL_SP_SQ_mSR_SU_bEUlT_E_NS1_11comp_targetILNS1_3genE10ELNS1_11target_archE1201ELNS1_3gpuE5ELNS1_3repE0EEENS1_30default_config_static_selectorELNS0_4arch9wavefront6targetE0EEEvSO_
	.globl	_ZN7rocprim17ROCPRIM_400000_NS6detail17trampoline_kernelINS0_14default_configENS1_29binary_search_config_selectorIdbEEZNS1_14transform_implILb0ES3_S5_N6thrust23THRUST_200600_302600_NS17counting_iteratorIdNS8_11use_defaultESA_SA_EEPbZNS1_13binary_searchIS3_S5_PdSB_SC_NS1_16binary_search_opENS8_6detail16wrapped_functionINS0_4lessIvEEbEEEE10hipError_tPvRmT1_T2_T3_mmT4_T5_P12ihipStream_tbEUlRKdE_EESL_SP_SQ_mSR_SU_bEUlT_E_NS1_11comp_targetILNS1_3genE10ELNS1_11target_archE1201ELNS1_3gpuE5ELNS1_3repE0EEENS1_30default_config_static_selectorELNS0_4arch9wavefront6targetE0EEEvSO_
	.p2align	8
	.type	_ZN7rocprim17ROCPRIM_400000_NS6detail17trampoline_kernelINS0_14default_configENS1_29binary_search_config_selectorIdbEEZNS1_14transform_implILb0ES3_S5_N6thrust23THRUST_200600_302600_NS17counting_iteratorIdNS8_11use_defaultESA_SA_EEPbZNS1_13binary_searchIS3_S5_PdSB_SC_NS1_16binary_search_opENS8_6detail16wrapped_functionINS0_4lessIvEEbEEEE10hipError_tPvRmT1_T2_T3_mmT4_T5_P12ihipStream_tbEUlRKdE_EESL_SP_SQ_mSR_SU_bEUlT_E_NS1_11comp_targetILNS1_3genE10ELNS1_11target_archE1201ELNS1_3gpuE5ELNS1_3repE0EEENS1_30default_config_static_selectorELNS0_4arch9wavefront6targetE0EEEvSO_,@function
_ZN7rocprim17ROCPRIM_400000_NS6detail17trampoline_kernelINS0_14default_configENS1_29binary_search_config_selectorIdbEEZNS1_14transform_implILb0ES3_S5_N6thrust23THRUST_200600_302600_NS17counting_iteratorIdNS8_11use_defaultESA_SA_EEPbZNS1_13binary_searchIS3_S5_PdSB_SC_NS1_16binary_search_opENS8_6detail16wrapped_functionINS0_4lessIvEEbEEEE10hipError_tPvRmT1_T2_T3_mmT4_T5_P12ihipStream_tbEUlRKdE_EESL_SP_SQ_mSR_SU_bEUlT_E_NS1_11comp_targetILNS1_3genE10ELNS1_11target_archE1201ELNS1_3gpuE5ELNS1_3repE0EEENS1_30default_config_static_selectorELNS0_4arch9wavefront6targetE0EEEvSO_: ; @_ZN7rocprim17ROCPRIM_400000_NS6detail17trampoline_kernelINS0_14default_configENS1_29binary_search_config_selectorIdbEEZNS1_14transform_implILb0ES3_S5_N6thrust23THRUST_200600_302600_NS17counting_iteratorIdNS8_11use_defaultESA_SA_EEPbZNS1_13binary_searchIS3_S5_PdSB_SC_NS1_16binary_search_opENS8_6detail16wrapped_functionINS0_4lessIvEEbEEEE10hipError_tPvRmT1_T2_T3_mmT4_T5_P12ihipStream_tbEUlRKdE_EESL_SP_SQ_mSR_SU_bEUlT_E_NS1_11comp_targetILNS1_3genE10ELNS1_11target_archE1201ELNS1_3gpuE5ELNS1_3repE0EEENS1_30default_config_static_selectorELNS0_4arch9wavefront6targetE0EEEvSO_
; %bb.0:
	.section	.rodata,"a",@progbits
	.p2align	6, 0x0
	.amdhsa_kernel _ZN7rocprim17ROCPRIM_400000_NS6detail17trampoline_kernelINS0_14default_configENS1_29binary_search_config_selectorIdbEEZNS1_14transform_implILb0ES3_S5_N6thrust23THRUST_200600_302600_NS17counting_iteratorIdNS8_11use_defaultESA_SA_EEPbZNS1_13binary_searchIS3_S5_PdSB_SC_NS1_16binary_search_opENS8_6detail16wrapped_functionINS0_4lessIvEEbEEEE10hipError_tPvRmT1_T2_T3_mmT4_T5_P12ihipStream_tbEUlRKdE_EESL_SP_SQ_mSR_SU_bEUlT_E_NS1_11comp_targetILNS1_3genE10ELNS1_11target_archE1201ELNS1_3gpuE5ELNS1_3repE0EEENS1_30default_config_static_selectorELNS0_4arch9wavefront6targetE0EEEvSO_
		.amdhsa_group_segment_fixed_size 0
		.amdhsa_private_segment_fixed_size 0
		.amdhsa_kernarg_size 56
		.amdhsa_user_sgpr_count 15
		.amdhsa_user_sgpr_dispatch_ptr 0
		.amdhsa_user_sgpr_queue_ptr 0
		.amdhsa_user_sgpr_kernarg_segment_ptr 1
		.amdhsa_user_sgpr_dispatch_id 0
		.amdhsa_user_sgpr_private_segment_size 0
		.amdhsa_wavefront_size32 1
		.amdhsa_uses_dynamic_stack 0
		.amdhsa_enable_private_segment 0
		.amdhsa_system_sgpr_workgroup_id_x 1
		.amdhsa_system_sgpr_workgroup_id_y 0
		.amdhsa_system_sgpr_workgroup_id_z 0
		.amdhsa_system_sgpr_workgroup_info 0
		.amdhsa_system_vgpr_workitem_id 0
		.amdhsa_next_free_vgpr 1
		.amdhsa_next_free_sgpr 1
		.amdhsa_reserve_vcc 0
		.amdhsa_float_round_mode_32 0
		.amdhsa_float_round_mode_16_64 0
		.amdhsa_float_denorm_mode_32 3
		.amdhsa_float_denorm_mode_16_64 3
		.amdhsa_dx10_clamp 1
		.amdhsa_ieee_mode 1
		.amdhsa_fp16_overflow 0
		.amdhsa_workgroup_processor_mode 1
		.amdhsa_memory_ordered 1
		.amdhsa_forward_progress 0
		.amdhsa_shared_vgpr_count 0
		.amdhsa_exception_fp_ieee_invalid_op 0
		.amdhsa_exception_fp_denorm_src 0
		.amdhsa_exception_fp_ieee_div_zero 0
		.amdhsa_exception_fp_ieee_overflow 0
		.amdhsa_exception_fp_ieee_underflow 0
		.amdhsa_exception_fp_ieee_inexact 0
		.amdhsa_exception_int_div_zero 0
	.end_amdhsa_kernel
	.section	.text._ZN7rocprim17ROCPRIM_400000_NS6detail17trampoline_kernelINS0_14default_configENS1_29binary_search_config_selectorIdbEEZNS1_14transform_implILb0ES3_S5_N6thrust23THRUST_200600_302600_NS17counting_iteratorIdNS8_11use_defaultESA_SA_EEPbZNS1_13binary_searchIS3_S5_PdSB_SC_NS1_16binary_search_opENS8_6detail16wrapped_functionINS0_4lessIvEEbEEEE10hipError_tPvRmT1_T2_T3_mmT4_T5_P12ihipStream_tbEUlRKdE_EESL_SP_SQ_mSR_SU_bEUlT_E_NS1_11comp_targetILNS1_3genE10ELNS1_11target_archE1201ELNS1_3gpuE5ELNS1_3repE0EEENS1_30default_config_static_selectorELNS0_4arch9wavefront6targetE0EEEvSO_,"axG",@progbits,_ZN7rocprim17ROCPRIM_400000_NS6detail17trampoline_kernelINS0_14default_configENS1_29binary_search_config_selectorIdbEEZNS1_14transform_implILb0ES3_S5_N6thrust23THRUST_200600_302600_NS17counting_iteratorIdNS8_11use_defaultESA_SA_EEPbZNS1_13binary_searchIS3_S5_PdSB_SC_NS1_16binary_search_opENS8_6detail16wrapped_functionINS0_4lessIvEEbEEEE10hipError_tPvRmT1_T2_T3_mmT4_T5_P12ihipStream_tbEUlRKdE_EESL_SP_SQ_mSR_SU_bEUlT_E_NS1_11comp_targetILNS1_3genE10ELNS1_11target_archE1201ELNS1_3gpuE5ELNS1_3repE0EEENS1_30default_config_static_selectorELNS0_4arch9wavefront6targetE0EEEvSO_,comdat
.Lfunc_end175:
	.size	_ZN7rocprim17ROCPRIM_400000_NS6detail17trampoline_kernelINS0_14default_configENS1_29binary_search_config_selectorIdbEEZNS1_14transform_implILb0ES3_S5_N6thrust23THRUST_200600_302600_NS17counting_iteratorIdNS8_11use_defaultESA_SA_EEPbZNS1_13binary_searchIS3_S5_PdSB_SC_NS1_16binary_search_opENS8_6detail16wrapped_functionINS0_4lessIvEEbEEEE10hipError_tPvRmT1_T2_T3_mmT4_T5_P12ihipStream_tbEUlRKdE_EESL_SP_SQ_mSR_SU_bEUlT_E_NS1_11comp_targetILNS1_3genE10ELNS1_11target_archE1201ELNS1_3gpuE5ELNS1_3repE0EEENS1_30default_config_static_selectorELNS0_4arch9wavefront6targetE0EEEvSO_, .Lfunc_end175-_ZN7rocprim17ROCPRIM_400000_NS6detail17trampoline_kernelINS0_14default_configENS1_29binary_search_config_selectorIdbEEZNS1_14transform_implILb0ES3_S5_N6thrust23THRUST_200600_302600_NS17counting_iteratorIdNS8_11use_defaultESA_SA_EEPbZNS1_13binary_searchIS3_S5_PdSB_SC_NS1_16binary_search_opENS8_6detail16wrapped_functionINS0_4lessIvEEbEEEE10hipError_tPvRmT1_T2_T3_mmT4_T5_P12ihipStream_tbEUlRKdE_EESL_SP_SQ_mSR_SU_bEUlT_E_NS1_11comp_targetILNS1_3genE10ELNS1_11target_archE1201ELNS1_3gpuE5ELNS1_3repE0EEENS1_30default_config_static_selectorELNS0_4arch9wavefront6targetE0EEEvSO_
                                        ; -- End function
	.section	.AMDGPU.csdata,"",@progbits
; Kernel info:
; codeLenInByte = 0
; NumSgprs: 0
; NumVgprs: 0
; ScratchSize: 0
; MemoryBound: 0
; FloatMode: 240
; IeeeMode: 1
; LDSByteSize: 0 bytes/workgroup (compile time only)
; SGPRBlocks: 0
; VGPRBlocks: 0
; NumSGPRsForWavesPerEU: 1
; NumVGPRsForWavesPerEU: 1
; Occupancy: 16
; WaveLimiterHint : 0
; COMPUTE_PGM_RSRC2:SCRATCH_EN: 0
; COMPUTE_PGM_RSRC2:USER_SGPR: 15
; COMPUTE_PGM_RSRC2:TRAP_HANDLER: 0
; COMPUTE_PGM_RSRC2:TGID_X_EN: 1
; COMPUTE_PGM_RSRC2:TGID_Y_EN: 0
; COMPUTE_PGM_RSRC2:TGID_Z_EN: 0
; COMPUTE_PGM_RSRC2:TIDIG_COMP_CNT: 0
	.section	.text._ZN7rocprim17ROCPRIM_400000_NS6detail17trampoline_kernelINS0_14default_configENS1_29binary_search_config_selectorIdbEEZNS1_14transform_implILb0ES3_S5_N6thrust23THRUST_200600_302600_NS17counting_iteratorIdNS8_11use_defaultESA_SA_EEPbZNS1_13binary_searchIS3_S5_PdSB_SC_NS1_16binary_search_opENS8_6detail16wrapped_functionINS0_4lessIvEEbEEEE10hipError_tPvRmT1_T2_T3_mmT4_T5_P12ihipStream_tbEUlRKdE_EESL_SP_SQ_mSR_SU_bEUlT_E_NS1_11comp_targetILNS1_3genE10ELNS1_11target_archE1200ELNS1_3gpuE4ELNS1_3repE0EEENS1_30default_config_static_selectorELNS0_4arch9wavefront6targetE0EEEvSO_,"axG",@progbits,_ZN7rocprim17ROCPRIM_400000_NS6detail17trampoline_kernelINS0_14default_configENS1_29binary_search_config_selectorIdbEEZNS1_14transform_implILb0ES3_S5_N6thrust23THRUST_200600_302600_NS17counting_iteratorIdNS8_11use_defaultESA_SA_EEPbZNS1_13binary_searchIS3_S5_PdSB_SC_NS1_16binary_search_opENS8_6detail16wrapped_functionINS0_4lessIvEEbEEEE10hipError_tPvRmT1_T2_T3_mmT4_T5_P12ihipStream_tbEUlRKdE_EESL_SP_SQ_mSR_SU_bEUlT_E_NS1_11comp_targetILNS1_3genE10ELNS1_11target_archE1200ELNS1_3gpuE4ELNS1_3repE0EEENS1_30default_config_static_selectorELNS0_4arch9wavefront6targetE0EEEvSO_,comdat
	.protected	_ZN7rocprim17ROCPRIM_400000_NS6detail17trampoline_kernelINS0_14default_configENS1_29binary_search_config_selectorIdbEEZNS1_14transform_implILb0ES3_S5_N6thrust23THRUST_200600_302600_NS17counting_iteratorIdNS8_11use_defaultESA_SA_EEPbZNS1_13binary_searchIS3_S5_PdSB_SC_NS1_16binary_search_opENS8_6detail16wrapped_functionINS0_4lessIvEEbEEEE10hipError_tPvRmT1_T2_T3_mmT4_T5_P12ihipStream_tbEUlRKdE_EESL_SP_SQ_mSR_SU_bEUlT_E_NS1_11comp_targetILNS1_3genE10ELNS1_11target_archE1200ELNS1_3gpuE4ELNS1_3repE0EEENS1_30default_config_static_selectorELNS0_4arch9wavefront6targetE0EEEvSO_ ; -- Begin function _ZN7rocprim17ROCPRIM_400000_NS6detail17trampoline_kernelINS0_14default_configENS1_29binary_search_config_selectorIdbEEZNS1_14transform_implILb0ES3_S5_N6thrust23THRUST_200600_302600_NS17counting_iteratorIdNS8_11use_defaultESA_SA_EEPbZNS1_13binary_searchIS3_S5_PdSB_SC_NS1_16binary_search_opENS8_6detail16wrapped_functionINS0_4lessIvEEbEEEE10hipError_tPvRmT1_T2_T3_mmT4_T5_P12ihipStream_tbEUlRKdE_EESL_SP_SQ_mSR_SU_bEUlT_E_NS1_11comp_targetILNS1_3genE10ELNS1_11target_archE1200ELNS1_3gpuE4ELNS1_3repE0EEENS1_30default_config_static_selectorELNS0_4arch9wavefront6targetE0EEEvSO_
	.globl	_ZN7rocprim17ROCPRIM_400000_NS6detail17trampoline_kernelINS0_14default_configENS1_29binary_search_config_selectorIdbEEZNS1_14transform_implILb0ES3_S5_N6thrust23THRUST_200600_302600_NS17counting_iteratorIdNS8_11use_defaultESA_SA_EEPbZNS1_13binary_searchIS3_S5_PdSB_SC_NS1_16binary_search_opENS8_6detail16wrapped_functionINS0_4lessIvEEbEEEE10hipError_tPvRmT1_T2_T3_mmT4_T5_P12ihipStream_tbEUlRKdE_EESL_SP_SQ_mSR_SU_bEUlT_E_NS1_11comp_targetILNS1_3genE10ELNS1_11target_archE1200ELNS1_3gpuE4ELNS1_3repE0EEENS1_30default_config_static_selectorELNS0_4arch9wavefront6targetE0EEEvSO_
	.p2align	8
	.type	_ZN7rocprim17ROCPRIM_400000_NS6detail17trampoline_kernelINS0_14default_configENS1_29binary_search_config_selectorIdbEEZNS1_14transform_implILb0ES3_S5_N6thrust23THRUST_200600_302600_NS17counting_iteratorIdNS8_11use_defaultESA_SA_EEPbZNS1_13binary_searchIS3_S5_PdSB_SC_NS1_16binary_search_opENS8_6detail16wrapped_functionINS0_4lessIvEEbEEEE10hipError_tPvRmT1_T2_T3_mmT4_T5_P12ihipStream_tbEUlRKdE_EESL_SP_SQ_mSR_SU_bEUlT_E_NS1_11comp_targetILNS1_3genE10ELNS1_11target_archE1200ELNS1_3gpuE4ELNS1_3repE0EEENS1_30default_config_static_selectorELNS0_4arch9wavefront6targetE0EEEvSO_,@function
_ZN7rocprim17ROCPRIM_400000_NS6detail17trampoline_kernelINS0_14default_configENS1_29binary_search_config_selectorIdbEEZNS1_14transform_implILb0ES3_S5_N6thrust23THRUST_200600_302600_NS17counting_iteratorIdNS8_11use_defaultESA_SA_EEPbZNS1_13binary_searchIS3_S5_PdSB_SC_NS1_16binary_search_opENS8_6detail16wrapped_functionINS0_4lessIvEEbEEEE10hipError_tPvRmT1_T2_T3_mmT4_T5_P12ihipStream_tbEUlRKdE_EESL_SP_SQ_mSR_SU_bEUlT_E_NS1_11comp_targetILNS1_3genE10ELNS1_11target_archE1200ELNS1_3gpuE4ELNS1_3repE0EEENS1_30default_config_static_selectorELNS0_4arch9wavefront6targetE0EEEvSO_: ; @_ZN7rocprim17ROCPRIM_400000_NS6detail17trampoline_kernelINS0_14default_configENS1_29binary_search_config_selectorIdbEEZNS1_14transform_implILb0ES3_S5_N6thrust23THRUST_200600_302600_NS17counting_iteratorIdNS8_11use_defaultESA_SA_EEPbZNS1_13binary_searchIS3_S5_PdSB_SC_NS1_16binary_search_opENS8_6detail16wrapped_functionINS0_4lessIvEEbEEEE10hipError_tPvRmT1_T2_T3_mmT4_T5_P12ihipStream_tbEUlRKdE_EESL_SP_SQ_mSR_SU_bEUlT_E_NS1_11comp_targetILNS1_3genE10ELNS1_11target_archE1200ELNS1_3gpuE4ELNS1_3repE0EEENS1_30default_config_static_selectorELNS0_4arch9wavefront6targetE0EEEvSO_
; %bb.0:
	.section	.rodata,"a",@progbits
	.p2align	6, 0x0
	.amdhsa_kernel _ZN7rocprim17ROCPRIM_400000_NS6detail17trampoline_kernelINS0_14default_configENS1_29binary_search_config_selectorIdbEEZNS1_14transform_implILb0ES3_S5_N6thrust23THRUST_200600_302600_NS17counting_iteratorIdNS8_11use_defaultESA_SA_EEPbZNS1_13binary_searchIS3_S5_PdSB_SC_NS1_16binary_search_opENS8_6detail16wrapped_functionINS0_4lessIvEEbEEEE10hipError_tPvRmT1_T2_T3_mmT4_T5_P12ihipStream_tbEUlRKdE_EESL_SP_SQ_mSR_SU_bEUlT_E_NS1_11comp_targetILNS1_3genE10ELNS1_11target_archE1200ELNS1_3gpuE4ELNS1_3repE0EEENS1_30default_config_static_selectorELNS0_4arch9wavefront6targetE0EEEvSO_
		.amdhsa_group_segment_fixed_size 0
		.amdhsa_private_segment_fixed_size 0
		.amdhsa_kernarg_size 56
		.amdhsa_user_sgpr_count 15
		.amdhsa_user_sgpr_dispatch_ptr 0
		.amdhsa_user_sgpr_queue_ptr 0
		.amdhsa_user_sgpr_kernarg_segment_ptr 1
		.amdhsa_user_sgpr_dispatch_id 0
		.amdhsa_user_sgpr_private_segment_size 0
		.amdhsa_wavefront_size32 1
		.amdhsa_uses_dynamic_stack 0
		.amdhsa_enable_private_segment 0
		.amdhsa_system_sgpr_workgroup_id_x 1
		.amdhsa_system_sgpr_workgroup_id_y 0
		.amdhsa_system_sgpr_workgroup_id_z 0
		.amdhsa_system_sgpr_workgroup_info 0
		.amdhsa_system_vgpr_workitem_id 0
		.amdhsa_next_free_vgpr 1
		.amdhsa_next_free_sgpr 1
		.amdhsa_reserve_vcc 0
		.amdhsa_float_round_mode_32 0
		.amdhsa_float_round_mode_16_64 0
		.amdhsa_float_denorm_mode_32 3
		.amdhsa_float_denorm_mode_16_64 3
		.amdhsa_dx10_clamp 1
		.amdhsa_ieee_mode 1
		.amdhsa_fp16_overflow 0
		.amdhsa_workgroup_processor_mode 1
		.amdhsa_memory_ordered 1
		.amdhsa_forward_progress 0
		.amdhsa_shared_vgpr_count 0
		.amdhsa_exception_fp_ieee_invalid_op 0
		.amdhsa_exception_fp_denorm_src 0
		.amdhsa_exception_fp_ieee_div_zero 0
		.amdhsa_exception_fp_ieee_overflow 0
		.amdhsa_exception_fp_ieee_underflow 0
		.amdhsa_exception_fp_ieee_inexact 0
		.amdhsa_exception_int_div_zero 0
	.end_amdhsa_kernel
	.section	.text._ZN7rocprim17ROCPRIM_400000_NS6detail17trampoline_kernelINS0_14default_configENS1_29binary_search_config_selectorIdbEEZNS1_14transform_implILb0ES3_S5_N6thrust23THRUST_200600_302600_NS17counting_iteratorIdNS8_11use_defaultESA_SA_EEPbZNS1_13binary_searchIS3_S5_PdSB_SC_NS1_16binary_search_opENS8_6detail16wrapped_functionINS0_4lessIvEEbEEEE10hipError_tPvRmT1_T2_T3_mmT4_T5_P12ihipStream_tbEUlRKdE_EESL_SP_SQ_mSR_SU_bEUlT_E_NS1_11comp_targetILNS1_3genE10ELNS1_11target_archE1200ELNS1_3gpuE4ELNS1_3repE0EEENS1_30default_config_static_selectorELNS0_4arch9wavefront6targetE0EEEvSO_,"axG",@progbits,_ZN7rocprim17ROCPRIM_400000_NS6detail17trampoline_kernelINS0_14default_configENS1_29binary_search_config_selectorIdbEEZNS1_14transform_implILb0ES3_S5_N6thrust23THRUST_200600_302600_NS17counting_iteratorIdNS8_11use_defaultESA_SA_EEPbZNS1_13binary_searchIS3_S5_PdSB_SC_NS1_16binary_search_opENS8_6detail16wrapped_functionINS0_4lessIvEEbEEEE10hipError_tPvRmT1_T2_T3_mmT4_T5_P12ihipStream_tbEUlRKdE_EESL_SP_SQ_mSR_SU_bEUlT_E_NS1_11comp_targetILNS1_3genE10ELNS1_11target_archE1200ELNS1_3gpuE4ELNS1_3repE0EEENS1_30default_config_static_selectorELNS0_4arch9wavefront6targetE0EEEvSO_,comdat
.Lfunc_end176:
	.size	_ZN7rocprim17ROCPRIM_400000_NS6detail17trampoline_kernelINS0_14default_configENS1_29binary_search_config_selectorIdbEEZNS1_14transform_implILb0ES3_S5_N6thrust23THRUST_200600_302600_NS17counting_iteratorIdNS8_11use_defaultESA_SA_EEPbZNS1_13binary_searchIS3_S5_PdSB_SC_NS1_16binary_search_opENS8_6detail16wrapped_functionINS0_4lessIvEEbEEEE10hipError_tPvRmT1_T2_T3_mmT4_T5_P12ihipStream_tbEUlRKdE_EESL_SP_SQ_mSR_SU_bEUlT_E_NS1_11comp_targetILNS1_3genE10ELNS1_11target_archE1200ELNS1_3gpuE4ELNS1_3repE0EEENS1_30default_config_static_selectorELNS0_4arch9wavefront6targetE0EEEvSO_, .Lfunc_end176-_ZN7rocprim17ROCPRIM_400000_NS6detail17trampoline_kernelINS0_14default_configENS1_29binary_search_config_selectorIdbEEZNS1_14transform_implILb0ES3_S5_N6thrust23THRUST_200600_302600_NS17counting_iteratorIdNS8_11use_defaultESA_SA_EEPbZNS1_13binary_searchIS3_S5_PdSB_SC_NS1_16binary_search_opENS8_6detail16wrapped_functionINS0_4lessIvEEbEEEE10hipError_tPvRmT1_T2_T3_mmT4_T5_P12ihipStream_tbEUlRKdE_EESL_SP_SQ_mSR_SU_bEUlT_E_NS1_11comp_targetILNS1_3genE10ELNS1_11target_archE1200ELNS1_3gpuE4ELNS1_3repE0EEENS1_30default_config_static_selectorELNS0_4arch9wavefront6targetE0EEEvSO_
                                        ; -- End function
	.section	.AMDGPU.csdata,"",@progbits
; Kernel info:
; codeLenInByte = 0
; NumSgprs: 0
; NumVgprs: 0
; ScratchSize: 0
; MemoryBound: 0
; FloatMode: 240
; IeeeMode: 1
; LDSByteSize: 0 bytes/workgroup (compile time only)
; SGPRBlocks: 0
; VGPRBlocks: 0
; NumSGPRsForWavesPerEU: 1
; NumVGPRsForWavesPerEU: 1
; Occupancy: 16
; WaveLimiterHint : 0
; COMPUTE_PGM_RSRC2:SCRATCH_EN: 0
; COMPUTE_PGM_RSRC2:USER_SGPR: 15
; COMPUTE_PGM_RSRC2:TRAP_HANDLER: 0
; COMPUTE_PGM_RSRC2:TGID_X_EN: 1
; COMPUTE_PGM_RSRC2:TGID_Y_EN: 0
; COMPUTE_PGM_RSRC2:TGID_Z_EN: 0
; COMPUTE_PGM_RSRC2:TIDIG_COMP_CNT: 0
	.section	.text._ZN7rocprim17ROCPRIM_400000_NS6detail17trampoline_kernelINS0_14default_configENS1_29binary_search_config_selectorIdbEEZNS1_14transform_implILb0ES3_S5_N6thrust23THRUST_200600_302600_NS17counting_iteratorIdNS8_11use_defaultESA_SA_EEPbZNS1_13binary_searchIS3_S5_PdSB_SC_NS1_16binary_search_opENS8_6detail16wrapped_functionINS0_4lessIvEEbEEEE10hipError_tPvRmT1_T2_T3_mmT4_T5_P12ihipStream_tbEUlRKdE_EESL_SP_SQ_mSR_SU_bEUlT_E_NS1_11comp_targetILNS1_3genE9ELNS1_11target_archE1100ELNS1_3gpuE3ELNS1_3repE0EEENS1_30default_config_static_selectorELNS0_4arch9wavefront6targetE0EEEvSO_,"axG",@progbits,_ZN7rocprim17ROCPRIM_400000_NS6detail17trampoline_kernelINS0_14default_configENS1_29binary_search_config_selectorIdbEEZNS1_14transform_implILb0ES3_S5_N6thrust23THRUST_200600_302600_NS17counting_iteratorIdNS8_11use_defaultESA_SA_EEPbZNS1_13binary_searchIS3_S5_PdSB_SC_NS1_16binary_search_opENS8_6detail16wrapped_functionINS0_4lessIvEEbEEEE10hipError_tPvRmT1_T2_T3_mmT4_T5_P12ihipStream_tbEUlRKdE_EESL_SP_SQ_mSR_SU_bEUlT_E_NS1_11comp_targetILNS1_3genE9ELNS1_11target_archE1100ELNS1_3gpuE3ELNS1_3repE0EEENS1_30default_config_static_selectorELNS0_4arch9wavefront6targetE0EEEvSO_,comdat
	.protected	_ZN7rocprim17ROCPRIM_400000_NS6detail17trampoline_kernelINS0_14default_configENS1_29binary_search_config_selectorIdbEEZNS1_14transform_implILb0ES3_S5_N6thrust23THRUST_200600_302600_NS17counting_iteratorIdNS8_11use_defaultESA_SA_EEPbZNS1_13binary_searchIS3_S5_PdSB_SC_NS1_16binary_search_opENS8_6detail16wrapped_functionINS0_4lessIvEEbEEEE10hipError_tPvRmT1_T2_T3_mmT4_T5_P12ihipStream_tbEUlRKdE_EESL_SP_SQ_mSR_SU_bEUlT_E_NS1_11comp_targetILNS1_3genE9ELNS1_11target_archE1100ELNS1_3gpuE3ELNS1_3repE0EEENS1_30default_config_static_selectorELNS0_4arch9wavefront6targetE0EEEvSO_ ; -- Begin function _ZN7rocprim17ROCPRIM_400000_NS6detail17trampoline_kernelINS0_14default_configENS1_29binary_search_config_selectorIdbEEZNS1_14transform_implILb0ES3_S5_N6thrust23THRUST_200600_302600_NS17counting_iteratorIdNS8_11use_defaultESA_SA_EEPbZNS1_13binary_searchIS3_S5_PdSB_SC_NS1_16binary_search_opENS8_6detail16wrapped_functionINS0_4lessIvEEbEEEE10hipError_tPvRmT1_T2_T3_mmT4_T5_P12ihipStream_tbEUlRKdE_EESL_SP_SQ_mSR_SU_bEUlT_E_NS1_11comp_targetILNS1_3genE9ELNS1_11target_archE1100ELNS1_3gpuE3ELNS1_3repE0EEENS1_30default_config_static_selectorELNS0_4arch9wavefront6targetE0EEEvSO_
	.globl	_ZN7rocprim17ROCPRIM_400000_NS6detail17trampoline_kernelINS0_14default_configENS1_29binary_search_config_selectorIdbEEZNS1_14transform_implILb0ES3_S5_N6thrust23THRUST_200600_302600_NS17counting_iteratorIdNS8_11use_defaultESA_SA_EEPbZNS1_13binary_searchIS3_S5_PdSB_SC_NS1_16binary_search_opENS8_6detail16wrapped_functionINS0_4lessIvEEbEEEE10hipError_tPvRmT1_T2_T3_mmT4_T5_P12ihipStream_tbEUlRKdE_EESL_SP_SQ_mSR_SU_bEUlT_E_NS1_11comp_targetILNS1_3genE9ELNS1_11target_archE1100ELNS1_3gpuE3ELNS1_3repE0EEENS1_30default_config_static_selectorELNS0_4arch9wavefront6targetE0EEEvSO_
	.p2align	8
	.type	_ZN7rocprim17ROCPRIM_400000_NS6detail17trampoline_kernelINS0_14default_configENS1_29binary_search_config_selectorIdbEEZNS1_14transform_implILb0ES3_S5_N6thrust23THRUST_200600_302600_NS17counting_iteratorIdNS8_11use_defaultESA_SA_EEPbZNS1_13binary_searchIS3_S5_PdSB_SC_NS1_16binary_search_opENS8_6detail16wrapped_functionINS0_4lessIvEEbEEEE10hipError_tPvRmT1_T2_T3_mmT4_T5_P12ihipStream_tbEUlRKdE_EESL_SP_SQ_mSR_SU_bEUlT_E_NS1_11comp_targetILNS1_3genE9ELNS1_11target_archE1100ELNS1_3gpuE3ELNS1_3repE0EEENS1_30default_config_static_selectorELNS0_4arch9wavefront6targetE0EEEvSO_,@function
_ZN7rocprim17ROCPRIM_400000_NS6detail17trampoline_kernelINS0_14default_configENS1_29binary_search_config_selectorIdbEEZNS1_14transform_implILb0ES3_S5_N6thrust23THRUST_200600_302600_NS17counting_iteratorIdNS8_11use_defaultESA_SA_EEPbZNS1_13binary_searchIS3_S5_PdSB_SC_NS1_16binary_search_opENS8_6detail16wrapped_functionINS0_4lessIvEEbEEEE10hipError_tPvRmT1_T2_T3_mmT4_T5_P12ihipStream_tbEUlRKdE_EESL_SP_SQ_mSR_SU_bEUlT_E_NS1_11comp_targetILNS1_3genE9ELNS1_11target_archE1100ELNS1_3gpuE3ELNS1_3repE0EEENS1_30default_config_static_selectorELNS0_4arch9wavefront6targetE0EEEvSO_: ; @_ZN7rocprim17ROCPRIM_400000_NS6detail17trampoline_kernelINS0_14default_configENS1_29binary_search_config_selectorIdbEEZNS1_14transform_implILb0ES3_S5_N6thrust23THRUST_200600_302600_NS17counting_iteratorIdNS8_11use_defaultESA_SA_EEPbZNS1_13binary_searchIS3_S5_PdSB_SC_NS1_16binary_search_opENS8_6detail16wrapped_functionINS0_4lessIvEEbEEEE10hipError_tPvRmT1_T2_T3_mmT4_T5_P12ihipStream_tbEUlRKdE_EESL_SP_SQ_mSR_SU_bEUlT_E_NS1_11comp_targetILNS1_3genE9ELNS1_11target_archE1100ELNS1_3gpuE3ELNS1_3repE0EEENS1_30default_config_static_selectorELNS0_4arch9wavefront6targetE0EEEvSO_
; %bb.0:
	s_clause 0x3
	s_load_b128 s[4:7], s[0:1], 0x0
	s_load_b128 s[16:19], s[0:1], 0x18
	s_load_b32 s2, s[0:1], 0x38
	s_load_b64 s[20:21], s[0:1], 0x28
	s_mov_b32 s24, 0
	s_waitcnt lgkmcnt(0)
	v_cvt_f64_i32_e32 v[1:2], s7
	v_cvt_f64_u32_e32 v[3:4], s6
	s_add_u32 s22, s16, s6
	s_addc_u32 s17, s17, s7
	s_lshl_b32 s23, s15, 10
	s_add_i32 s2, s2, -1
	s_delay_alu instid0(SALU_CYCLE_1) | instskip(SKIP_1) | instid1(VALU_DEP_2)
	s_cmp_lg_u32 s15, s2
	s_mov_b32 s2, -1
	v_ldexp_f64 v[1:2], v[1:2], 32
	s_delay_alu instid0(VALU_DEP_1) | instskip(SKIP_1) | instid1(VALU_DEP_2)
	v_add_f64 v[1:2], v[1:2], v[3:4]
	v_cvt_f64_u32_e32 v[3:4], s23
	v_add_f64 v[1:2], s[4:5], v[1:2]
	s_delay_alu instid0(VALU_DEP_1)
	v_add_f64 v[1:2], v[1:2], v[3:4]
	s_cbranch_scc0 .LBB177_98
; %bb.1:
	v_cvt_f64_u32_e32 v[3:4], v0
	v_mov_b32_e32 v5, 0
	v_mov_b32_e32 v6, 0
	s_cmp_lg_u64 s[20:21], 0
	s_cselect_b32 s4, -1, 0
	s_cmp_eq_u64 s[20:21], 0
	s_delay_alu instid0(VALU_DEP_3)
	v_add_f64 v[3:4], v[1:2], v[3:4]
	s_cbranch_scc1 .LBB177_5
; %bb.2:
	v_mov_b32_e32 v5, 0
	v_dual_mov_b32 v6, 0 :: v_dual_mov_b32 v7, s20
	v_mov_b32_e32 v8, s21
	s_mov_b32 s3, 0
	s_set_inst_prefetch_distance 0x1
	.p2align	6
.LBB177_3:                              ; =>This Inner Loop Header: Depth=1
	s_delay_alu instid0(VALU_DEP_2) | instskip(NEXT) | instid1(VALU_DEP_2)
	v_sub_co_u32 v9, vcc_lo, v7, v5
	v_sub_co_ci_u32_e32 v10, vcc_lo, v8, v6, vcc_lo
	s_delay_alu instid0(VALU_DEP_1) | instskip(SKIP_1) | instid1(VALU_DEP_2)
	v_lshrrev_b64 v[11:12], 1, v[9:10]
	v_lshrrev_b64 v[9:10], 6, v[9:10]
	v_add_co_u32 v11, vcc_lo, v11, v5
	s_delay_alu instid0(VALU_DEP_3) | instskip(NEXT) | instid1(VALU_DEP_2)
	v_add_co_ci_u32_e32 v12, vcc_lo, v12, v6, vcc_lo
	v_add_co_u32 v9, vcc_lo, v11, v9
	s_delay_alu instid0(VALU_DEP_2) | instskip(NEXT) | instid1(VALU_DEP_1)
	v_add_co_ci_u32_e32 v10, vcc_lo, v12, v10, vcc_lo
	v_lshlrev_b64 v[11:12], 3, v[9:10]
	s_delay_alu instid0(VALU_DEP_1) | instskip(NEXT) | instid1(VALU_DEP_2)
	v_add_co_u32 v11, vcc_lo, s18, v11
	v_add_co_ci_u32_e32 v12, vcc_lo, s19, v12, vcc_lo
	global_load_b64 v[11:12], v[11:12], off
	s_waitcnt vmcnt(0)
	v_cmp_lt_f64_e32 vcc_lo, v[11:12], v[3:4]
	v_add_co_u32 v11, s2, v9, 1
	s_delay_alu instid0(VALU_DEP_1) | instskip(SKIP_1) | instid1(VALU_DEP_2)
	v_add_co_ci_u32_e64 v12, s2, 0, v10, s2
	v_dual_cndmask_b32 v8, v10, v8 :: v_dual_cndmask_b32 v7, v9, v7
	v_dual_cndmask_b32 v6, v6, v12 :: v_dual_cndmask_b32 v5, v5, v11
	s_delay_alu instid0(VALU_DEP_1) | instskip(SKIP_1) | instid1(SALU_CYCLE_1)
	v_cmp_ge_u64_e32 vcc_lo, v[5:6], v[7:8]
	s_or_b32 s3, vcc_lo, s3
	s_and_not1_b32 exec_lo, exec_lo, s3
	s_cbranch_execnz .LBB177_3
; %bb.4:
	s_set_inst_prefetch_distance 0x2
	s_or_b32 exec_lo, exec_lo, s3
.LBB177_5:
	s_mov_b32 s3, 0
	s_mov_b32 s2, exec_lo
	v_cmpx_ne_u64_e64 s[20:21], v[5:6]
	s_cbranch_execz .LBB177_7
; %bb.6:
	v_lshlrev_b64 v[5:6], 3, v[5:6]
	s_delay_alu instid0(VALU_DEP_1) | instskip(NEXT) | instid1(VALU_DEP_2)
	v_add_co_u32 v5, vcc_lo, s18, v5
	v_add_co_ci_u32_e32 v6, vcc_lo, s19, v6, vcc_lo
	global_load_b64 v[5:6], v[5:6], off
	s_waitcnt vmcnt(0)
	v_cmp_ngt_f64_e32 vcc_lo, v[5:6], v[3:4]
	s_and_b32 s3, vcc_lo, exec_lo
.LBB177_7:
	s_or_b32 exec_lo, exec_lo, s2
	s_delay_alu instid0(VALU_DEP_2)
	v_add_f64 v[5:6], 0x40500000, v[3:4]
	v_mov_b32_e32 v7, 0
	v_cndmask_b32_e64 v11, 0, 1, s4
	v_mov_b32_e32 v8, 0
	s_and_not1_b32 vcc_lo, exec_lo, s4
	s_cbranch_vccnz .LBB177_11
; %bb.8:
	v_dual_mov_b32 v9, s20 :: v_dual_mov_b32 v10, s21
	s_mov_b32 s4, 0
	s_set_inst_prefetch_distance 0x1
	.p2align	6
.LBB177_9:                              ; =>This Inner Loop Header: Depth=1
	s_delay_alu instid0(VALU_DEP_1) | instskip(NEXT) | instid1(VALU_DEP_2)
	v_sub_co_u32 v12, vcc_lo, v9, v7
	v_sub_co_ci_u32_e32 v13, vcc_lo, v10, v8, vcc_lo
	s_delay_alu instid0(VALU_DEP_1) | instskip(SKIP_1) | instid1(VALU_DEP_2)
	v_lshrrev_b64 v[14:15], 1, v[12:13]
	v_lshrrev_b64 v[12:13], 6, v[12:13]
	v_add_co_u32 v14, vcc_lo, v14, v7
	s_delay_alu instid0(VALU_DEP_3) | instskip(NEXT) | instid1(VALU_DEP_2)
	v_add_co_ci_u32_e32 v15, vcc_lo, v15, v8, vcc_lo
	v_add_co_u32 v12, vcc_lo, v14, v12
	s_delay_alu instid0(VALU_DEP_2) | instskip(NEXT) | instid1(VALU_DEP_1)
	v_add_co_ci_u32_e32 v13, vcc_lo, v15, v13, vcc_lo
	v_lshlrev_b64 v[14:15], 3, v[12:13]
	s_delay_alu instid0(VALU_DEP_1) | instskip(NEXT) | instid1(VALU_DEP_2)
	v_add_co_u32 v14, vcc_lo, s18, v14
	v_add_co_ci_u32_e32 v15, vcc_lo, s19, v15, vcc_lo
	global_load_b64 v[14:15], v[14:15], off
	s_waitcnt vmcnt(0)
	v_cmp_lt_f64_e32 vcc_lo, v[14:15], v[5:6]
	v_add_co_u32 v14, s2, v12, 1
	s_delay_alu instid0(VALU_DEP_1) | instskip(SKIP_1) | instid1(VALU_DEP_2)
	v_add_co_ci_u32_e64 v15, s2, 0, v13, s2
	v_dual_cndmask_b32 v10, v13, v10 :: v_dual_cndmask_b32 v9, v12, v9
	v_dual_cndmask_b32 v8, v8, v15 :: v_dual_cndmask_b32 v7, v7, v14
	s_delay_alu instid0(VALU_DEP_1) | instskip(SKIP_1) | instid1(SALU_CYCLE_1)
	v_cmp_ge_u64_e32 vcc_lo, v[7:8], v[9:10]
	s_or_b32 s4, vcc_lo, s4
	s_and_not1_b32 exec_lo, exec_lo, s4
	s_cbranch_execnz .LBB177_9
; %bb.10:
	s_set_inst_prefetch_distance 0x2
	s_or_b32 exec_lo, exec_lo, s4
.LBB177_11:
	s_mov_b32 s4, 0
	s_mov_b32 s2, exec_lo
	v_cmpx_ne_u64_e64 s[20:21], v[7:8]
	s_cbranch_execz .LBB177_13
; %bb.12:
	v_lshlrev_b64 v[7:8], 3, v[7:8]
	s_delay_alu instid0(VALU_DEP_1) | instskip(NEXT) | instid1(VALU_DEP_2)
	v_add_co_u32 v7, vcc_lo, s18, v7
	v_add_co_ci_u32_e32 v8, vcc_lo, s19, v8, vcc_lo
	global_load_b64 v[7:8], v[7:8], off
	s_waitcnt vmcnt(0)
	v_cmp_ngt_f64_e32 vcc_lo, v[7:8], v[5:6]
	s_and_b32 s4, vcc_lo, exec_lo
.LBB177_13:
	s_or_b32 exec_lo, exec_lo, s2
	v_add_f64 v[5:6], 0x40600000, v[3:4]
	v_cmp_ne_u32_e32 vcc_lo, 1, v11
	v_mov_b32_e32 v7, 0
	v_mov_b32_e32 v8, 0
	s_cbranch_vccnz .LBB177_17
; %bb.14:
	v_dual_mov_b32 v9, s20 :: v_dual_mov_b32 v10, s21
	s_mov_b32 s5, 0
	s_set_inst_prefetch_distance 0x1
	.p2align	6
.LBB177_15:                             ; =>This Inner Loop Header: Depth=1
	s_delay_alu instid0(VALU_DEP_1) | instskip(NEXT) | instid1(VALU_DEP_2)
	v_sub_co_u32 v12, vcc_lo, v9, v7
	v_sub_co_ci_u32_e32 v13, vcc_lo, v10, v8, vcc_lo
	s_delay_alu instid0(VALU_DEP_1) | instskip(SKIP_1) | instid1(VALU_DEP_2)
	v_lshrrev_b64 v[14:15], 1, v[12:13]
	v_lshrrev_b64 v[12:13], 6, v[12:13]
	v_add_co_u32 v14, vcc_lo, v14, v7
	s_delay_alu instid0(VALU_DEP_3) | instskip(NEXT) | instid1(VALU_DEP_2)
	v_add_co_ci_u32_e32 v15, vcc_lo, v15, v8, vcc_lo
	v_add_co_u32 v12, vcc_lo, v14, v12
	s_delay_alu instid0(VALU_DEP_2) | instskip(NEXT) | instid1(VALU_DEP_1)
	v_add_co_ci_u32_e32 v13, vcc_lo, v15, v13, vcc_lo
	v_lshlrev_b64 v[14:15], 3, v[12:13]
	s_delay_alu instid0(VALU_DEP_1) | instskip(NEXT) | instid1(VALU_DEP_2)
	v_add_co_u32 v14, vcc_lo, s18, v14
	v_add_co_ci_u32_e32 v15, vcc_lo, s19, v15, vcc_lo
	global_load_b64 v[14:15], v[14:15], off
	s_waitcnt vmcnt(0)
	v_cmp_lt_f64_e32 vcc_lo, v[14:15], v[5:6]
	v_add_co_u32 v14, s2, v12, 1
	s_delay_alu instid0(VALU_DEP_1) | instskip(SKIP_1) | instid1(VALU_DEP_2)
	v_add_co_ci_u32_e64 v15, s2, 0, v13, s2
	v_dual_cndmask_b32 v10, v13, v10 :: v_dual_cndmask_b32 v9, v12, v9
	v_dual_cndmask_b32 v8, v8, v15 :: v_dual_cndmask_b32 v7, v7, v14
	s_delay_alu instid0(VALU_DEP_1) | instskip(SKIP_1) | instid1(SALU_CYCLE_1)
	v_cmp_ge_u64_e32 vcc_lo, v[7:8], v[9:10]
	s_or_b32 s5, vcc_lo, s5
	s_and_not1_b32 exec_lo, exec_lo, s5
	s_cbranch_execnz .LBB177_15
; %bb.16:
	s_set_inst_prefetch_distance 0x2
	s_or_b32 exec_lo, exec_lo, s5
.LBB177_17:
	s_mov_b32 s5, 0
	s_mov_b32 s2, exec_lo
	s_delay_alu instid0(VALU_DEP_1)
	v_cmpx_ne_u64_e64 s[20:21], v[7:8]
	s_cbranch_execz .LBB177_19
; %bb.18:
	v_lshlrev_b64 v[7:8], 3, v[7:8]
	s_delay_alu instid0(VALU_DEP_1) | instskip(NEXT) | instid1(VALU_DEP_2)
	v_add_co_u32 v7, vcc_lo, s18, v7
	v_add_co_ci_u32_e32 v8, vcc_lo, s19, v8, vcc_lo
	global_load_b64 v[7:8], v[7:8], off
	s_waitcnt vmcnt(0)
	v_cmp_ngt_f64_e32 vcc_lo, v[7:8], v[5:6]
	s_and_b32 s5, vcc_lo, exec_lo
.LBB177_19:
	s_or_b32 exec_lo, exec_lo, s2
	v_add_f64 v[5:6], 0x40680000, v[3:4]
	v_cmp_ne_u32_e32 vcc_lo, 1, v11
	v_mov_b32_e32 v7, 0
	v_mov_b32_e32 v8, 0
	s_cbranch_vccnz .LBB177_23
; %bb.20:
	v_dual_mov_b32 v9, s20 :: v_dual_mov_b32 v10, s21
	s_mov_b32 s6, 0
	s_set_inst_prefetch_distance 0x1
	.p2align	6
.LBB177_21:                             ; =>This Inner Loop Header: Depth=1
	s_delay_alu instid0(VALU_DEP_1) | instskip(NEXT) | instid1(VALU_DEP_2)
	v_sub_co_u32 v12, vcc_lo, v9, v7
	v_sub_co_ci_u32_e32 v13, vcc_lo, v10, v8, vcc_lo
	s_delay_alu instid0(VALU_DEP_1) | instskip(SKIP_1) | instid1(VALU_DEP_2)
	v_lshrrev_b64 v[14:15], 1, v[12:13]
	v_lshrrev_b64 v[12:13], 6, v[12:13]
	v_add_co_u32 v14, vcc_lo, v14, v7
	s_delay_alu instid0(VALU_DEP_3) | instskip(NEXT) | instid1(VALU_DEP_2)
	v_add_co_ci_u32_e32 v15, vcc_lo, v15, v8, vcc_lo
	v_add_co_u32 v12, vcc_lo, v14, v12
	s_delay_alu instid0(VALU_DEP_2) | instskip(NEXT) | instid1(VALU_DEP_1)
	v_add_co_ci_u32_e32 v13, vcc_lo, v15, v13, vcc_lo
	v_lshlrev_b64 v[14:15], 3, v[12:13]
	s_delay_alu instid0(VALU_DEP_1) | instskip(NEXT) | instid1(VALU_DEP_2)
	v_add_co_u32 v14, vcc_lo, s18, v14
	v_add_co_ci_u32_e32 v15, vcc_lo, s19, v15, vcc_lo
	global_load_b64 v[14:15], v[14:15], off
	s_waitcnt vmcnt(0)
	v_cmp_lt_f64_e32 vcc_lo, v[14:15], v[5:6]
	v_add_co_u32 v14, s2, v12, 1
	s_delay_alu instid0(VALU_DEP_1) | instskip(SKIP_1) | instid1(VALU_DEP_2)
	v_add_co_ci_u32_e64 v15, s2, 0, v13, s2
	v_dual_cndmask_b32 v10, v13, v10 :: v_dual_cndmask_b32 v9, v12, v9
	v_dual_cndmask_b32 v8, v8, v15 :: v_dual_cndmask_b32 v7, v7, v14
	s_delay_alu instid0(VALU_DEP_1) | instskip(SKIP_1) | instid1(SALU_CYCLE_1)
	v_cmp_ge_u64_e32 vcc_lo, v[7:8], v[9:10]
	s_or_b32 s6, vcc_lo, s6
	s_and_not1_b32 exec_lo, exec_lo, s6
	s_cbranch_execnz .LBB177_21
; %bb.22:
	s_set_inst_prefetch_distance 0x2
	s_or_b32 exec_lo, exec_lo, s6
.LBB177_23:
	s_mov_b32 s6, 0
	s_mov_b32 s2, exec_lo
	s_delay_alu instid0(VALU_DEP_1)
	v_cmpx_ne_u64_e64 s[20:21], v[7:8]
	s_cbranch_execz .LBB177_25
; %bb.24:
	v_lshlrev_b64 v[7:8], 3, v[7:8]
	s_delay_alu instid0(VALU_DEP_1) | instskip(NEXT) | instid1(VALU_DEP_2)
	v_add_co_u32 v7, vcc_lo, s18, v7
	v_add_co_ci_u32_e32 v8, vcc_lo, s19, v8, vcc_lo
	global_load_b64 v[7:8], v[7:8], off
	s_waitcnt vmcnt(0)
	v_cmp_ngt_f64_e32 vcc_lo, v[7:8], v[5:6]
	s_and_b32 s6, vcc_lo, exec_lo
.LBB177_25:
	s_or_b32 exec_lo, exec_lo, s2
	v_add_f64 v[5:6], 0x40700000, v[3:4]
	v_cmp_ne_u32_e32 vcc_lo, 1, v11
	v_mov_b32_e32 v7, 0
	v_mov_b32_e32 v8, 0
	s_cbranch_vccnz .LBB177_29
; %bb.26:
	v_dual_mov_b32 v9, s20 :: v_dual_mov_b32 v10, s21
	s_mov_b32 s7, 0
	s_set_inst_prefetch_distance 0x1
	.p2align	6
.LBB177_27:                             ; =>This Inner Loop Header: Depth=1
	s_delay_alu instid0(VALU_DEP_1) | instskip(NEXT) | instid1(VALU_DEP_2)
	v_sub_co_u32 v12, vcc_lo, v9, v7
	v_sub_co_ci_u32_e32 v13, vcc_lo, v10, v8, vcc_lo
	s_delay_alu instid0(VALU_DEP_1) | instskip(SKIP_1) | instid1(VALU_DEP_2)
	v_lshrrev_b64 v[14:15], 1, v[12:13]
	v_lshrrev_b64 v[12:13], 6, v[12:13]
	v_add_co_u32 v14, vcc_lo, v14, v7
	s_delay_alu instid0(VALU_DEP_3) | instskip(NEXT) | instid1(VALU_DEP_2)
	v_add_co_ci_u32_e32 v15, vcc_lo, v15, v8, vcc_lo
	v_add_co_u32 v12, vcc_lo, v14, v12
	s_delay_alu instid0(VALU_DEP_2) | instskip(NEXT) | instid1(VALU_DEP_1)
	v_add_co_ci_u32_e32 v13, vcc_lo, v15, v13, vcc_lo
	v_lshlrev_b64 v[14:15], 3, v[12:13]
	s_delay_alu instid0(VALU_DEP_1) | instskip(NEXT) | instid1(VALU_DEP_2)
	v_add_co_u32 v14, vcc_lo, s18, v14
	v_add_co_ci_u32_e32 v15, vcc_lo, s19, v15, vcc_lo
	global_load_b64 v[14:15], v[14:15], off
	s_waitcnt vmcnt(0)
	v_cmp_lt_f64_e32 vcc_lo, v[14:15], v[5:6]
	v_add_co_u32 v14, s2, v12, 1
	s_delay_alu instid0(VALU_DEP_1) | instskip(SKIP_1) | instid1(VALU_DEP_2)
	v_add_co_ci_u32_e64 v15, s2, 0, v13, s2
	v_dual_cndmask_b32 v10, v13, v10 :: v_dual_cndmask_b32 v9, v12, v9
	v_dual_cndmask_b32 v8, v8, v15 :: v_dual_cndmask_b32 v7, v7, v14
	s_delay_alu instid0(VALU_DEP_1) | instskip(SKIP_1) | instid1(SALU_CYCLE_1)
	v_cmp_ge_u64_e32 vcc_lo, v[7:8], v[9:10]
	s_or_b32 s7, vcc_lo, s7
	s_and_not1_b32 exec_lo, exec_lo, s7
	s_cbranch_execnz .LBB177_27
; %bb.28:
	s_set_inst_prefetch_distance 0x2
	s_or_b32 exec_lo, exec_lo, s7
.LBB177_29:
	s_mov_b32 s7, 0
	s_mov_b32 s2, exec_lo
	s_delay_alu instid0(VALU_DEP_1)
	v_cmpx_ne_u64_e64 s[20:21], v[7:8]
	s_cbranch_execz .LBB177_31
; %bb.30:
	v_lshlrev_b64 v[7:8], 3, v[7:8]
	s_delay_alu instid0(VALU_DEP_1) | instskip(NEXT) | instid1(VALU_DEP_2)
	v_add_co_u32 v7, vcc_lo, s18, v7
	v_add_co_ci_u32_e32 v8, vcc_lo, s19, v8, vcc_lo
	global_load_b64 v[7:8], v[7:8], off
	s_waitcnt vmcnt(0)
	v_cmp_ngt_f64_e32 vcc_lo, v[7:8], v[5:6]
	s_and_b32 s7, vcc_lo, exec_lo
.LBB177_31:
	s_or_b32 exec_lo, exec_lo, s2
	v_add_f64 v[5:6], 0x40740000, v[3:4]
	v_cmp_ne_u32_e32 vcc_lo, 1, v11
	v_mov_b32_e32 v7, 0
	v_mov_b32_e32 v8, 0
	s_cbranch_vccnz .LBB177_35
; %bb.32:
	v_dual_mov_b32 v9, s20 :: v_dual_mov_b32 v10, s21
	s_mov_b32 s8, 0
	s_set_inst_prefetch_distance 0x1
	.p2align	6
.LBB177_33:                             ; =>This Inner Loop Header: Depth=1
	s_delay_alu instid0(VALU_DEP_1) | instskip(NEXT) | instid1(VALU_DEP_2)
	v_sub_co_u32 v12, vcc_lo, v9, v7
	v_sub_co_ci_u32_e32 v13, vcc_lo, v10, v8, vcc_lo
	s_delay_alu instid0(VALU_DEP_1) | instskip(SKIP_1) | instid1(VALU_DEP_2)
	v_lshrrev_b64 v[14:15], 1, v[12:13]
	v_lshrrev_b64 v[12:13], 6, v[12:13]
	v_add_co_u32 v14, vcc_lo, v14, v7
	s_delay_alu instid0(VALU_DEP_3) | instskip(NEXT) | instid1(VALU_DEP_2)
	v_add_co_ci_u32_e32 v15, vcc_lo, v15, v8, vcc_lo
	v_add_co_u32 v12, vcc_lo, v14, v12
	s_delay_alu instid0(VALU_DEP_2) | instskip(NEXT) | instid1(VALU_DEP_1)
	v_add_co_ci_u32_e32 v13, vcc_lo, v15, v13, vcc_lo
	v_lshlrev_b64 v[14:15], 3, v[12:13]
	s_delay_alu instid0(VALU_DEP_1) | instskip(NEXT) | instid1(VALU_DEP_2)
	v_add_co_u32 v14, vcc_lo, s18, v14
	v_add_co_ci_u32_e32 v15, vcc_lo, s19, v15, vcc_lo
	global_load_b64 v[14:15], v[14:15], off
	s_waitcnt vmcnt(0)
	v_cmp_lt_f64_e32 vcc_lo, v[14:15], v[5:6]
	v_add_co_u32 v14, s2, v12, 1
	s_delay_alu instid0(VALU_DEP_1) | instskip(SKIP_1) | instid1(VALU_DEP_2)
	v_add_co_ci_u32_e64 v15, s2, 0, v13, s2
	v_dual_cndmask_b32 v10, v13, v10 :: v_dual_cndmask_b32 v9, v12, v9
	v_dual_cndmask_b32 v8, v8, v15 :: v_dual_cndmask_b32 v7, v7, v14
	s_delay_alu instid0(VALU_DEP_1) | instskip(SKIP_1) | instid1(SALU_CYCLE_1)
	v_cmp_ge_u64_e32 vcc_lo, v[7:8], v[9:10]
	s_or_b32 s8, vcc_lo, s8
	s_and_not1_b32 exec_lo, exec_lo, s8
	s_cbranch_execnz .LBB177_33
; %bb.34:
	s_set_inst_prefetch_distance 0x2
	s_or_b32 exec_lo, exec_lo, s8
.LBB177_35:
	s_mov_b32 s8, 0
	s_mov_b32 s2, exec_lo
	s_delay_alu instid0(VALU_DEP_1)
	v_cmpx_ne_u64_e64 s[20:21], v[7:8]
	s_cbranch_execz .LBB177_37
; %bb.36:
	v_lshlrev_b64 v[7:8], 3, v[7:8]
	s_delay_alu instid0(VALU_DEP_1) | instskip(NEXT) | instid1(VALU_DEP_2)
	v_add_co_u32 v7, vcc_lo, s18, v7
	v_add_co_ci_u32_e32 v8, vcc_lo, s19, v8, vcc_lo
	global_load_b64 v[7:8], v[7:8], off
	s_waitcnt vmcnt(0)
	v_cmp_ngt_f64_e32 vcc_lo, v[7:8], v[5:6]
	s_and_b32 s8, vcc_lo, exec_lo
.LBB177_37:
	s_or_b32 exec_lo, exec_lo, s2
	v_add_f64 v[5:6], 0x40780000, v[3:4]
	v_cmp_ne_u32_e32 vcc_lo, 1, v11
	v_mov_b32_e32 v7, 0
	v_mov_b32_e32 v8, 0
	s_cbranch_vccnz .LBB177_41
; %bb.38:
	v_dual_mov_b32 v9, s20 :: v_dual_mov_b32 v10, s21
	s_mov_b32 s9, 0
	s_set_inst_prefetch_distance 0x1
	.p2align	6
.LBB177_39:                             ; =>This Inner Loop Header: Depth=1
	s_delay_alu instid0(VALU_DEP_1) | instskip(NEXT) | instid1(VALU_DEP_2)
	v_sub_co_u32 v12, vcc_lo, v9, v7
	v_sub_co_ci_u32_e32 v13, vcc_lo, v10, v8, vcc_lo
	s_delay_alu instid0(VALU_DEP_1) | instskip(SKIP_1) | instid1(VALU_DEP_2)
	v_lshrrev_b64 v[14:15], 1, v[12:13]
	v_lshrrev_b64 v[12:13], 6, v[12:13]
	v_add_co_u32 v14, vcc_lo, v14, v7
	s_delay_alu instid0(VALU_DEP_3) | instskip(NEXT) | instid1(VALU_DEP_2)
	v_add_co_ci_u32_e32 v15, vcc_lo, v15, v8, vcc_lo
	v_add_co_u32 v12, vcc_lo, v14, v12
	s_delay_alu instid0(VALU_DEP_2) | instskip(NEXT) | instid1(VALU_DEP_1)
	v_add_co_ci_u32_e32 v13, vcc_lo, v15, v13, vcc_lo
	v_lshlrev_b64 v[14:15], 3, v[12:13]
	s_delay_alu instid0(VALU_DEP_1) | instskip(NEXT) | instid1(VALU_DEP_2)
	v_add_co_u32 v14, vcc_lo, s18, v14
	v_add_co_ci_u32_e32 v15, vcc_lo, s19, v15, vcc_lo
	global_load_b64 v[14:15], v[14:15], off
	s_waitcnt vmcnt(0)
	v_cmp_lt_f64_e32 vcc_lo, v[14:15], v[5:6]
	v_add_co_u32 v14, s2, v12, 1
	s_delay_alu instid0(VALU_DEP_1) | instskip(SKIP_1) | instid1(VALU_DEP_2)
	v_add_co_ci_u32_e64 v15, s2, 0, v13, s2
	v_dual_cndmask_b32 v10, v13, v10 :: v_dual_cndmask_b32 v9, v12, v9
	v_dual_cndmask_b32 v8, v8, v15 :: v_dual_cndmask_b32 v7, v7, v14
	s_delay_alu instid0(VALU_DEP_1) | instskip(SKIP_1) | instid1(SALU_CYCLE_1)
	v_cmp_ge_u64_e32 vcc_lo, v[7:8], v[9:10]
	s_or_b32 s9, vcc_lo, s9
	s_and_not1_b32 exec_lo, exec_lo, s9
	s_cbranch_execnz .LBB177_39
; %bb.40:
	s_set_inst_prefetch_distance 0x2
	s_or_b32 exec_lo, exec_lo, s9
.LBB177_41:
	s_mov_b32 s9, 0
	s_mov_b32 s2, exec_lo
	s_delay_alu instid0(VALU_DEP_1)
	v_cmpx_ne_u64_e64 s[20:21], v[7:8]
	s_cbranch_execz .LBB177_43
; %bb.42:
	v_lshlrev_b64 v[7:8], 3, v[7:8]
	s_delay_alu instid0(VALU_DEP_1) | instskip(NEXT) | instid1(VALU_DEP_2)
	v_add_co_u32 v7, vcc_lo, s18, v7
	v_add_co_ci_u32_e32 v8, vcc_lo, s19, v8, vcc_lo
	global_load_b64 v[7:8], v[7:8], off
	s_waitcnt vmcnt(0)
	v_cmp_ngt_f64_e32 vcc_lo, v[7:8], v[5:6]
	s_and_b32 s9, vcc_lo, exec_lo
.LBB177_43:
	s_or_b32 exec_lo, exec_lo, s2
	v_add_f64 v[5:6], 0x407c0000, v[3:4]
	v_cmp_ne_u32_e32 vcc_lo, 1, v11
	v_mov_b32_e32 v7, 0
	v_mov_b32_e32 v8, 0
	s_cbranch_vccnz .LBB177_47
; %bb.44:
	v_dual_mov_b32 v9, s20 :: v_dual_mov_b32 v10, s21
	s_mov_b32 s10, 0
	s_set_inst_prefetch_distance 0x1
	.p2align	6
.LBB177_45:                             ; =>This Inner Loop Header: Depth=1
	s_delay_alu instid0(VALU_DEP_1) | instskip(NEXT) | instid1(VALU_DEP_2)
	v_sub_co_u32 v12, vcc_lo, v9, v7
	v_sub_co_ci_u32_e32 v13, vcc_lo, v10, v8, vcc_lo
	s_delay_alu instid0(VALU_DEP_1) | instskip(SKIP_1) | instid1(VALU_DEP_2)
	v_lshrrev_b64 v[14:15], 1, v[12:13]
	v_lshrrev_b64 v[12:13], 6, v[12:13]
	v_add_co_u32 v14, vcc_lo, v14, v7
	s_delay_alu instid0(VALU_DEP_3) | instskip(NEXT) | instid1(VALU_DEP_2)
	v_add_co_ci_u32_e32 v15, vcc_lo, v15, v8, vcc_lo
	v_add_co_u32 v12, vcc_lo, v14, v12
	s_delay_alu instid0(VALU_DEP_2) | instskip(NEXT) | instid1(VALU_DEP_1)
	v_add_co_ci_u32_e32 v13, vcc_lo, v15, v13, vcc_lo
	v_lshlrev_b64 v[14:15], 3, v[12:13]
	s_delay_alu instid0(VALU_DEP_1) | instskip(NEXT) | instid1(VALU_DEP_2)
	v_add_co_u32 v14, vcc_lo, s18, v14
	v_add_co_ci_u32_e32 v15, vcc_lo, s19, v15, vcc_lo
	global_load_b64 v[14:15], v[14:15], off
	s_waitcnt vmcnt(0)
	v_cmp_lt_f64_e32 vcc_lo, v[14:15], v[5:6]
	v_add_co_u32 v14, s2, v12, 1
	s_delay_alu instid0(VALU_DEP_1) | instskip(SKIP_1) | instid1(VALU_DEP_2)
	v_add_co_ci_u32_e64 v15, s2, 0, v13, s2
	v_dual_cndmask_b32 v10, v13, v10 :: v_dual_cndmask_b32 v9, v12, v9
	v_dual_cndmask_b32 v8, v8, v15 :: v_dual_cndmask_b32 v7, v7, v14
	s_delay_alu instid0(VALU_DEP_1) | instskip(SKIP_1) | instid1(SALU_CYCLE_1)
	v_cmp_ge_u64_e32 vcc_lo, v[7:8], v[9:10]
	s_or_b32 s10, vcc_lo, s10
	s_and_not1_b32 exec_lo, exec_lo, s10
	s_cbranch_execnz .LBB177_45
; %bb.46:
	s_set_inst_prefetch_distance 0x2
	s_or_b32 exec_lo, exec_lo, s10
.LBB177_47:
	s_mov_b32 s10, 0
	s_mov_b32 s2, exec_lo
	s_delay_alu instid0(VALU_DEP_1)
	v_cmpx_ne_u64_e64 s[20:21], v[7:8]
	s_cbranch_execz .LBB177_49
; %bb.48:
	v_lshlrev_b64 v[7:8], 3, v[7:8]
	s_delay_alu instid0(VALU_DEP_1) | instskip(NEXT) | instid1(VALU_DEP_2)
	v_add_co_u32 v7, vcc_lo, s18, v7
	v_add_co_ci_u32_e32 v8, vcc_lo, s19, v8, vcc_lo
	global_load_b64 v[7:8], v[7:8], off
	s_waitcnt vmcnt(0)
	v_cmp_ngt_f64_e32 vcc_lo, v[7:8], v[5:6]
	s_and_b32 s10, vcc_lo, exec_lo
.LBB177_49:
	s_or_b32 exec_lo, exec_lo, s2
	v_add_f64 v[5:6], 0x40800000, v[3:4]
	v_cmp_ne_u32_e32 vcc_lo, 1, v11
	v_mov_b32_e32 v7, 0
	v_mov_b32_e32 v8, 0
	s_cbranch_vccnz .LBB177_53
; %bb.50:
	v_dual_mov_b32 v9, s20 :: v_dual_mov_b32 v10, s21
	s_mov_b32 s11, 0
	s_set_inst_prefetch_distance 0x1
	.p2align	6
.LBB177_51:                             ; =>This Inner Loop Header: Depth=1
	s_delay_alu instid0(VALU_DEP_1) | instskip(NEXT) | instid1(VALU_DEP_2)
	v_sub_co_u32 v12, vcc_lo, v9, v7
	v_sub_co_ci_u32_e32 v13, vcc_lo, v10, v8, vcc_lo
	s_delay_alu instid0(VALU_DEP_1) | instskip(SKIP_1) | instid1(VALU_DEP_2)
	v_lshrrev_b64 v[14:15], 1, v[12:13]
	v_lshrrev_b64 v[12:13], 6, v[12:13]
	v_add_co_u32 v14, vcc_lo, v14, v7
	s_delay_alu instid0(VALU_DEP_3) | instskip(NEXT) | instid1(VALU_DEP_2)
	v_add_co_ci_u32_e32 v15, vcc_lo, v15, v8, vcc_lo
	v_add_co_u32 v12, vcc_lo, v14, v12
	s_delay_alu instid0(VALU_DEP_2) | instskip(NEXT) | instid1(VALU_DEP_1)
	v_add_co_ci_u32_e32 v13, vcc_lo, v15, v13, vcc_lo
	v_lshlrev_b64 v[14:15], 3, v[12:13]
	s_delay_alu instid0(VALU_DEP_1) | instskip(NEXT) | instid1(VALU_DEP_2)
	v_add_co_u32 v14, vcc_lo, s18, v14
	v_add_co_ci_u32_e32 v15, vcc_lo, s19, v15, vcc_lo
	global_load_b64 v[14:15], v[14:15], off
	s_waitcnt vmcnt(0)
	v_cmp_lt_f64_e32 vcc_lo, v[14:15], v[5:6]
	v_add_co_u32 v14, s2, v12, 1
	s_delay_alu instid0(VALU_DEP_1) | instskip(SKIP_1) | instid1(VALU_DEP_2)
	v_add_co_ci_u32_e64 v15, s2, 0, v13, s2
	v_dual_cndmask_b32 v10, v13, v10 :: v_dual_cndmask_b32 v9, v12, v9
	v_dual_cndmask_b32 v8, v8, v15 :: v_dual_cndmask_b32 v7, v7, v14
	s_delay_alu instid0(VALU_DEP_1) | instskip(SKIP_1) | instid1(SALU_CYCLE_1)
	v_cmp_ge_u64_e32 vcc_lo, v[7:8], v[9:10]
	s_or_b32 s11, vcc_lo, s11
	s_and_not1_b32 exec_lo, exec_lo, s11
	s_cbranch_execnz .LBB177_51
; %bb.52:
	s_set_inst_prefetch_distance 0x2
	s_or_b32 exec_lo, exec_lo, s11
.LBB177_53:
	s_mov_b32 s11, 0
	s_mov_b32 s2, exec_lo
	s_delay_alu instid0(VALU_DEP_1)
	v_cmpx_ne_u64_e64 s[20:21], v[7:8]
	s_cbranch_execz .LBB177_55
; %bb.54:
	v_lshlrev_b64 v[7:8], 3, v[7:8]
	s_delay_alu instid0(VALU_DEP_1) | instskip(NEXT) | instid1(VALU_DEP_2)
	v_add_co_u32 v7, vcc_lo, s18, v7
	v_add_co_ci_u32_e32 v8, vcc_lo, s19, v8, vcc_lo
	global_load_b64 v[7:8], v[7:8], off
	s_waitcnt vmcnt(0)
	v_cmp_ngt_f64_e32 vcc_lo, v[7:8], v[5:6]
	s_and_b32 s11, vcc_lo, exec_lo
.LBB177_55:
	s_or_b32 exec_lo, exec_lo, s2
	v_add_f64 v[5:6], 0x40820000, v[3:4]
	v_cmp_ne_u32_e32 vcc_lo, 1, v11
	v_mov_b32_e32 v7, 0
	v_mov_b32_e32 v8, 0
	s_cbranch_vccnz .LBB177_59
; %bb.56:
	v_dual_mov_b32 v9, s20 :: v_dual_mov_b32 v10, s21
	s_mov_b32 s12, 0
	s_set_inst_prefetch_distance 0x1
	.p2align	6
.LBB177_57:                             ; =>This Inner Loop Header: Depth=1
	s_delay_alu instid0(VALU_DEP_1) | instskip(NEXT) | instid1(VALU_DEP_2)
	v_sub_co_u32 v12, vcc_lo, v9, v7
	v_sub_co_ci_u32_e32 v13, vcc_lo, v10, v8, vcc_lo
	s_delay_alu instid0(VALU_DEP_1) | instskip(SKIP_1) | instid1(VALU_DEP_2)
	v_lshrrev_b64 v[14:15], 1, v[12:13]
	v_lshrrev_b64 v[12:13], 6, v[12:13]
	v_add_co_u32 v14, vcc_lo, v14, v7
	s_delay_alu instid0(VALU_DEP_3) | instskip(NEXT) | instid1(VALU_DEP_2)
	v_add_co_ci_u32_e32 v15, vcc_lo, v15, v8, vcc_lo
	v_add_co_u32 v12, vcc_lo, v14, v12
	s_delay_alu instid0(VALU_DEP_2) | instskip(NEXT) | instid1(VALU_DEP_1)
	v_add_co_ci_u32_e32 v13, vcc_lo, v15, v13, vcc_lo
	v_lshlrev_b64 v[14:15], 3, v[12:13]
	s_delay_alu instid0(VALU_DEP_1) | instskip(NEXT) | instid1(VALU_DEP_2)
	v_add_co_u32 v14, vcc_lo, s18, v14
	v_add_co_ci_u32_e32 v15, vcc_lo, s19, v15, vcc_lo
	global_load_b64 v[14:15], v[14:15], off
	s_waitcnt vmcnt(0)
	v_cmp_lt_f64_e32 vcc_lo, v[14:15], v[5:6]
	v_add_co_u32 v14, s2, v12, 1
	s_delay_alu instid0(VALU_DEP_1) | instskip(SKIP_1) | instid1(VALU_DEP_2)
	v_add_co_ci_u32_e64 v15, s2, 0, v13, s2
	v_dual_cndmask_b32 v10, v13, v10 :: v_dual_cndmask_b32 v9, v12, v9
	v_dual_cndmask_b32 v8, v8, v15 :: v_dual_cndmask_b32 v7, v7, v14
	s_delay_alu instid0(VALU_DEP_1) | instskip(SKIP_1) | instid1(SALU_CYCLE_1)
	v_cmp_ge_u64_e32 vcc_lo, v[7:8], v[9:10]
	s_or_b32 s12, vcc_lo, s12
	s_and_not1_b32 exec_lo, exec_lo, s12
	s_cbranch_execnz .LBB177_57
; %bb.58:
	s_set_inst_prefetch_distance 0x2
	s_or_b32 exec_lo, exec_lo, s12
.LBB177_59:
	s_mov_b32 s12, 0
	s_mov_b32 s2, exec_lo
	s_delay_alu instid0(VALU_DEP_1)
	v_cmpx_ne_u64_e64 s[20:21], v[7:8]
	s_cbranch_execz .LBB177_61
; %bb.60:
	v_lshlrev_b64 v[7:8], 3, v[7:8]
	s_delay_alu instid0(VALU_DEP_1) | instskip(NEXT) | instid1(VALU_DEP_2)
	v_add_co_u32 v7, vcc_lo, s18, v7
	v_add_co_ci_u32_e32 v8, vcc_lo, s19, v8, vcc_lo
	global_load_b64 v[7:8], v[7:8], off
	s_waitcnt vmcnt(0)
	v_cmp_ngt_f64_e32 vcc_lo, v[7:8], v[5:6]
	s_and_b32 s12, vcc_lo, exec_lo
.LBB177_61:
	s_or_b32 exec_lo, exec_lo, s2
	v_add_f64 v[5:6], 0x40840000, v[3:4]
	v_cmp_ne_u32_e32 vcc_lo, 1, v11
	v_mov_b32_e32 v7, 0
	v_mov_b32_e32 v8, 0
	s_cbranch_vccnz .LBB177_65
; %bb.62:
	v_dual_mov_b32 v9, s20 :: v_dual_mov_b32 v10, s21
	s_mov_b32 s13, 0
	s_set_inst_prefetch_distance 0x1
	.p2align	6
.LBB177_63:                             ; =>This Inner Loop Header: Depth=1
	s_delay_alu instid0(VALU_DEP_1) | instskip(NEXT) | instid1(VALU_DEP_2)
	v_sub_co_u32 v12, vcc_lo, v9, v7
	v_sub_co_ci_u32_e32 v13, vcc_lo, v10, v8, vcc_lo
	s_delay_alu instid0(VALU_DEP_1) | instskip(SKIP_1) | instid1(VALU_DEP_2)
	v_lshrrev_b64 v[14:15], 1, v[12:13]
	v_lshrrev_b64 v[12:13], 6, v[12:13]
	v_add_co_u32 v14, vcc_lo, v14, v7
	s_delay_alu instid0(VALU_DEP_3) | instskip(NEXT) | instid1(VALU_DEP_2)
	v_add_co_ci_u32_e32 v15, vcc_lo, v15, v8, vcc_lo
	v_add_co_u32 v12, vcc_lo, v14, v12
	s_delay_alu instid0(VALU_DEP_2) | instskip(NEXT) | instid1(VALU_DEP_1)
	v_add_co_ci_u32_e32 v13, vcc_lo, v15, v13, vcc_lo
	v_lshlrev_b64 v[14:15], 3, v[12:13]
	s_delay_alu instid0(VALU_DEP_1) | instskip(NEXT) | instid1(VALU_DEP_2)
	v_add_co_u32 v14, vcc_lo, s18, v14
	v_add_co_ci_u32_e32 v15, vcc_lo, s19, v15, vcc_lo
	global_load_b64 v[14:15], v[14:15], off
	s_waitcnt vmcnt(0)
	v_cmp_lt_f64_e32 vcc_lo, v[14:15], v[5:6]
	v_add_co_u32 v14, s2, v12, 1
	s_delay_alu instid0(VALU_DEP_1) | instskip(SKIP_1) | instid1(VALU_DEP_2)
	v_add_co_ci_u32_e64 v15, s2, 0, v13, s2
	v_dual_cndmask_b32 v10, v13, v10 :: v_dual_cndmask_b32 v9, v12, v9
	v_dual_cndmask_b32 v8, v8, v15 :: v_dual_cndmask_b32 v7, v7, v14
	s_delay_alu instid0(VALU_DEP_1) | instskip(SKIP_1) | instid1(SALU_CYCLE_1)
	v_cmp_ge_u64_e32 vcc_lo, v[7:8], v[9:10]
	s_or_b32 s13, vcc_lo, s13
	s_and_not1_b32 exec_lo, exec_lo, s13
	s_cbranch_execnz .LBB177_63
; %bb.64:
	s_set_inst_prefetch_distance 0x2
	s_or_b32 exec_lo, exec_lo, s13
.LBB177_65:
	s_mov_b32 s13, 0
	s_mov_b32 s2, exec_lo
	s_delay_alu instid0(VALU_DEP_1)
	v_cmpx_ne_u64_e64 s[20:21], v[7:8]
	s_cbranch_execz .LBB177_67
; %bb.66:
	v_lshlrev_b64 v[7:8], 3, v[7:8]
	s_delay_alu instid0(VALU_DEP_1) | instskip(NEXT) | instid1(VALU_DEP_2)
	v_add_co_u32 v7, vcc_lo, s18, v7
	v_add_co_ci_u32_e32 v8, vcc_lo, s19, v8, vcc_lo
	global_load_b64 v[7:8], v[7:8], off
	s_waitcnt vmcnt(0)
	v_cmp_ngt_f64_e32 vcc_lo, v[7:8], v[5:6]
	s_and_b32 s13, vcc_lo, exec_lo
.LBB177_67:
	s_or_b32 exec_lo, exec_lo, s2
	v_add_f64 v[5:6], 0x40860000, v[3:4]
	v_cmp_ne_u32_e32 vcc_lo, 1, v11
	v_mov_b32_e32 v7, 0
	v_mov_b32_e32 v8, 0
	s_cbranch_vccnz .LBB177_71
; %bb.68:
	v_dual_mov_b32 v9, s20 :: v_dual_mov_b32 v10, s21
	s_mov_b32 s14, 0
	s_set_inst_prefetch_distance 0x1
	.p2align	6
.LBB177_69:                             ; =>This Inner Loop Header: Depth=1
	s_delay_alu instid0(VALU_DEP_1) | instskip(NEXT) | instid1(VALU_DEP_2)
	v_sub_co_u32 v12, vcc_lo, v9, v7
	v_sub_co_ci_u32_e32 v13, vcc_lo, v10, v8, vcc_lo
	s_delay_alu instid0(VALU_DEP_1) | instskip(SKIP_1) | instid1(VALU_DEP_2)
	v_lshrrev_b64 v[14:15], 1, v[12:13]
	v_lshrrev_b64 v[12:13], 6, v[12:13]
	v_add_co_u32 v14, vcc_lo, v14, v7
	s_delay_alu instid0(VALU_DEP_3) | instskip(NEXT) | instid1(VALU_DEP_2)
	v_add_co_ci_u32_e32 v15, vcc_lo, v15, v8, vcc_lo
	v_add_co_u32 v12, vcc_lo, v14, v12
	s_delay_alu instid0(VALU_DEP_2) | instskip(NEXT) | instid1(VALU_DEP_1)
	v_add_co_ci_u32_e32 v13, vcc_lo, v15, v13, vcc_lo
	v_lshlrev_b64 v[14:15], 3, v[12:13]
	s_delay_alu instid0(VALU_DEP_1) | instskip(NEXT) | instid1(VALU_DEP_2)
	v_add_co_u32 v14, vcc_lo, s18, v14
	v_add_co_ci_u32_e32 v15, vcc_lo, s19, v15, vcc_lo
	global_load_b64 v[14:15], v[14:15], off
	s_waitcnt vmcnt(0)
	v_cmp_lt_f64_e32 vcc_lo, v[14:15], v[5:6]
	v_add_co_u32 v14, s2, v12, 1
	s_delay_alu instid0(VALU_DEP_1) | instskip(SKIP_1) | instid1(VALU_DEP_2)
	v_add_co_ci_u32_e64 v15, s2, 0, v13, s2
	v_dual_cndmask_b32 v10, v13, v10 :: v_dual_cndmask_b32 v9, v12, v9
	v_dual_cndmask_b32 v8, v8, v15 :: v_dual_cndmask_b32 v7, v7, v14
	s_delay_alu instid0(VALU_DEP_1) | instskip(SKIP_1) | instid1(SALU_CYCLE_1)
	v_cmp_ge_u64_e32 vcc_lo, v[7:8], v[9:10]
	s_or_b32 s14, vcc_lo, s14
	s_and_not1_b32 exec_lo, exec_lo, s14
	s_cbranch_execnz .LBB177_69
; %bb.70:
	s_set_inst_prefetch_distance 0x2
	s_or_b32 exec_lo, exec_lo, s14
.LBB177_71:
	s_mov_b32 s14, 0
	s_mov_b32 s2, exec_lo
	s_delay_alu instid0(VALU_DEP_1)
	v_cmpx_ne_u64_e64 s[20:21], v[7:8]
	s_cbranch_execz .LBB177_73
; %bb.72:
	v_lshlrev_b64 v[7:8], 3, v[7:8]
	s_delay_alu instid0(VALU_DEP_1) | instskip(NEXT) | instid1(VALU_DEP_2)
	v_add_co_u32 v7, vcc_lo, s18, v7
	v_add_co_ci_u32_e32 v8, vcc_lo, s19, v8, vcc_lo
	global_load_b64 v[7:8], v[7:8], off
	s_waitcnt vmcnt(0)
	v_cmp_ngt_f64_e32 vcc_lo, v[7:8], v[5:6]
	s_and_b32 s14, vcc_lo, exec_lo
.LBB177_73:
	s_or_b32 exec_lo, exec_lo, s2
	v_add_f64 v[5:6], 0x40880000, v[3:4]
	v_cmp_ne_u32_e32 vcc_lo, 1, v11
	v_mov_b32_e32 v7, 0
	v_mov_b32_e32 v8, 0
	s_cbranch_vccnz .LBB177_77
; %bb.74:
	v_dual_mov_b32 v9, s20 :: v_dual_mov_b32 v10, s21
	s_mov_b32 s15, 0
	s_set_inst_prefetch_distance 0x1
	.p2align	6
.LBB177_75:                             ; =>This Inner Loop Header: Depth=1
	s_delay_alu instid0(VALU_DEP_1) | instskip(NEXT) | instid1(VALU_DEP_2)
	v_sub_co_u32 v12, vcc_lo, v9, v7
	v_sub_co_ci_u32_e32 v13, vcc_lo, v10, v8, vcc_lo
	s_delay_alu instid0(VALU_DEP_1) | instskip(SKIP_1) | instid1(VALU_DEP_2)
	v_lshrrev_b64 v[14:15], 1, v[12:13]
	v_lshrrev_b64 v[12:13], 6, v[12:13]
	v_add_co_u32 v14, vcc_lo, v14, v7
	s_delay_alu instid0(VALU_DEP_3) | instskip(NEXT) | instid1(VALU_DEP_2)
	v_add_co_ci_u32_e32 v15, vcc_lo, v15, v8, vcc_lo
	v_add_co_u32 v12, vcc_lo, v14, v12
	s_delay_alu instid0(VALU_DEP_2) | instskip(NEXT) | instid1(VALU_DEP_1)
	v_add_co_ci_u32_e32 v13, vcc_lo, v15, v13, vcc_lo
	v_lshlrev_b64 v[14:15], 3, v[12:13]
	s_delay_alu instid0(VALU_DEP_1) | instskip(NEXT) | instid1(VALU_DEP_2)
	v_add_co_u32 v14, vcc_lo, s18, v14
	v_add_co_ci_u32_e32 v15, vcc_lo, s19, v15, vcc_lo
	global_load_b64 v[14:15], v[14:15], off
	s_waitcnt vmcnt(0)
	v_cmp_lt_f64_e32 vcc_lo, v[14:15], v[5:6]
	v_add_co_u32 v14, s2, v12, 1
	s_delay_alu instid0(VALU_DEP_1) | instskip(SKIP_1) | instid1(VALU_DEP_2)
	v_add_co_ci_u32_e64 v15, s2, 0, v13, s2
	v_dual_cndmask_b32 v10, v13, v10 :: v_dual_cndmask_b32 v9, v12, v9
	v_dual_cndmask_b32 v8, v8, v15 :: v_dual_cndmask_b32 v7, v7, v14
	s_delay_alu instid0(VALU_DEP_1) | instskip(SKIP_1) | instid1(SALU_CYCLE_1)
	v_cmp_ge_u64_e32 vcc_lo, v[7:8], v[9:10]
	s_or_b32 s15, vcc_lo, s15
	s_and_not1_b32 exec_lo, exec_lo, s15
	s_cbranch_execnz .LBB177_75
; %bb.76:
	s_set_inst_prefetch_distance 0x2
	s_or_b32 exec_lo, exec_lo, s15
.LBB177_77:
	s_mov_b32 s15, 0
	s_mov_b32 s2, exec_lo
	s_delay_alu instid0(VALU_DEP_1)
	v_cmpx_ne_u64_e64 s[20:21], v[7:8]
	s_cbranch_execz .LBB177_79
; %bb.78:
	v_lshlrev_b64 v[7:8], 3, v[7:8]
	s_delay_alu instid0(VALU_DEP_1) | instskip(NEXT) | instid1(VALU_DEP_2)
	v_add_co_u32 v7, vcc_lo, s18, v7
	v_add_co_ci_u32_e32 v8, vcc_lo, s19, v8, vcc_lo
	global_load_b64 v[7:8], v[7:8], off
	s_waitcnt vmcnt(0)
	v_cmp_ngt_f64_e32 vcc_lo, v[7:8], v[5:6]
	s_and_b32 s15, vcc_lo, exec_lo
.LBB177_79:
	s_or_b32 exec_lo, exec_lo, s2
	v_add_f64 v[5:6], 0x408a0000, v[3:4]
	v_cmp_ne_u32_e32 vcc_lo, 1, v11
	v_mov_b32_e32 v7, 0
	v_mov_b32_e32 v8, 0
	s_cbranch_vccnz .LBB177_83
; %bb.80:
	v_dual_mov_b32 v9, s20 :: v_dual_mov_b32 v10, s21
	s_mov_b32 s16, 0
	s_set_inst_prefetch_distance 0x1
	.p2align	6
.LBB177_81:                             ; =>This Inner Loop Header: Depth=1
	s_delay_alu instid0(VALU_DEP_1) | instskip(NEXT) | instid1(VALU_DEP_2)
	v_sub_co_u32 v12, vcc_lo, v9, v7
	v_sub_co_ci_u32_e32 v13, vcc_lo, v10, v8, vcc_lo
	s_delay_alu instid0(VALU_DEP_1) | instskip(SKIP_1) | instid1(VALU_DEP_2)
	v_lshrrev_b64 v[14:15], 1, v[12:13]
	v_lshrrev_b64 v[12:13], 6, v[12:13]
	v_add_co_u32 v14, vcc_lo, v14, v7
	s_delay_alu instid0(VALU_DEP_3) | instskip(NEXT) | instid1(VALU_DEP_2)
	v_add_co_ci_u32_e32 v15, vcc_lo, v15, v8, vcc_lo
	v_add_co_u32 v12, vcc_lo, v14, v12
	s_delay_alu instid0(VALU_DEP_2) | instskip(NEXT) | instid1(VALU_DEP_1)
	v_add_co_ci_u32_e32 v13, vcc_lo, v15, v13, vcc_lo
	v_lshlrev_b64 v[14:15], 3, v[12:13]
	s_delay_alu instid0(VALU_DEP_1) | instskip(NEXT) | instid1(VALU_DEP_2)
	v_add_co_u32 v14, vcc_lo, s18, v14
	v_add_co_ci_u32_e32 v15, vcc_lo, s19, v15, vcc_lo
	global_load_b64 v[14:15], v[14:15], off
	s_waitcnt vmcnt(0)
	v_cmp_lt_f64_e32 vcc_lo, v[14:15], v[5:6]
	v_add_co_u32 v14, s2, v12, 1
	s_delay_alu instid0(VALU_DEP_1) | instskip(SKIP_1) | instid1(VALU_DEP_2)
	v_add_co_ci_u32_e64 v15, s2, 0, v13, s2
	v_dual_cndmask_b32 v10, v13, v10 :: v_dual_cndmask_b32 v9, v12, v9
	v_dual_cndmask_b32 v8, v8, v15 :: v_dual_cndmask_b32 v7, v7, v14
	s_delay_alu instid0(VALU_DEP_1) | instskip(SKIP_1) | instid1(SALU_CYCLE_1)
	v_cmp_ge_u64_e32 vcc_lo, v[7:8], v[9:10]
	s_or_b32 s16, vcc_lo, s16
	s_and_not1_b32 exec_lo, exec_lo, s16
	s_cbranch_execnz .LBB177_81
; %bb.82:
	s_set_inst_prefetch_distance 0x2
	s_or_b32 exec_lo, exec_lo, s16
.LBB177_83:
	s_mov_b32 s16, 0
	s_mov_b32 s2, exec_lo
	s_delay_alu instid0(VALU_DEP_1)
	v_cmpx_ne_u64_e64 s[20:21], v[7:8]
	s_cbranch_execz .LBB177_85
; %bb.84:
	v_lshlrev_b64 v[7:8], 3, v[7:8]
	s_delay_alu instid0(VALU_DEP_1) | instskip(NEXT) | instid1(VALU_DEP_2)
	v_add_co_u32 v7, vcc_lo, s18, v7
	v_add_co_ci_u32_e32 v8, vcc_lo, s19, v8, vcc_lo
	global_load_b64 v[7:8], v[7:8], off
	s_waitcnt vmcnt(0)
	v_cmp_ngt_f64_e32 vcc_lo, v[7:8], v[5:6]
	s_and_b32 s16, vcc_lo, exec_lo
.LBB177_85:
	s_or_b32 exec_lo, exec_lo, s2
	v_add_f64 v[5:6], 0x408c0000, v[3:4]
	v_cmp_ne_u32_e32 vcc_lo, 1, v11
	v_mov_b32_e32 v7, 0
	v_mov_b32_e32 v8, 0
	s_cbranch_vccnz .LBB177_89
; %bb.86:
	v_dual_mov_b32 v9, s20 :: v_dual_mov_b32 v10, s21
	s_mov_b32 s24, 0
	s_set_inst_prefetch_distance 0x1
	.p2align	6
.LBB177_87:                             ; =>This Inner Loop Header: Depth=1
	s_delay_alu instid0(VALU_DEP_1) | instskip(NEXT) | instid1(VALU_DEP_2)
	v_sub_co_u32 v12, vcc_lo, v9, v7
	v_sub_co_ci_u32_e32 v13, vcc_lo, v10, v8, vcc_lo
	s_delay_alu instid0(VALU_DEP_1) | instskip(SKIP_1) | instid1(VALU_DEP_2)
	v_lshrrev_b64 v[14:15], 1, v[12:13]
	v_lshrrev_b64 v[12:13], 6, v[12:13]
	v_add_co_u32 v14, vcc_lo, v14, v7
	s_delay_alu instid0(VALU_DEP_3) | instskip(NEXT) | instid1(VALU_DEP_2)
	v_add_co_ci_u32_e32 v15, vcc_lo, v15, v8, vcc_lo
	v_add_co_u32 v12, vcc_lo, v14, v12
	s_delay_alu instid0(VALU_DEP_2) | instskip(NEXT) | instid1(VALU_DEP_1)
	v_add_co_ci_u32_e32 v13, vcc_lo, v15, v13, vcc_lo
	v_lshlrev_b64 v[14:15], 3, v[12:13]
	s_delay_alu instid0(VALU_DEP_1) | instskip(NEXT) | instid1(VALU_DEP_2)
	v_add_co_u32 v14, vcc_lo, s18, v14
	v_add_co_ci_u32_e32 v15, vcc_lo, s19, v15, vcc_lo
	global_load_b64 v[14:15], v[14:15], off
	s_waitcnt vmcnt(0)
	v_cmp_lt_f64_e32 vcc_lo, v[14:15], v[5:6]
	v_add_co_u32 v14, s2, v12, 1
	s_delay_alu instid0(VALU_DEP_1) | instskip(SKIP_1) | instid1(VALU_DEP_2)
	v_add_co_ci_u32_e64 v15, s2, 0, v13, s2
	v_dual_cndmask_b32 v10, v13, v10 :: v_dual_cndmask_b32 v9, v12, v9
	v_dual_cndmask_b32 v8, v8, v15 :: v_dual_cndmask_b32 v7, v7, v14
	s_delay_alu instid0(VALU_DEP_1) | instskip(SKIP_1) | instid1(SALU_CYCLE_1)
	v_cmp_ge_u64_e32 vcc_lo, v[7:8], v[9:10]
	s_or_b32 s24, vcc_lo, s24
	s_and_not1_b32 exec_lo, exec_lo, s24
	s_cbranch_execnz .LBB177_87
; %bb.88:
	s_set_inst_prefetch_distance 0x2
	s_or_b32 exec_lo, exec_lo, s24
.LBB177_89:
	s_mov_b32 s24, 0
	s_mov_b32 s2, exec_lo
	s_delay_alu instid0(VALU_DEP_1)
	v_cmpx_ne_u64_e64 s[20:21], v[7:8]
	s_cbranch_execz .LBB177_91
; %bb.90:
	v_lshlrev_b64 v[7:8], 3, v[7:8]
	s_delay_alu instid0(VALU_DEP_1) | instskip(NEXT) | instid1(VALU_DEP_2)
	v_add_co_u32 v7, vcc_lo, s18, v7
	v_add_co_ci_u32_e32 v8, vcc_lo, s19, v8, vcc_lo
	global_load_b64 v[7:8], v[7:8], off
	s_waitcnt vmcnt(0)
	v_cmp_ngt_f64_e32 vcc_lo, v[7:8], v[5:6]
	s_and_b32 s24, vcc_lo, exec_lo
.LBB177_91:
	s_or_b32 exec_lo, exec_lo, s2
	v_add_f64 v[3:4], 0x408e0000, v[3:4]
	v_cmp_ne_u32_e32 vcc_lo, 1, v11
	v_mov_b32_e32 v5, 0
	v_mov_b32_e32 v6, 0
	s_cbranch_vccnz .LBB177_95
; %bb.92:
	v_dual_mov_b32 v7, s20 :: v_dual_mov_b32 v8, s21
	s_mov_b32 s25, 0
	s_set_inst_prefetch_distance 0x1
	.p2align	6
.LBB177_93:                             ; =>This Inner Loop Header: Depth=1
	s_delay_alu instid0(VALU_DEP_1) | instskip(NEXT) | instid1(VALU_DEP_2)
	v_sub_co_u32 v9, vcc_lo, v7, v5
	v_sub_co_ci_u32_e32 v10, vcc_lo, v8, v6, vcc_lo
	s_delay_alu instid0(VALU_DEP_1) | instskip(SKIP_1) | instid1(VALU_DEP_2)
	v_lshrrev_b64 v[11:12], 1, v[9:10]
	v_lshrrev_b64 v[9:10], 6, v[9:10]
	v_add_co_u32 v11, vcc_lo, v11, v5
	s_delay_alu instid0(VALU_DEP_3) | instskip(NEXT) | instid1(VALU_DEP_2)
	v_add_co_ci_u32_e32 v12, vcc_lo, v12, v6, vcc_lo
	v_add_co_u32 v9, vcc_lo, v11, v9
	s_delay_alu instid0(VALU_DEP_2) | instskip(NEXT) | instid1(VALU_DEP_1)
	v_add_co_ci_u32_e32 v10, vcc_lo, v12, v10, vcc_lo
	v_lshlrev_b64 v[11:12], 3, v[9:10]
	s_delay_alu instid0(VALU_DEP_1) | instskip(NEXT) | instid1(VALU_DEP_2)
	v_add_co_u32 v11, vcc_lo, s18, v11
	v_add_co_ci_u32_e32 v12, vcc_lo, s19, v12, vcc_lo
	global_load_b64 v[11:12], v[11:12], off
	s_waitcnt vmcnt(0)
	v_cmp_lt_f64_e32 vcc_lo, v[11:12], v[3:4]
	v_add_co_u32 v11, s2, v9, 1
	s_delay_alu instid0(VALU_DEP_1) | instskip(SKIP_1) | instid1(VALU_DEP_2)
	v_add_co_ci_u32_e64 v12, s2, 0, v10, s2
	v_dual_cndmask_b32 v8, v10, v8 :: v_dual_cndmask_b32 v7, v9, v7
	v_dual_cndmask_b32 v6, v6, v12 :: v_dual_cndmask_b32 v5, v5, v11
	s_delay_alu instid0(VALU_DEP_1) | instskip(SKIP_1) | instid1(SALU_CYCLE_1)
	v_cmp_ge_u64_e32 vcc_lo, v[5:6], v[7:8]
	s_or_b32 s25, vcc_lo, s25
	s_and_not1_b32 exec_lo, exec_lo, s25
	s_cbranch_execnz .LBB177_93
; %bb.94:
	s_set_inst_prefetch_distance 0x2
	s_or_b32 exec_lo, exec_lo, s25
.LBB177_95:
	s_mov_b32 s2, 0
	s_mov_b32 s25, 0
	s_mov_b32 s26, exec_lo
	v_cmpx_ne_u64_e64 s[20:21], v[5:6]
	s_cbranch_execz .LBB177_97
; %bb.96:
	v_lshlrev_b64 v[5:6], 3, v[5:6]
	s_delay_alu instid0(VALU_DEP_1) | instskip(NEXT) | instid1(VALU_DEP_2)
	v_add_co_u32 v5, vcc_lo, s18, v5
	v_add_co_ci_u32_e32 v6, vcc_lo, s19, v6, vcc_lo
	global_load_b64 v[5:6], v[5:6], off
	s_waitcnt vmcnt(0)
	v_cmp_ngt_f64_e32 vcc_lo, v[5:6], v[3:4]
	s_and_b32 s25, vcc_lo, exec_lo
.LBB177_97:
	s_or_b32 exec_lo, exec_lo, s26
	v_cndmask_b32_e64 v12, 0, 1, s11
	v_cndmask_b32_e64 v20, 0, 1, s3
	;; [unrolled: 1-line block ×4, first 2 shown]
	s_add_u32 s4, s22, s23
	v_cndmask_b32_e64 v10, 0, 1, s13
	v_cndmask_b32_e64 v18, 0, 1, s5
	;; [unrolled: 1-line block ×4, first 2 shown]
	s_addc_u32 s5, s17, 0
	v_add_co_u32 v3, s3, s4, v0
	v_cndmask_b32_e64 v8, 0, 1, s15
	v_cndmask_b32_e64 v16, 0, 1, s7
	;; [unrolled: 1-line block ×8, first 2 shown]
	v_add_co_ci_u32_e64 v4, null, s5, 0, s3
	s_clause 0x7
	global_store_b8 v0, v20, s[4:5]
	global_store_b8 v0, v19, s[4:5] offset:64
	global_store_b8 v0, v18, s[4:5] offset:128
	global_store_b8 v0, v17, s[4:5] offset:192
	global_store_b8 v0, v16, s[4:5] offset:256
	global_store_b8 v0, v15, s[4:5] offset:320
	global_store_b8 v0, v14, s[4:5] offset:384
	global_store_b8 v0, v13, s[4:5] offset:448
	s_mov_b32 s24, -1
	s_clause 0x6
	global_store_b8 v0, v12, s[4:5] offset:512
	global_store_b8 v0, v11, s[4:5] offset:576
	;; [unrolled: 1-line block ×7, first 2 shown]
	s_and_b32 vcc_lo, exec_lo, s2
	s_cbranch_vccnz .LBB177_99
	s_branch .LBB177_245
.LBB177_98:
                                        ; implicit-def: $vgpr5
                                        ; implicit-def: $vgpr3_vgpr4
	s_and_b32 vcc_lo, exec_lo, s2
	s_cbranch_vccz .LBB177_245
.LBB177_99:
	s_load_b32 s0, s[0:1], 0x10
                                        ; implicit-def: $vgpr9
	s_waitcnt lgkmcnt(0)
	s_sub_i32 s25, s0, s23
	s_cmp_lg_u64 s[20:21], 0
	v_cmp_gt_u32_e64 s0, s25, v0
	s_cselect_b32 s16, -1, 0
	s_delay_alu instid0(VALU_DEP_1)
	s_and_saveexec_b32 s2, s0
	s_cbranch_execz .LBB177_107
; %bb.100:
	v_cvt_f64_u32_e32 v[3:4], v0
	v_mov_b32_e32 v5, 0
	v_mov_b32_e32 v6, 0
	s_and_not1_b32 vcc_lo, exec_lo, s16
	s_delay_alu instid0(VALU_DEP_3)
	v_add_f64 v[3:4], v[1:2], v[3:4]
	s_cbranch_vccnz .LBB177_104
; %bb.101:
	v_dual_mov_b32 v7, s20 :: v_dual_mov_b32 v8, s21
	s_mov_b32 s3, 0
	s_set_inst_prefetch_distance 0x1
	.p2align	6
.LBB177_102:                            ; =>This Inner Loop Header: Depth=1
	s_delay_alu instid0(VALU_DEP_1) | instskip(NEXT) | instid1(VALU_DEP_2)
	v_sub_co_u32 v9, vcc_lo, v7, v5
	v_sub_co_ci_u32_e32 v10, vcc_lo, v8, v6, vcc_lo
	s_delay_alu instid0(VALU_DEP_1) | instskip(SKIP_1) | instid1(VALU_DEP_2)
	v_lshrrev_b64 v[11:12], 1, v[9:10]
	v_lshrrev_b64 v[9:10], 6, v[9:10]
	v_add_co_u32 v11, vcc_lo, v11, v5
	s_delay_alu instid0(VALU_DEP_3) | instskip(NEXT) | instid1(VALU_DEP_2)
	v_add_co_ci_u32_e32 v12, vcc_lo, v12, v6, vcc_lo
	v_add_co_u32 v9, vcc_lo, v11, v9
	s_delay_alu instid0(VALU_DEP_2) | instskip(NEXT) | instid1(VALU_DEP_1)
	v_add_co_ci_u32_e32 v10, vcc_lo, v12, v10, vcc_lo
	v_lshlrev_b64 v[11:12], 3, v[9:10]
	s_delay_alu instid0(VALU_DEP_1) | instskip(NEXT) | instid1(VALU_DEP_2)
	v_add_co_u32 v11, vcc_lo, s18, v11
	v_add_co_ci_u32_e32 v12, vcc_lo, s19, v12, vcc_lo
	global_load_b64 v[11:12], v[11:12], off
	s_waitcnt vmcnt(0)
	v_cmp_lt_f64_e32 vcc_lo, v[11:12], v[3:4]
	v_add_co_u32 v11, s1, v9, 1
	s_delay_alu instid0(VALU_DEP_1) | instskip(SKIP_1) | instid1(VALU_DEP_2)
	v_add_co_ci_u32_e64 v12, s1, 0, v10, s1
	v_dual_cndmask_b32 v8, v10, v8 :: v_dual_cndmask_b32 v7, v9, v7
	v_dual_cndmask_b32 v6, v6, v12 :: v_dual_cndmask_b32 v5, v5, v11
	s_delay_alu instid0(VALU_DEP_1) | instskip(SKIP_1) | instid1(SALU_CYCLE_1)
	v_cmp_ge_u64_e32 vcc_lo, v[5:6], v[7:8]
	s_or_b32 s3, vcc_lo, s3
	s_and_not1_b32 exec_lo, exec_lo, s3
	s_cbranch_execnz .LBB177_102
; %bb.103:
	s_set_inst_prefetch_distance 0x2
	s_or_b32 exec_lo, exec_lo, s3
.LBB177_104:
	s_mov_b32 s3, 0
	s_mov_b32 s1, exec_lo
	v_cmpx_ne_u64_e64 s[20:21], v[5:6]
	s_cbranch_execz .LBB177_106
; %bb.105:
	v_lshlrev_b64 v[5:6], 3, v[5:6]
	s_delay_alu instid0(VALU_DEP_1) | instskip(NEXT) | instid1(VALU_DEP_2)
	v_add_co_u32 v5, vcc_lo, s18, v5
	v_add_co_ci_u32_e32 v6, vcc_lo, s19, v6, vcc_lo
	global_load_b64 v[5:6], v[5:6], off
	s_waitcnt vmcnt(0)
	v_cmp_ngt_f64_e32 vcc_lo, v[5:6], v[3:4]
	s_and_b32 s3, vcc_lo, exec_lo
.LBB177_106:
	s_or_b32 exec_lo, exec_lo, s1
	v_cndmask_b32_e64 v9, 0, 1, s3
.LBB177_107:
	s_or_b32 exec_lo, exec_lo, s2
	v_or_b32_e32 v3, 64, v0
                                        ; implicit-def: $vgpr10
	s_delay_alu instid0(VALU_DEP_1) | instskip(NEXT) | instid1(VALU_DEP_1)
	v_cmp_gt_u32_e64 s1, s25, v3
	s_and_saveexec_b32 s3, s1
	s_cbranch_execz .LBB177_115
; %bb.108:
	v_cvt_f64_u32_e32 v[3:4], v3
	v_mov_b32_e32 v5, 0
	v_mov_b32_e32 v6, 0
	s_and_not1_b32 vcc_lo, exec_lo, s16
	s_delay_alu instid0(VALU_DEP_3)
	v_add_f64 v[3:4], v[1:2], v[3:4]
	s_cbranch_vccnz .LBB177_112
; %bb.109:
	v_dual_mov_b32 v7, s20 :: v_dual_mov_b32 v8, s21
	s_mov_b32 s4, 0
	s_set_inst_prefetch_distance 0x1
	.p2align	6
.LBB177_110:                            ; =>This Inner Loop Header: Depth=1
	s_delay_alu instid0(VALU_DEP_1) | instskip(NEXT) | instid1(VALU_DEP_2)
	v_sub_co_u32 v10, vcc_lo, v7, v5
	v_sub_co_ci_u32_e32 v11, vcc_lo, v8, v6, vcc_lo
	s_delay_alu instid0(VALU_DEP_1) | instskip(SKIP_1) | instid1(VALU_DEP_2)
	v_lshrrev_b64 v[12:13], 1, v[10:11]
	v_lshrrev_b64 v[10:11], 6, v[10:11]
	v_add_co_u32 v12, vcc_lo, v12, v5
	s_delay_alu instid0(VALU_DEP_3) | instskip(NEXT) | instid1(VALU_DEP_2)
	v_add_co_ci_u32_e32 v13, vcc_lo, v13, v6, vcc_lo
	v_add_co_u32 v10, vcc_lo, v12, v10
	s_delay_alu instid0(VALU_DEP_2) | instskip(NEXT) | instid1(VALU_DEP_1)
	v_add_co_ci_u32_e32 v11, vcc_lo, v13, v11, vcc_lo
	v_lshlrev_b64 v[12:13], 3, v[10:11]
	s_delay_alu instid0(VALU_DEP_1) | instskip(NEXT) | instid1(VALU_DEP_2)
	v_add_co_u32 v12, vcc_lo, s18, v12
	v_add_co_ci_u32_e32 v13, vcc_lo, s19, v13, vcc_lo
	global_load_b64 v[12:13], v[12:13], off
	s_waitcnt vmcnt(0)
	v_cmp_lt_f64_e32 vcc_lo, v[12:13], v[3:4]
	v_add_co_u32 v12, s2, v10, 1
	s_delay_alu instid0(VALU_DEP_1) | instskip(SKIP_1) | instid1(VALU_DEP_2)
	v_add_co_ci_u32_e64 v13, s2, 0, v11, s2
	v_dual_cndmask_b32 v8, v11, v8 :: v_dual_cndmask_b32 v7, v10, v7
	v_dual_cndmask_b32 v6, v6, v13 :: v_dual_cndmask_b32 v5, v5, v12
	s_delay_alu instid0(VALU_DEP_1) | instskip(SKIP_1) | instid1(SALU_CYCLE_1)
	v_cmp_ge_u64_e32 vcc_lo, v[5:6], v[7:8]
	s_or_b32 s4, vcc_lo, s4
	s_and_not1_b32 exec_lo, exec_lo, s4
	s_cbranch_execnz .LBB177_110
; %bb.111:
	s_set_inst_prefetch_distance 0x2
	s_or_b32 exec_lo, exec_lo, s4
.LBB177_112:
	s_mov_b32 s4, 0
	s_mov_b32 s2, exec_lo
	v_cmpx_ne_u64_e64 s[20:21], v[5:6]
	s_cbranch_execz .LBB177_114
; %bb.113:
	v_lshlrev_b64 v[5:6], 3, v[5:6]
	s_delay_alu instid0(VALU_DEP_1) | instskip(NEXT) | instid1(VALU_DEP_2)
	v_add_co_u32 v5, vcc_lo, s18, v5
	v_add_co_ci_u32_e32 v6, vcc_lo, s19, v6, vcc_lo
	global_load_b64 v[5:6], v[5:6], off
	s_waitcnt vmcnt(0)
	v_cmp_ngt_f64_e32 vcc_lo, v[5:6], v[3:4]
	s_and_b32 s4, vcc_lo, exec_lo
.LBB177_114:
	s_or_b32 exec_lo, exec_lo, s2
	v_cndmask_b32_e64 v10, 0, 1, s4
.LBB177_115:
	s_or_b32 exec_lo, exec_lo, s3
	v_or_b32_e32 v3, 0x80, v0
                                        ; implicit-def: $vgpr11
	s_delay_alu instid0(VALU_DEP_1) | instskip(NEXT) | instid1(VALU_DEP_1)
	v_cmp_gt_u32_e64 s2, s25, v3
	s_and_saveexec_b32 s4, s2
	s_cbranch_execz .LBB177_123
; %bb.116:
	v_cvt_f64_u32_e32 v[3:4], v3
	v_mov_b32_e32 v5, 0
	v_mov_b32_e32 v6, 0
	s_and_not1_b32 vcc_lo, exec_lo, s16
	s_delay_alu instid0(VALU_DEP_3)
	v_add_f64 v[3:4], v[1:2], v[3:4]
	s_cbranch_vccnz .LBB177_120
; %bb.117:
	v_dual_mov_b32 v7, s20 :: v_dual_mov_b32 v8, s21
	s_mov_b32 s5, 0
	s_set_inst_prefetch_distance 0x1
	.p2align	6
.LBB177_118:                            ; =>This Inner Loop Header: Depth=1
	s_delay_alu instid0(VALU_DEP_1) | instskip(NEXT) | instid1(VALU_DEP_2)
	v_sub_co_u32 v11, vcc_lo, v7, v5
	v_sub_co_ci_u32_e32 v12, vcc_lo, v8, v6, vcc_lo
	s_delay_alu instid0(VALU_DEP_1) | instskip(SKIP_1) | instid1(VALU_DEP_2)
	v_lshrrev_b64 v[13:14], 1, v[11:12]
	v_lshrrev_b64 v[11:12], 6, v[11:12]
	v_add_co_u32 v13, vcc_lo, v13, v5
	s_delay_alu instid0(VALU_DEP_3) | instskip(NEXT) | instid1(VALU_DEP_2)
	v_add_co_ci_u32_e32 v14, vcc_lo, v14, v6, vcc_lo
	v_add_co_u32 v11, vcc_lo, v13, v11
	s_delay_alu instid0(VALU_DEP_2) | instskip(NEXT) | instid1(VALU_DEP_1)
	v_add_co_ci_u32_e32 v12, vcc_lo, v14, v12, vcc_lo
	v_lshlrev_b64 v[13:14], 3, v[11:12]
	s_delay_alu instid0(VALU_DEP_1) | instskip(NEXT) | instid1(VALU_DEP_2)
	v_add_co_u32 v13, vcc_lo, s18, v13
	v_add_co_ci_u32_e32 v14, vcc_lo, s19, v14, vcc_lo
	global_load_b64 v[13:14], v[13:14], off
	s_waitcnt vmcnt(0)
	v_cmp_lt_f64_e32 vcc_lo, v[13:14], v[3:4]
	v_add_co_u32 v13, s3, v11, 1
	s_delay_alu instid0(VALU_DEP_1) | instskip(SKIP_1) | instid1(VALU_DEP_2)
	v_add_co_ci_u32_e64 v14, s3, 0, v12, s3
	v_dual_cndmask_b32 v8, v12, v8 :: v_dual_cndmask_b32 v7, v11, v7
	v_dual_cndmask_b32 v6, v6, v14 :: v_dual_cndmask_b32 v5, v5, v13
	s_delay_alu instid0(VALU_DEP_1) | instskip(SKIP_1) | instid1(SALU_CYCLE_1)
	v_cmp_ge_u64_e32 vcc_lo, v[5:6], v[7:8]
	s_or_b32 s5, vcc_lo, s5
	s_and_not1_b32 exec_lo, exec_lo, s5
	s_cbranch_execnz .LBB177_118
; %bb.119:
	s_set_inst_prefetch_distance 0x2
	s_or_b32 exec_lo, exec_lo, s5
.LBB177_120:
	s_mov_b32 s5, 0
	s_mov_b32 s3, exec_lo
	v_cmpx_ne_u64_e64 s[20:21], v[5:6]
	s_cbranch_execz .LBB177_122
; %bb.121:
	v_lshlrev_b64 v[5:6], 3, v[5:6]
	s_delay_alu instid0(VALU_DEP_1) | instskip(NEXT) | instid1(VALU_DEP_2)
	v_add_co_u32 v5, vcc_lo, s18, v5
	v_add_co_ci_u32_e32 v6, vcc_lo, s19, v6, vcc_lo
	global_load_b64 v[5:6], v[5:6], off
	s_waitcnt vmcnt(0)
	v_cmp_ngt_f64_e32 vcc_lo, v[5:6], v[3:4]
	s_and_b32 s5, vcc_lo, exec_lo
.LBB177_122:
	s_or_b32 exec_lo, exec_lo, s3
	v_cndmask_b32_e64 v11, 0, 1, s5
.LBB177_123:
	s_or_b32 exec_lo, exec_lo, s4
	v_or_b32_e32 v3, 0xc0, v0
                                        ; implicit-def: $vgpr12
	s_delay_alu instid0(VALU_DEP_1) | instskip(NEXT) | instid1(VALU_DEP_1)
	v_cmp_gt_u32_e64 s3, s25, v3
	s_and_saveexec_b32 s5, s3
	s_cbranch_execz .LBB177_131
; %bb.124:
	v_cvt_f64_u32_e32 v[3:4], v3
	v_mov_b32_e32 v5, 0
	v_mov_b32_e32 v6, 0
	s_and_not1_b32 vcc_lo, exec_lo, s16
	s_delay_alu instid0(VALU_DEP_3)
	v_add_f64 v[3:4], v[1:2], v[3:4]
	s_cbranch_vccnz .LBB177_128
; %bb.125:
	v_dual_mov_b32 v7, s20 :: v_dual_mov_b32 v8, s21
	s_mov_b32 s6, 0
	s_set_inst_prefetch_distance 0x1
	.p2align	6
.LBB177_126:                            ; =>This Inner Loop Header: Depth=1
	s_delay_alu instid0(VALU_DEP_1) | instskip(NEXT) | instid1(VALU_DEP_2)
	v_sub_co_u32 v12, vcc_lo, v7, v5
	v_sub_co_ci_u32_e32 v13, vcc_lo, v8, v6, vcc_lo
	s_delay_alu instid0(VALU_DEP_1) | instskip(SKIP_1) | instid1(VALU_DEP_2)
	v_lshrrev_b64 v[14:15], 1, v[12:13]
	v_lshrrev_b64 v[12:13], 6, v[12:13]
	v_add_co_u32 v14, vcc_lo, v14, v5
	s_delay_alu instid0(VALU_DEP_3) | instskip(NEXT) | instid1(VALU_DEP_2)
	v_add_co_ci_u32_e32 v15, vcc_lo, v15, v6, vcc_lo
	v_add_co_u32 v12, vcc_lo, v14, v12
	s_delay_alu instid0(VALU_DEP_2) | instskip(NEXT) | instid1(VALU_DEP_1)
	v_add_co_ci_u32_e32 v13, vcc_lo, v15, v13, vcc_lo
	v_lshlrev_b64 v[14:15], 3, v[12:13]
	s_delay_alu instid0(VALU_DEP_1) | instskip(NEXT) | instid1(VALU_DEP_2)
	v_add_co_u32 v14, vcc_lo, s18, v14
	v_add_co_ci_u32_e32 v15, vcc_lo, s19, v15, vcc_lo
	global_load_b64 v[14:15], v[14:15], off
	s_waitcnt vmcnt(0)
	v_cmp_lt_f64_e32 vcc_lo, v[14:15], v[3:4]
	v_add_co_u32 v14, s4, v12, 1
	s_delay_alu instid0(VALU_DEP_1) | instskip(SKIP_1) | instid1(VALU_DEP_2)
	v_add_co_ci_u32_e64 v15, s4, 0, v13, s4
	v_dual_cndmask_b32 v8, v13, v8 :: v_dual_cndmask_b32 v7, v12, v7
	v_dual_cndmask_b32 v6, v6, v15 :: v_dual_cndmask_b32 v5, v5, v14
	s_delay_alu instid0(VALU_DEP_1) | instskip(SKIP_1) | instid1(SALU_CYCLE_1)
	v_cmp_ge_u64_e32 vcc_lo, v[5:6], v[7:8]
	s_or_b32 s6, vcc_lo, s6
	s_and_not1_b32 exec_lo, exec_lo, s6
	s_cbranch_execnz .LBB177_126
; %bb.127:
	s_set_inst_prefetch_distance 0x2
	s_or_b32 exec_lo, exec_lo, s6
.LBB177_128:
	s_mov_b32 s6, 0
	s_mov_b32 s4, exec_lo
	v_cmpx_ne_u64_e64 s[20:21], v[5:6]
	s_cbranch_execz .LBB177_130
; %bb.129:
	v_lshlrev_b64 v[5:6], 3, v[5:6]
	s_delay_alu instid0(VALU_DEP_1) | instskip(NEXT) | instid1(VALU_DEP_2)
	v_add_co_u32 v5, vcc_lo, s18, v5
	v_add_co_ci_u32_e32 v6, vcc_lo, s19, v6, vcc_lo
	global_load_b64 v[5:6], v[5:6], off
	s_waitcnt vmcnt(0)
	v_cmp_ngt_f64_e32 vcc_lo, v[5:6], v[3:4]
	s_and_b32 s6, vcc_lo, exec_lo
.LBB177_130:
	s_or_b32 exec_lo, exec_lo, s4
	v_cndmask_b32_e64 v12, 0, 1, s6
.LBB177_131:
	s_or_b32 exec_lo, exec_lo, s5
	v_or_b32_e32 v3, 0x100, v0
                                        ; implicit-def: $vgpr13
	s_delay_alu instid0(VALU_DEP_1) | instskip(NEXT) | instid1(VALU_DEP_1)
	v_cmp_gt_u32_e64 s4, s25, v3
	s_and_saveexec_b32 s6, s4
	s_cbranch_execz .LBB177_139
; %bb.132:
	v_cvt_f64_u32_e32 v[3:4], v3
	v_mov_b32_e32 v5, 0
	v_mov_b32_e32 v6, 0
	s_and_not1_b32 vcc_lo, exec_lo, s16
	s_delay_alu instid0(VALU_DEP_3)
	v_add_f64 v[3:4], v[1:2], v[3:4]
	s_cbranch_vccnz .LBB177_136
; %bb.133:
	v_dual_mov_b32 v7, s20 :: v_dual_mov_b32 v8, s21
	s_mov_b32 s7, 0
	s_set_inst_prefetch_distance 0x1
	.p2align	6
.LBB177_134:                            ; =>This Inner Loop Header: Depth=1
	s_delay_alu instid0(VALU_DEP_1) | instskip(NEXT) | instid1(VALU_DEP_2)
	v_sub_co_u32 v13, vcc_lo, v7, v5
	v_sub_co_ci_u32_e32 v14, vcc_lo, v8, v6, vcc_lo
	s_delay_alu instid0(VALU_DEP_1) | instskip(SKIP_1) | instid1(VALU_DEP_2)
	v_lshrrev_b64 v[15:16], 1, v[13:14]
	v_lshrrev_b64 v[13:14], 6, v[13:14]
	v_add_co_u32 v15, vcc_lo, v15, v5
	s_delay_alu instid0(VALU_DEP_3) | instskip(NEXT) | instid1(VALU_DEP_2)
	v_add_co_ci_u32_e32 v16, vcc_lo, v16, v6, vcc_lo
	v_add_co_u32 v13, vcc_lo, v15, v13
	s_delay_alu instid0(VALU_DEP_2) | instskip(NEXT) | instid1(VALU_DEP_1)
	v_add_co_ci_u32_e32 v14, vcc_lo, v16, v14, vcc_lo
	v_lshlrev_b64 v[15:16], 3, v[13:14]
	s_delay_alu instid0(VALU_DEP_1) | instskip(NEXT) | instid1(VALU_DEP_2)
	v_add_co_u32 v15, vcc_lo, s18, v15
	v_add_co_ci_u32_e32 v16, vcc_lo, s19, v16, vcc_lo
	global_load_b64 v[15:16], v[15:16], off
	s_waitcnt vmcnt(0)
	v_cmp_lt_f64_e32 vcc_lo, v[15:16], v[3:4]
	v_add_co_u32 v15, s5, v13, 1
	s_delay_alu instid0(VALU_DEP_1) | instskip(SKIP_1) | instid1(VALU_DEP_2)
	v_add_co_ci_u32_e64 v16, s5, 0, v14, s5
	v_dual_cndmask_b32 v8, v14, v8 :: v_dual_cndmask_b32 v7, v13, v7
	v_dual_cndmask_b32 v6, v6, v16 :: v_dual_cndmask_b32 v5, v5, v15
	s_delay_alu instid0(VALU_DEP_1) | instskip(SKIP_1) | instid1(SALU_CYCLE_1)
	v_cmp_ge_u64_e32 vcc_lo, v[5:6], v[7:8]
	s_or_b32 s7, vcc_lo, s7
	s_and_not1_b32 exec_lo, exec_lo, s7
	s_cbranch_execnz .LBB177_134
; %bb.135:
	s_set_inst_prefetch_distance 0x2
	s_or_b32 exec_lo, exec_lo, s7
.LBB177_136:
	s_mov_b32 s7, 0
	s_mov_b32 s5, exec_lo
	v_cmpx_ne_u64_e64 s[20:21], v[5:6]
	s_cbranch_execz .LBB177_138
; %bb.137:
	v_lshlrev_b64 v[5:6], 3, v[5:6]
	s_delay_alu instid0(VALU_DEP_1) | instskip(NEXT) | instid1(VALU_DEP_2)
	v_add_co_u32 v5, vcc_lo, s18, v5
	v_add_co_ci_u32_e32 v6, vcc_lo, s19, v6, vcc_lo
	global_load_b64 v[5:6], v[5:6], off
	s_waitcnt vmcnt(0)
	v_cmp_ngt_f64_e32 vcc_lo, v[5:6], v[3:4]
	s_and_b32 s7, vcc_lo, exec_lo
.LBB177_138:
	s_or_b32 exec_lo, exec_lo, s5
	v_cndmask_b32_e64 v13, 0, 1, s7
.LBB177_139:
	s_or_b32 exec_lo, exec_lo, s6
	v_or_b32_e32 v3, 0x140, v0
                                        ; implicit-def: $vgpr14
	s_delay_alu instid0(VALU_DEP_1) | instskip(NEXT) | instid1(VALU_DEP_1)
	v_cmp_gt_u32_e64 s5, s25, v3
	s_and_saveexec_b32 s7, s5
	s_cbranch_execz .LBB177_147
; %bb.140:
	v_cvt_f64_u32_e32 v[3:4], v3
	v_mov_b32_e32 v5, 0
	v_mov_b32_e32 v6, 0
	s_and_not1_b32 vcc_lo, exec_lo, s16
	s_delay_alu instid0(VALU_DEP_3)
	v_add_f64 v[3:4], v[1:2], v[3:4]
	s_cbranch_vccnz .LBB177_144
; %bb.141:
	v_dual_mov_b32 v7, s20 :: v_dual_mov_b32 v8, s21
	s_mov_b32 s8, 0
	s_set_inst_prefetch_distance 0x1
	.p2align	6
.LBB177_142:                            ; =>This Inner Loop Header: Depth=1
	s_delay_alu instid0(VALU_DEP_1) | instskip(NEXT) | instid1(VALU_DEP_2)
	v_sub_co_u32 v14, vcc_lo, v7, v5
	v_sub_co_ci_u32_e32 v15, vcc_lo, v8, v6, vcc_lo
	s_delay_alu instid0(VALU_DEP_1) | instskip(SKIP_1) | instid1(VALU_DEP_2)
	v_lshrrev_b64 v[16:17], 1, v[14:15]
	v_lshrrev_b64 v[14:15], 6, v[14:15]
	v_add_co_u32 v16, vcc_lo, v16, v5
	s_delay_alu instid0(VALU_DEP_3) | instskip(NEXT) | instid1(VALU_DEP_2)
	v_add_co_ci_u32_e32 v17, vcc_lo, v17, v6, vcc_lo
	v_add_co_u32 v14, vcc_lo, v16, v14
	s_delay_alu instid0(VALU_DEP_2) | instskip(NEXT) | instid1(VALU_DEP_1)
	v_add_co_ci_u32_e32 v15, vcc_lo, v17, v15, vcc_lo
	v_lshlrev_b64 v[16:17], 3, v[14:15]
	s_delay_alu instid0(VALU_DEP_1) | instskip(NEXT) | instid1(VALU_DEP_2)
	v_add_co_u32 v16, vcc_lo, s18, v16
	v_add_co_ci_u32_e32 v17, vcc_lo, s19, v17, vcc_lo
	global_load_b64 v[16:17], v[16:17], off
	s_waitcnt vmcnt(0)
	v_cmp_lt_f64_e32 vcc_lo, v[16:17], v[3:4]
	v_add_co_u32 v16, s6, v14, 1
	s_delay_alu instid0(VALU_DEP_1) | instskip(SKIP_1) | instid1(VALU_DEP_2)
	v_add_co_ci_u32_e64 v17, s6, 0, v15, s6
	v_dual_cndmask_b32 v8, v15, v8 :: v_dual_cndmask_b32 v7, v14, v7
	v_dual_cndmask_b32 v6, v6, v17 :: v_dual_cndmask_b32 v5, v5, v16
	s_delay_alu instid0(VALU_DEP_1) | instskip(SKIP_1) | instid1(SALU_CYCLE_1)
	v_cmp_ge_u64_e32 vcc_lo, v[5:6], v[7:8]
	s_or_b32 s8, vcc_lo, s8
	s_and_not1_b32 exec_lo, exec_lo, s8
	s_cbranch_execnz .LBB177_142
; %bb.143:
	s_set_inst_prefetch_distance 0x2
	s_or_b32 exec_lo, exec_lo, s8
.LBB177_144:
	s_mov_b32 s8, 0
	s_mov_b32 s6, exec_lo
	v_cmpx_ne_u64_e64 s[20:21], v[5:6]
	s_cbranch_execz .LBB177_146
; %bb.145:
	v_lshlrev_b64 v[5:6], 3, v[5:6]
	s_delay_alu instid0(VALU_DEP_1) | instskip(NEXT) | instid1(VALU_DEP_2)
	v_add_co_u32 v5, vcc_lo, s18, v5
	v_add_co_ci_u32_e32 v6, vcc_lo, s19, v6, vcc_lo
	global_load_b64 v[5:6], v[5:6], off
	s_waitcnt vmcnt(0)
	v_cmp_ngt_f64_e32 vcc_lo, v[5:6], v[3:4]
	s_and_b32 s8, vcc_lo, exec_lo
.LBB177_146:
	s_or_b32 exec_lo, exec_lo, s6
	v_cndmask_b32_e64 v14, 0, 1, s8
.LBB177_147:
	s_or_b32 exec_lo, exec_lo, s7
	v_or_b32_e32 v3, 0x180, v0
                                        ; implicit-def: $vgpr15
	s_delay_alu instid0(VALU_DEP_1) | instskip(NEXT) | instid1(VALU_DEP_1)
	v_cmp_gt_u32_e64 s6, s25, v3
	s_and_saveexec_b32 s8, s6
	s_cbranch_execz .LBB177_155
; %bb.148:
	v_cvt_f64_u32_e32 v[3:4], v3
	v_mov_b32_e32 v5, 0
	v_mov_b32_e32 v6, 0
	s_and_not1_b32 vcc_lo, exec_lo, s16
	s_delay_alu instid0(VALU_DEP_3)
	v_add_f64 v[3:4], v[1:2], v[3:4]
	s_cbranch_vccnz .LBB177_152
; %bb.149:
	v_dual_mov_b32 v7, s20 :: v_dual_mov_b32 v8, s21
	s_mov_b32 s9, 0
	s_set_inst_prefetch_distance 0x1
	.p2align	6
.LBB177_150:                            ; =>This Inner Loop Header: Depth=1
	s_delay_alu instid0(VALU_DEP_1) | instskip(NEXT) | instid1(VALU_DEP_2)
	v_sub_co_u32 v15, vcc_lo, v7, v5
	v_sub_co_ci_u32_e32 v16, vcc_lo, v8, v6, vcc_lo
	s_delay_alu instid0(VALU_DEP_1) | instskip(SKIP_1) | instid1(VALU_DEP_2)
	v_lshrrev_b64 v[17:18], 1, v[15:16]
	v_lshrrev_b64 v[15:16], 6, v[15:16]
	v_add_co_u32 v17, vcc_lo, v17, v5
	s_delay_alu instid0(VALU_DEP_3) | instskip(NEXT) | instid1(VALU_DEP_2)
	v_add_co_ci_u32_e32 v18, vcc_lo, v18, v6, vcc_lo
	v_add_co_u32 v15, vcc_lo, v17, v15
	s_delay_alu instid0(VALU_DEP_2) | instskip(NEXT) | instid1(VALU_DEP_1)
	v_add_co_ci_u32_e32 v16, vcc_lo, v18, v16, vcc_lo
	v_lshlrev_b64 v[17:18], 3, v[15:16]
	s_delay_alu instid0(VALU_DEP_1) | instskip(NEXT) | instid1(VALU_DEP_2)
	v_add_co_u32 v17, vcc_lo, s18, v17
	v_add_co_ci_u32_e32 v18, vcc_lo, s19, v18, vcc_lo
	global_load_b64 v[17:18], v[17:18], off
	s_waitcnt vmcnt(0)
	v_cmp_lt_f64_e32 vcc_lo, v[17:18], v[3:4]
	v_add_co_u32 v17, s7, v15, 1
	s_delay_alu instid0(VALU_DEP_1) | instskip(SKIP_1) | instid1(VALU_DEP_2)
	v_add_co_ci_u32_e64 v18, s7, 0, v16, s7
	v_dual_cndmask_b32 v8, v16, v8 :: v_dual_cndmask_b32 v7, v15, v7
	v_dual_cndmask_b32 v6, v6, v18 :: v_dual_cndmask_b32 v5, v5, v17
	s_delay_alu instid0(VALU_DEP_1) | instskip(SKIP_1) | instid1(SALU_CYCLE_1)
	v_cmp_ge_u64_e32 vcc_lo, v[5:6], v[7:8]
	s_or_b32 s9, vcc_lo, s9
	s_and_not1_b32 exec_lo, exec_lo, s9
	s_cbranch_execnz .LBB177_150
; %bb.151:
	s_set_inst_prefetch_distance 0x2
	s_or_b32 exec_lo, exec_lo, s9
.LBB177_152:
	s_mov_b32 s9, 0
	s_mov_b32 s7, exec_lo
	v_cmpx_ne_u64_e64 s[20:21], v[5:6]
	s_cbranch_execz .LBB177_154
; %bb.153:
	v_lshlrev_b64 v[5:6], 3, v[5:6]
	s_delay_alu instid0(VALU_DEP_1) | instskip(NEXT) | instid1(VALU_DEP_2)
	v_add_co_u32 v5, vcc_lo, s18, v5
	v_add_co_ci_u32_e32 v6, vcc_lo, s19, v6, vcc_lo
	global_load_b64 v[5:6], v[5:6], off
	s_waitcnt vmcnt(0)
	v_cmp_ngt_f64_e32 vcc_lo, v[5:6], v[3:4]
	s_and_b32 s9, vcc_lo, exec_lo
.LBB177_154:
	s_or_b32 exec_lo, exec_lo, s7
	v_cndmask_b32_e64 v15, 0, 1, s9
.LBB177_155:
	s_or_b32 exec_lo, exec_lo, s8
	v_or_b32_e32 v3, 0x1c0, v0
                                        ; implicit-def: $vgpr16
	s_delay_alu instid0(VALU_DEP_1) | instskip(NEXT) | instid1(VALU_DEP_1)
	v_cmp_gt_u32_e64 s7, s25, v3
	s_and_saveexec_b32 s9, s7
	s_cbranch_execz .LBB177_163
; %bb.156:
	v_cvt_f64_u32_e32 v[3:4], v3
	v_mov_b32_e32 v5, 0
	v_mov_b32_e32 v6, 0
	s_and_not1_b32 vcc_lo, exec_lo, s16
	s_delay_alu instid0(VALU_DEP_3)
	v_add_f64 v[3:4], v[1:2], v[3:4]
	s_cbranch_vccnz .LBB177_160
; %bb.157:
	v_dual_mov_b32 v7, s20 :: v_dual_mov_b32 v8, s21
	s_mov_b32 s10, 0
	s_set_inst_prefetch_distance 0x1
	.p2align	6
.LBB177_158:                            ; =>This Inner Loop Header: Depth=1
	s_delay_alu instid0(VALU_DEP_1) | instskip(NEXT) | instid1(VALU_DEP_2)
	v_sub_co_u32 v16, vcc_lo, v7, v5
	v_sub_co_ci_u32_e32 v17, vcc_lo, v8, v6, vcc_lo
	s_delay_alu instid0(VALU_DEP_1) | instskip(SKIP_1) | instid1(VALU_DEP_2)
	v_lshrrev_b64 v[18:19], 1, v[16:17]
	v_lshrrev_b64 v[16:17], 6, v[16:17]
	v_add_co_u32 v18, vcc_lo, v18, v5
	s_delay_alu instid0(VALU_DEP_3) | instskip(NEXT) | instid1(VALU_DEP_2)
	v_add_co_ci_u32_e32 v19, vcc_lo, v19, v6, vcc_lo
	v_add_co_u32 v16, vcc_lo, v18, v16
	s_delay_alu instid0(VALU_DEP_2) | instskip(NEXT) | instid1(VALU_DEP_1)
	v_add_co_ci_u32_e32 v17, vcc_lo, v19, v17, vcc_lo
	v_lshlrev_b64 v[18:19], 3, v[16:17]
	s_delay_alu instid0(VALU_DEP_1) | instskip(NEXT) | instid1(VALU_DEP_2)
	v_add_co_u32 v18, vcc_lo, s18, v18
	v_add_co_ci_u32_e32 v19, vcc_lo, s19, v19, vcc_lo
	global_load_b64 v[18:19], v[18:19], off
	s_waitcnt vmcnt(0)
	v_cmp_lt_f64_e32 vcc_lo, v[18:19], v[3:4]
	v_add_co_u32 v18, s8, v16, 1
	s_delay_alu instid0(VALU_DEP_1) | instskip(SKIP_1) | instid1(VALU_DEP_2)
	v_add_co_ci_u32_e64 v19, s8, 0, v17, s8
	v_dual_cndmask_b32 v8, v17, v8 :: v_dual_cndmask_b32 v7, v16, v7
	v_dual_cndmask_b32 v6, v6, v19 :: v_dual_cndmask_b32 v5, v5, v18
	s_delay_alu instid0(VALU_DEP_1) | instskip(SKIP_1) | instid1(SALU_CYCLE_1)
	v_cmp_ge_u64_e32 vcc_lo, v[5:6], v[7:8]
	s_or_b32 s10, vcc_lo, s10
	s_and_not1_b32 exec_lo, exec_lo, s10
	s_cbranch_execnz .LBB177_158
; %bb.159:
	s_set_inst_prefetch_distance 0x2
	s_or_b32 exec_lo, exec_lo, s10
.LBB177_160:
	s_mov_b32 s10, 0
	s_mov_b32 s8, exec_lo
	v_cmpx_ne_u64_e64 s[20:21], v[5:6]
	s_cbranch_execz .LBB177_162
; %bb.161:
	v_lshlrev_b64 v[5:6], 3, v[5:6]
	s_delay_alu instid0(VALU_DEP_1) | instskip(NEXT) | instid1(VALU_DEP_2)
	v_add_co_u32 v5, vcc_lo, s18, v5
	v_add_co_ci_u32_e32 v6, vcc_lo, s19, v6, vcc_lo
	global_load_b64 v[5:6], v[5:6], off
	s_waitcnt vmcnt(0)
	v_cmp_ngt_f64_e32 vcc_lo, v[5:6], v[3:4]
	s_and_b32 s10, vcc_lo, exec_lo
.LBB177_162:
	s_or_b32 exec_lo, exec_lo, s8
	v_cndmask_b32_e64 v16, 0, 1, s10
.LBB177_163:
	s_or_b32 exec_lo, exec_lo, s9
	v_or_b32_e32 v3, 0x200, v0
                                        ; implicit-def: $vgpr17
	s_delay_alu instid0(VALU_DEP_1) | instskip(NEXT) | instid1(VALU_DEP_1)
	v_cmp_gt_u32_e64 s8, s25, v3
	s_and_saveexec_b32 s10, s8
	s_cbranch_execz .LBB177_171
; %bb.164:
	v_cvt_f64_u32_e32 v[3:4], v3
	v_mov_b32_e32 v5, 0
	v_mov_b32_e32 v6, 0
	s_and_not1_b32 vcc_lo, exec_lo, s16
	s_delay_alu instid0(VALU_DEP_3)
	v_add_f64 v[3:4], v[1:2], v[3:4]
	s_cbranch_vccnz .LBB177_168
; %bb.165:
	v_dual_mov_b32 v7, s20 :: v_dual_mov_b32 v8, s21
	s_mov_b32 s11, 0
	s_set_inst_prefetch_distance 0x1
	.p2align	6
.LBB177_166:                            ; =>This Inner Loop Header: Depth=1
	s_delay_alu instid0(VALU_DEP_1) | instskip(NEXT) | instid1(VALU_DEP_2)
	v_sub_co_u32 v17, vcc_lo, v7, v5
	v_sub_co_ci_u32_e32 v18, vcc_lo, v8, v6, vcc_lo
	s_delay_alu instid0(VALU_DEP_1) | instskip(SKIP_1) | instid1(VALU_DEP_2)
	v_lshrrev_b64 v[19:20], 1, v[17:18]
	v_lshrrev_b64 v[17:18], 6, v[17:18]
	v_add_co_u32 v19, vcc_lo, v19, v5
	s_delay_alu instid0(VALU_DEP_3) | instskip(NEXT) | instid1(VALU_DEP_2)
	v_add_co_ci_u32_e32 v20, vcc_lo, v20, v6, vcc_lo
	v_add_co_u32 v17, vcc_lo, v19, v17
	s_delay_alu instid0(VALU_DEP_2) | instskip(NEXT) | instid1(VALU_DEP_1)
	v_add_co_ci_u32_e32 v18, vcc_lo, v20, v18, vcc_lo
	v_lshlrev_b64 v[19:20], 3, v[17:18]
	s_delay_alu instid0(VALU_DEP_1) | instskip(NEXT) | instid1(VALU_DEP_2)
	v_add_co_u32 v19, vcc_lo, s18, v19
	v_add_co_ci_u32_e32 v20, vcc_lo, s19, v20, vcc_lo
	global_load_b64 v[19:20], v[19:20], off
	s_waitcnt vmcnt(0)
	v_cmp_lt_f64_e32 vcc_lo, v[19:20], v[3:4]
	v_add_co_u32 v19, s9, v17, 1
	s_delay_alu instid0(VALU_DEP_1) | instskip(SKIP_1) | instid1(VALU_DEP_2)
	v_add_co_ci_u32_e64 v20, s9, 0, v18, s9
	v_dual_cndmask_b32 v8, v18, v8 :: v_dual_cndmask_b32 v7, v17, v7
	v_dual_cndmask_b32 v6, v6, v20 :: v_dual_cndmask_b32 v5, v5, v19
	s_delay_alu instid0(VALU_DEP_1) | instskip(SKIP_1) | instid1(SALU_CYCLE_1)
	v_cmp_ge_u64_e32 vcc_lo, v[5:6], v[7:8]
	s_or_b32 s11, vcc_lo, s11
	s_and_not1_b32 exec_lo, exec_lo, s11
	s_cbranch_execnz .LBB177_166
; %bb.167:
	s_set_inst_prefetch_distance 0x2
	s_or_b32 exec_lo, exec_lo, s11
.LBB177_168:
	s_mov_b32 s11, 0
	s_mov_b32 s9, exec_lo
	v_cmpx_ne_u64_e64 s[20:21], v[5:6]
	s_cbranch_execz .LBB177_170
; %bb.169:
	v_lshlrev_b64 v[5:6], 3, v[5:6]
	s_delay_alu instid0(VALU_DEP_1) | instskip(NEXT) | instid1(VALU_DEP_2)
	v_add_co_u32 v5, vcc_lo, s18, v5
	v_add_co_ci_u32_e32 v6, vcc_lo, s19, v6, vcc_lo
	global_load_b64 v[5:6], v[5:6], off
	s_waitcnt vmcnt(0)
	v_cmp_ngt_f64_e32 vcc_lo, v[5:6], v[3:4]
	s_and_b32 s11, vcc_lo, exec_lo
.LBB177_170:
	s_or_b32 exec_lo, exec_lo, s9
	v_cndmask_b32_e64 v17, 0, 1, s11
.LBB177_171:
	s_or_b32 exec_lo, exec_lo, s10
	v_or_b32_e32 v3, 0x240, v0
                                        ; implicit-def: $vgpr18
	s_delay_alu instid0(VALU_DEP_1) | instskip(NEXT) | instid1(VALU_DEP_1)
	v_cmp_gt_u32_e64 s9, s25, v3
	s_and_saveexec_b32 s11, s9
	s_cbranch_execz .LBB177_179
; %bb.172:
	v_cvt_f64_u32_e32 v[3:4], v3
	v_mov_b32_e32 v5, 0
	v_mov_b32_e32 v6, 0
	s_and_not1_b32 vcc_lo, exec_lo, s16
	s_delay_alu instid0(VALU_DEP_3)
	v_add_f64 v[3:4], v[1:2], v[3:4]
	s_cbranch_vccnz .LBB177_176
; %bb.173:
	v_dual_mov_b32 v7, s20 :: v_dual_mov_b32 v8, s21
	s_mov_b32 s12, 0
	s_set_inst_prefetch_distance 0x1
	.p2align	6
.LBB177_174:                            ; =>This Inner Loop Header: Depth=1
	s_delay_alu instid0(VALU_DEP_1) | instskip(NEXT) | instid1(VALU_DEP_2)
	v_sub_co_u32 v18, vcc_lo, v7, v5
	v_sub_co_ci_u32_e32 v19, vcc_lo, v8, v6, vcc_lo
	s_delay_alu instid0(VALU_DEP_1) | instskip(SKIP_1) | instid1(VALU_DEP_2)
	v_lshrrev_b64 v[20:21], 1, v[18:19]
	v_lshrrev_b64 v[18:19], 6, v[18:19]
	v_add_co_u32 v20, vcc_lo, v20, v5
	s_delay_alu instid0(VALU_DEP_3) | instskip(NEXT) | instid1(VALU_DEP_2)
	v_add_co_ci_u32_e32 v21, vcc_lo, v21, v6, vcc_lo
	v_add_co_u32 v18, vcc_lo, v20, v18
	s_delay_alu instid0(VALU_DEP_2) | instskip(NEXT) | instid1(VALU_DEP_1)
	v_add_co_ci_u32_e32 v19, vcc_lo, v21, v19, vcc_lo
	v_lshlrev_b64 v[20:21], 3, v[18:19]
	s_delay_alu instid0(VALU_DEP_1) | instskip(NEXT) | instid1(VALU_DEP_2)
	v_add_co_u32 v20, vcc_lo, s18, v20
	v_add_co_ci_u32_e32 v21, vcc_lo, s19, v21, vcc_lo
	global_load_b64 v[20:21], v[20:21], off
	s_waitcnt vmcnt(0)
	v_cmp_lt_f64_e32 vcc_lo, v[20:21], v[3:4]
	v_add_co_u32 v20, s10, v18, 1
	s_delay_alu instid0(VALU_DEP_1) | instskip(SKIP_1) | instid1(VALU_DEP_2)
	v_add_co_ci_u32_e64 v21, s10, 0, v19, s10
	v_dual_cndmask_b32 v8, v19, v8 :: v_dual_cndmask_b32 v7, v18, v7
	v_dual_cndmask_b32 v6, v6, v21 :: v_dual_cndmask_b32 v5, v5, v20
	s_delay_alu instid0(VALU_DEP_1) | instskip(SKIP_1) | instid1(SALU_CYCLE_1)
	v_cmp_ge_u64_e32 vcc_lo, v[5:6], v[7:8]
	s_or_b32 s12, vcc_lo, s12
	s_and_not1_b32 exec_lo, exec_lo, s12
	s_cbranch_execnz .LBB177_174
; %bb.175:
	s_set_inst_prefetch_distance 0x2
	s_or_b32 exec_lo, exec_lo, s12
.LBB177_176:
	s_mov_b32 s12, 0
	s_mov_b32 s10, exec_lo
	v_cmpx_ne_u64_e64 s[20:21], v[5:6]
	s_cbranch_execz .LBB177_178
; %bb.177:
	v_lshlrev_b64 v[5:6], 3, v[5:6]
	s_delay_alu instid0(VALU_DEP_1) | instskip(NEXT) | instid1(VALU_DEP_2)
	v_add_co_u32 v5, vcc_lo, s18, v5
	v_add_co_ci_u32_e32 v6, vcc_lo, s19, v6, vcc_lo
	global_load_b64 v[5:6], v[5:6], off
	s_waitcnt vmcnt(0)
	v_cmp_ngt_f64_e32 vcc_lo, v[5:6], v[3:4]
	s_and_b32 s12, vcc_lo, exec_lo
.LBB177_178:
	s_or_b32 exec_lo, exec_lo, s10
	v_cndmask_b32_e64 v18, 0, 1, s12
.LBB177_179:
	s_or_b32 exec_lo, exec_lo, s11
	v_or_b32_e32 v3, 0x280, v0
                                        ; implicit-def: $vgpr19
	s_delay_alu instid0(VALU_DEP_1) | instskip(NEXT) | instid1(VALU_DEP_1)
	v_cmp_gt_u32_e64 s10, s25, v3
	s_and_saveexec_b32 s12, s10
	s_cbranch_execz .LBB177_187
; %bb.180:
	v_cvt_f64_u32_e32 v[3:4], v3
	v_mov_b32_e32 v5, 0
	v_mov_b32_e32 v6, 0
	s_and_not1_b32 vcc_lo, exec_lo, s16
	s_delay_alu instid0(VALU_DEP_3)
	v_add_f64 v[3:4], v[1:2], v[3:4]
	s_cbranch_vccnz .LBB177_184
; %bb.181:
	v_dual_mov_b32 v7, s20 :: v_dual_mov_b32 v8, s21
	s_mov_b32 s13, 0
	s_set_inst_prefetch_distance 0x1
	.p2align	6
.LBB177_182:                            ; =>This Inner Loop Header: Depth=1
	s_delay_alu instid0(VALU_DEP_1) | instskip(NEXT) | instid1(VALU_DEP_2)
	v_sub_co_u32 v19, vcc_lo, v7, v5
	v_sub_co_ci_u32_e32 v20, vcc_lo, v8, v6, vcc_lo
	s_delay_alu instid0(VALU_DEP_1) | instskip(SKIP_1) | instid1(VALU_DEP_2)
	v_lshrrev_b64 v[21:22], 1, v[19:20]
	v_lshrrev_b64 v[19:20], 6, v[19:20]
	v_add_co_u32 v21, vcc_lo, v21, v5
	s_delay_alu instid0(VALU_DEP_3) | instskip(NEXT) | instid1(VALU_DEP_2)
	v_add_co_ci_u32_e32 v22, vcc_lo, v22, v6, vcc_lo
	v_add_co_u32 v19, vcc_lo, v21, v19
	s_delay_alu instid0(VALU_DEP_2) | instskip(NEXT) | instid1(VALU_DEP_1)
	v_add_co_ci_u32_e32 v20, vcc_lo, v22, v20, vcc_lo
	v_lshlrev_b64 v[21:22], 3, v[19:20]
	s_delay_alu instid0(VALU_DEP_1) | instskip(NEXT) | instid1(VALU_DEP_2)
	v_add_co_u32 v21, vcc_lo, s18, v21
	v_add_co_ci_u32_e32 v22, vcc_lo, s19, v22, vcc_lo
	global_load_b64 v[21:22], v[21:22], off
	s_waitcnt vmcnt(0)
	v_cmp_lt_f64_e32 vcc_lo, v[21:22], v[3:4]
	v_add_co_u32 v21, s11, v19, 1
	s_delay_alu instid0(VALU_DEP_1) | instskip(SKIP_1) | instid1(VALU_DEP_2)
	v_add_co_ci_u32_e64 v22, s11, 0, v20, s11
	v_dual_cndmask_b32 v8, v20, v8 :: v_dual_cndmask_b32 v7, v19, v7
	v_dual_cndmask_b32 v6, v6, v22 :: v_dual_cndmask_b32 v5, v5, v21
	s_delay_alu instid0(VALU_DEP_1) | instskip(SKIP_1) | instid1(SALU_CYCLE_1)
	v_cmp_ge_u64_e32 vcc_lo, v[5:6], v[7:8]
	s_or_b32 s13, vcc_lo, s13
	s_and_not1_b32 exec_lo, exec_lo, s13
	s_cbranch_execnz .LBB177_182
; %bb.183:
	s_set_inst_prefetch_distance 0x2
	s_or_b32 exec_lo, exec_lo, s13
.LBB177_184:
	s_mov_b32 s13, 0
	s_mov_b32 s11, exec_lo
	v_cmpx_ne_u64_e64 s[20:21], v[5:6]
	s_cbranch_execz .LBB177_186
; %bb.185:
	v_lshlrev_b64 v[5:6], 3, v[5:6]
	s_delay_alu instid0(VALU_DEP_1) | instskip(NEXT) | instid1(VALU_DEP_2)
	v_add_co_u32 v5, vcc_lo, s18, v5
	v_add_co_ci_u32_e32 v6, vcc_lo, s19, v6, vcc_lo
	global_load_b64 v[5:6], v[5:6], off
	s_waitcnt vmcnt(0)
	v_cmp_ngt_f64_e32 vcc_lo, v[5:6], v[3:4]
	s_and_b32 s13, vcc_lo, exec_lo
.LBB177_186:
	s_or_b32 exec_lo, exec_lo, s11
	v_cndmask_b32_e64 v19, 0, 1, s13
.LBB177_187:
	s_or_b32 exec_lo, exec_lo, s12
	v_or_b32_e32 v3, 0x2c0, v0
                                        ; implicit-def: $vgpr20
	s_delay_alu instid0(VALU_DEP_1) | instskip(NEXT) | instid1(VALU_DEP_1)
	v_cmp_gt_u32_e64 s11, s25, v3
	s_and_saveexec_b32 s13, s11
	s_cbranch_execz .LBB177_195
; %bb.188:
	v_cvt_f64_u32_e32 v[3:4], v3
	v_mov_b32_e32 v5, 0
	v_mov_b32_e32 v6, 0
	s_and_not1_b32 vcc_lo, exec_lo, s16
	s_delay_alu instid0(VALU_DEP_3)
	v_add_f64 v[3:4], v[1:2], v[3:4]
	s_cbranch_vccnz .LBB177_192
; %bb.189:
	v_dual_mov_b32 v7, s20 :: v_dual_mov_b32 v8, s21
	s_mov_b32 s14, 0
	s_set_inst_prefetch_distance 0x1
	.p2align	6
.LBB177_190:                            ; =>This Inner Loop Header: Depth=1
	s_delay_alu instid0(VALU_DEP_1) | instskip(NEXT) | instid1(VALU_DEP_2)
	v_sub_co_u32 v20, vcc_lo, v7, v5
	v_sub_co_ci_u32_e32 v21, vcc_lo, v8, v6, vcc_lo
	s_delay_alu instid0(VALU_DEP_1) | instskip(SKIP_1) | instid1(VALU_DEP_2)
	v_lshrrev_b64 v[22:23], 1, v[20:21]
	v_lshrrev_b64 v[20:21], 6, v[20:21]
	v_add_co_u32 v22, vcc_lo, v22, v5
	s_delay_alu instid0(VALU_DEP_3) | instskip(NEXT) | instid1(VALU_DEP_2)
	v_add_co_ci_u32_e32 v23, vcc_lo, v23, v6, vcc_lo
	v_add_co_u32 v20, vcc_lo, v22, v20
	s_delay_alu instid0(VALU_DEP_2) | instskip(NEXT) | instid1(VALU_DEP_1)
	v_add_co_ci_u32_e32 v21, vcc_lo, v23, v21, vcc_lo
	v_lshlrev_b64 v[22:23], 3, v[20:21]
	s_delay_alu instid0(VALU_DEP_1) | instskip(NEXT) | instid1(VALU_DEP_2)
	v_add_co_u32 v22, vcc_lo, s18, v22
	v_add_co_ci_u32_e32 v23, vcc_lo, s19, v23, vcc_lo
	global_load_b64 v[22:23], v[22:23], off
	s_waitcnt vmcnt(0)
	v_cmp_lt_f64_e32 vcc_lo, v[22:23], v[3:4]
	v_add_co_u32 v22, s12, v20, 1
	s_delay_alu instid0(VALU_DEP_1) | instskip(SKIP_1) | instid1(VALU_DEP_2)
	v_add_co_ci_u32_e64 v23, s12, 0, v21, s12
	v_dual_cndmask_b32 v8, v21, v8 :: v_dual_cndmask_b32 v7, v20, v7
	v_dual_cndmask_b32 v6, v6, v23 :: v_dual_cndmask_b32 v5, v5, v22
	s_delay_alu instid0(VALU_DEP_1) | instskip(SKIP_1) | instid1(SALU_CYCLE_1)
	v_cmp_ge_u64_e32 vcc_lo, v[5:6], v[7:8]
	s_or_b32 s14, vcc_lo, s14
	s_and_not1_b32 exec_lo, exec_lo, s14
	s_cbranch_execnz .LBB177_190
; %bb.191:
	s_set_inst_prefetch_distance 0x2
	s_or_b32 exec_lo, exec_lo, s14
.LBB177_192:
	s_mov_b32 s14, 0
	s_mov_b32 s12, exec_lo
	v_cmpx_ne_u64_e64 s[20:21], v[5:6]
	s_cbranch_execz .LBB177_194
; %bb.193:
	v_lshlrev_b64 v[5:6], 3, v[5:6]
	s_delay_alu instid0(VALU_DEP_1) | instskip(NEXT) | instid1(VALU_DEP_2)
	v_add_co_u32 v5, vcc_lo, s18, v5
	v_add_co_ci_u32_e32 v6, vcc_lo, s19, v6, vcc_lo
	global_load_b64 v[5:6], v[5:6], off
	s_waitcnt vmcnt(0)
	v_cmp_ngt_f64_e32 vcc_lo, v[5:6], v[3:4]
	s_and_b32 s14, vcc_lo, exec_lo
.LBB177_194:
	s_or_b32 exec_lo, exec_lo, s12
	v_cndmask_b32_e64 v20, 0, 1, s14
.LBB177_195:
	s_or_b32 exec_lo, exec_lo, s13
	v_or_b32_e32 v3, 0x300, v0
                                        ; implicit-def: $vgpr21
	s_delay_alu instid0(VALU_DEP_1) | instskip(NEXT) | instid1(VALU_DEP_1)
	v_cmp_gt_u32_e64 s12, s25, v3
	s_and_saveexec_b32 s14, s12
	s_cbranch_execz .LBB177_203
; %bb.196:
	v_cvt_f64_u32_e32 v[3:4], v3
	v_mov_b32_e32 v5, 0
	v_mov_b32_e32 v6, 0
	s_and_not1_b32 vcc_lo, exec_lo, s16
	s_delay_alu instid0(VALU_DEP_3)
	v_add_f64 v[3:4], v[1:2], v[3:4]
	s_cbranch_vccnz .LBB177_200
; %bb.197:
	v_dual_mov_b32 v7, s20 :: v_dual_mov_b32 v8, s21
	s_mov_b32 s15, 0
	s_set_inst_prefetch_distance 0x1
	.p2align	6
.LBB177_198:                            ; =>This Inner Loop Header: Depth=1
	s_delay_alu instid0(VALU_DEP_1) | instskip(NEXT) | instid1(VALU_DEP_2)
	v_sub_co_u32 v21, vcc_lo, v7, v5
	v_sub_co_ci_u32_e32 v22, vcc_lo, v8, v6, vcc_lo
	s_delay_alu instid0(VALU_DEP_1) | instskip(SKIP_1) | instid1(VALU_DEP_2)
	v_lshrrev_b64 v[23:24], 1, v[21:22]
	v_lshrrev_b64 v[21:22], 6, v[21:22]
	v_add_co_u32 v23, vcc_lo, v23, v5
	s_delay_alu instid0(VALU_DEP_3) | instskip(NEXT) | instid1(VALU_DEP_2)
	v_add_co_ci_u32_e32 v24, vcc_lo, v24, v6, vcc_lo
	v_add_co_u32 v21, vcc_lo, v23, v21
	s_delay_alu instid0(VALU_DEP_2) | instskip(NEXT) | instid1(VALU_DEP_1)
	v_add_co_ci_u32_e32 v22, vcc_lo, v24, v22, vcc_lo
	v_lshlrev_b64 v[23:24], 3, v[21:22]
	s_delay_alu instid0(VALU_DEP_1) | instskip(NEXT) | instid1(VALU_DEP_2)
	v_add_co_u32 v23, vcc_lo, s18, v23
	v_add_co_ci_u32_e32 v24, vcc_lo, s19, v24, vcc_lo
	global_load_b64 v[23:24], v[23:24], off
	s_waitcnt vmcnt(0)
	v_cmp_lt_f64_e32 vcc_lo, v[23:24], v[3:4]
	v_add_co_u32 v23, s13, v21, 1
	s_delay_alu instid0(VALU_DEP_1) | instskip(SKIP_1) | instid1(VALU_DEP_2)
	v_add_co_ci_u32_e64 v24, s13, 0, v22, s13
	v_dual_cndmask_b32 v8, v22, v8 :: v_dual_cndmask_b32 v7, v21, v7
	v_dual_cndmask_b32 v6, v6, v24 :: v_dual_cndmask_b32 v5, v5, v23
	s_delay_alu instid0(VALU_DEP_1) | instskip(SKIP_1) | instid1(SALU_CYCLE_1)
	v_cmp_ge_u64_e32 vcc_lo, v[5:6], v[7:8]
	s_or_b32 s15, vcc_lo, s15
	s_and_not1_b32 exec_lo, exec_lo, s15
	s_cbranch_execnz .LBB177_198
; %bb.199:
	s_set_inst_prefetch_distance 0x2
	s_or_b32 exec_lo, exec_lo, s15
.LBB177_200:
	s_mov_b32 s15, 0
	s_mov_b32 s13, exec_lo
	v_cmpx_ne_u64_e64 s[20:21], v[5:6]
	s_cbranch_execz .LBB177_202
; %bb.201:
	v_lshlrev_b64 v[5:6], 3, v[5:6]
	s_delay_alu instid0(VALU_DEP_1) | instskip(NEXT) | instid1(VALU_DEP_2)
	v_add_co_u32 v5, vcc_lo, s18, v5
	v_add_co_ci_u32_e32 v6, vcc_lo, s19, v6, vcc_lo
	global_load_b64 v[5:6], v[5:6], off
	s_waitcnt vmcnt(0)
	v_cmp_ngt_f64_e32 vcc_lo, v[5:6], v[3:4]
	s_and_b32 s15, vcc_lo, exec_lo
.LBB177_202:
	s_or_b32 exec_lo, exec_lo, s13
	v_cndmask_b32_e64 v21, 0, 1, s15
.LBB177_203:
	s_or_b32 exec_lo, exec_lo, s14
	v_or_b32_e32 v3, 0x340, v0
                                        ; implicit-def: $vgpr22
	s_delay_alu instid0(VALU_DEP_1) | instskip(NEXT) | instid1(VALU_DEP_1)
	v_cmp_gt_u32_e64 s13, s25, v3
	s_and_saveexec_b32 s15, s13
	s_cbranch_execz .LBB177_211
; %bb.204:
	v_cvt_f64_u32_e32 v[3:4], v3
	v_mov_b32_e32 v5, 0
	v_mov_b32_e32 v6, 0
	s_and_not1_b32 vcc_lo, exec_lo, s16
	s_delay_alu instid0(VALU_DEP_3)
	v_add_f64 v[3:4], v[1:2], v[3:4]
	s_cbranch_vccnz .LBB177_208
; %bb.205:
	v_dual_mov_b32 v7, s20 :: v_dual_mov_b32 v8, s21
	s_mov_b32 s26, 0
	s_set_inst_prefetch_distance 0x1
	.p2align	6
.LBB177_206:                            ; =>This Inner Loop Header: Depth=1
	s_delay_alu instid0(VALU_DEP_1) | instskip(NEXT) | instid1(VALU_DEP_2)
	v_sub_co_u32 v22, vcc_lo, v7, v5
	v_sub_co_ci_u32_e32 v23, vcc_lo, v8, v6, vcc_lo
	s_delay_alu instid0(VALU_DEP_1) | instskip(SKIP_1) | instid1(VALU_DEP_2)
	v_lshrrev_b64 v[24:25], 1, v[22:23]
	v_lshrrev_b64 v[22:23], 6, v[22:23]
	v_add_co_u32 v24, vcc_lo, v24, v5
	s_delay_alu instid0(VALU_DEP_3) | instskip(NEXT) | instid1(VALU_DEP_2)
	v_add_co_ci_u32_e32 v25, vcc_lo, v25, v6, vcc_lo
	v_add_co_u32 v22, vcc_lo, v24, v22
	s_delay_alu instid0(VALU_DEP_2) | instskip(NEXT) | instid1(VALU_DEP_1)
	v_add_co_ci_u32_e32 v23, vcc_lo, v25, v23, vcc_lo
	v_lshlrev_b64 v[24:25], 3, v[22:23]
	s_delay_alu instid0(VALU_DEP_1) | instskip(NEXT) | instid1(VALU_DEP_2)
	v_add_co_u32 v24, vcc_lo, s18, v24
	v_add_co_ci_u32_e32 v25, vcc_lo, s19, v25, vcc_lo
	global_load_b64 v[24:25], v[24:25], off
	s_waitcnt vmcnt(0)
	v_cmp_lt_f64_e32 vcc_lo, v[24:25], v[3:4]
	v_add_co_u32 v24, s14, v22, 1
	s_delay_alu instid0(VALU_DEP_1) | instskip(SKIP_1) | instid1(VALU_DEP_2)
	v_add_co_ci_u32_e64 v25, s14, 0, v23, s14
	v_dual_cndmask_b32 v8, v23, v8 :: v_dual_cndmask_b32 v7, v22, v7
	v_dual_cndmask_b32 v6, v6, v25 :: v_dual_cndmask_b32 v5, v5, v24
	s_delay_alu instid0(VALU_DEP_1) | instskip(SKIP_1) | instid1(SALU_CYCLE_1)
	v_cmp_ge_u64_e32 vcc_lo, v[5:6], v[7:8]
	s_or_b32 s26, vcc_lo, s26
	s_and_not1_b32 exec_lo, exec_lo, s26
	s_cbranch_execnz .LBB177_206
; %bb.207:
	s_set_inst_prefetch_distance 0x2
	s_or_b32 exec_lo, exec_lo, s26
.LBB177_208:
	s_mov_b32 s26, 0
	s_mov_b32 s14, exec_lo
	v_cmpx_ne_u64_e64 s[20:21], v[5:6]
	s_cbranch_execz .LBB177_210
; %bb.209:
	v_lshlrev_b64 v[5:6], 3, v[5:6]
	s_delay_alu instid0(VALU_DEP_1) | instskip(NEXT) | instid1(VALU_DEP_2)
	v_add_co_u32 v5, vcc_lo, s18, v5
	v_add_co_ci_u32_e32 v6, vcc_lo, s19, v6, vcc_lo
	global_load_b64 v[5:6], v[5:6], off
	s_waitcnt vmcnt(0)
	v_cmp_ngt_f64_e32 vcc_lo, v[5:6], v[3:4]
	s_and_b32 s26, vcc_lo, exec_lo
.LBB177_210:
	s_or_b32 exec_lo, exec_lo, s14
	v_cndmask_b32_e64 v22, 0, 1, s26
.LBB177_211:
	s_or_b32 exec_lo, exec_lo, s15
	v_or_b32_e32 v3, 0x380, v0
                                        ; implicit-def: $vgpr7
	s_delay_alu instid0(VALU_DEP_1) | instskip(NEXT) | instid1(VALU_DEP_1)
	v_cmp_gt_u32_e64 s14, s25, v3
	s_and_saveexec_b32 s26, s14
	s_cbranch_execz .LBB177_219
; %bb.212:
	v_cvt_f64_u32_e32 v[3:4], v3
	v_mov_b32_e32 v5, 0
	v_mov_b32_e32 v6, 0
	s_and_not1_b32 vcc_lo, exec_lo, s16
	s_delay_alu instid0(VALU_DEP_3)
	v_add_f64 v[3:4], v[1:2], v[3:4]
	s_cbranch_vccnz .LBB177_216
; %bb.213:
	v_dual_mov_b32 v7, s20 :: v_dual_mov_b32 v8, s21
	s_mov_b32 s27, 0
	s_set_inst_prefetch_distance 0x1
	.p2align	6
.LBB177_214:                            ; =>This Inner Loop Header: Depth=1
	s_delay_alu instid0(VALU_DEP_1) | instskip(NEXT) | instid1(VALU_DEP_2)
	v_sub_co_u32 v23, vcc_lo, v7, v5
	v_sub_co_ci_u32_e32 v24, vcc_lo, v8, v6, vcc_lo
	s_delay_alu instid0(VALU_DEP_1) | instskip(SKIP_1) | instid1(VALU_DEP_2)
	v_lshrrev_b64 v[25:26], 1, v[23:24]
	v_lshrrev_b64 v[23:24], 6, v[23:24]
	v_add_co_u32 v25, vcc_lo, v25, v5
	s_delay_alu instid0(VALU_DEP_3) | instskip(NEXT) | instid1(VALU_DEP_2)
	v_add_co_ci_u32_e32 v26, vcc_lo, v26, v6, vcc_lo
	v_add_co_u32 v23, vcc_lo, v25, v23
	s_delay_alu instid0(VALU_DEP_2) | instskip(NEXT) | instid1(VALU_DEP_1)
	v_add_co_ci_u32_e32 v24, vcc_lo, v26, v24, vcc_lo
	v_lshlrev_b64 v[25:26], 3, v[23:24]
	s_delay_alu instid0(VALU_DEP_1) | instskip(NEXT) | instid1(VALU_DEP_2)
	v_add_co_u32 v25, vcc_lo, s18, v25
	v_add_co_ci_u32_e32 v26, vcc_lo, s19, v26, vcc_lo
	global_load_b64 v[25:26], v[25:26], off
	s_waitcnt vmcnt(0)
	v_cmp_lt_f64_e32 vcc_lo, v[25:26], v[3:4]
	v_add_co_u32 v25, s15, v23, 1
	s_delay_alu instid0(VALU_DEP_1) | instskip(SKIP_1) | instid1(VALU_DEP_2)
	v_add_co_ci_u32_e64 v26, s15, 0, v24, s15
	v_dual_cndmask_b32 v8, v24, v8 :: v_dual_cndmask_b32 v7, v23, v7
	v_dual_cndmask_b32 v6, v6, v26 :: v_dual_cndmask_b32 v5, v5, v25
	s_delay_alu instid0(VALU_DEP_1) | instskip(SKIP_1) | instid1(SALU_CYCLE_1)
	v_cmp_ge_u64_e32 vcc_lo, v[5:6], v[7:8]
	s_or_b32 s27, vcc_lo, s27
	s_and_not1_b32 exec_lo, exec_lo, s27
	s_cbranch_execnz .LBB177_214
; %bb.215:
	s_set_inst_prefetch_distance 0x2
	s_or_b32 exec_lo, exec_lo, s27
.LBB177_216:
	s_mov_b32 s27, 0
	s_mov_b32 s15, exec_lo
	v_cmpx_ne_u64_e64 s[20:21], v[5:6]
	s_cbranch_execz .LBB177_218
; %bb.217:
	v_lshlrev_b64 v[5:6], 3, v[5:6]
	s_delay_alu instid0(VALU_DEP_1) | instskip(NEXT) | instid1(VALU_DEP_2)
	v_add_co_u32 v5, vcc_lo, s18, v5
	v_add_co_ci_u32_e32 v6, vcc_lo, s19, v6, vcc_lo
	global_load_b64 v[5:6], v[5:6], off
	s_waitcnt vmcnt(0)
	v_cmp_ngt_f64_e32 vcc_lo, v[5:6], v[3:4]
	s_and_b32 s27, vcc_lo, exec_lo
.LBB177_218:
	s_or_b32 exec_lo, exec_lo, s15
	v_cndmask_b32_e64 v7, 0, 1, s27
.LBB177_219:
	s_or_b32 exec_lo, exec_lo, s26
	v_or_b32_e32 v3, 0x3c0, v0
                                        ; implicit-def: $vgpr5
	s_delay_alu instid0(VALU_DEP_1) | instskip(NEXT) | instid1(VALU_DEP_1)
	v_cmp_gt_u32_e64 s15, s25, v3
	s_and_saveexec_b32 s25, s15
	s_cbranch_execz .LBB177_227
; %bb.220:
	v_cvt_f64_u32_e32 v[3:4], v3
	s_and_not1_b32 vcc_lo, exec_lo, s16
	s_delay_alu instid0(VALU_DEP_1)
	v_add_f64 v[1:2], v[1:2], v[3:4]
	v_mov_b32_e32 v3, 0
	v_mov_b32_e32 v4, 0
	s_cbranch_vccnz .LBB177_224
; %bb.221:
	v_dual_mov_b32 v5, s20 :: v_dual_mov_b32 v6, s21
	s_mov_b32 s26, 0
	s_set_inst_prefetch_distance 0x1
	.p2align	6
.LBB177_222:                            ; =>This Inner Loop Header: Depth=1
	s_delay_alu instid0(VALU_DEP_1) | instskip(NEXT) | instid1(VALU_DEP_2)
	v_sub_co_u32 v23, vcc_lo, v5, v3
	v_sub_co_ci_u32_e32 v24, vcc_lo, v6, v4, vcc_lo
	s_delay_alu instid0(VALU_DEP_1) | instskip(SKIP_1) | instid1(VALU_DEP_2)
	v_lshrrev_b64 v[25:26], 1, v[23:24]
	v_lshrrev_b64 v[23:24], 6, v[23:24]
	v_add_co_u32 v8, vcc_lo, v25, v3
	s_delay_alu instid0(VALU_DEP_3) | instskip(NEXT) | instid1(VALU_DEP_2)
	v_add_co_ci_u32_e32 v25, vcc_lo, v26, v4, vcc_lo
	v_add_co_u32 v23, vcc_lo, v8, v23
	s_delay_alu instid0(VALU_DEP_2) | instskip(NEXT) | instid1(VALU_DEP_2)
	v_add_co_ci_u32_e32 v24, vcc_lo, v25, v24, vcc_lo
	v_add_co_u32 v8, s16, v23, 1
	s_delay_alu instid0(VALU_DEP_2) | instskip(NEXT) | instid1(VALU_DEP_1)
	v_lshlrev_b64 v[25:26], 3, v[23:24]
	v_add_co_u32 v25, vcc_lo, s18, v25
	s_delay_alu instid0(VALU_DEP_2)
	v_add_co_ci_u32_e32 v26, vcc_lo, s19, v26, vcc_lo
	global_load_b64 v[25:26], v[25:26], off
	s_waitcnt vmcnt(0)
	v_cmp_lt_f64_e32 vcc_lo, v[25:26], v[1:2]
	v_add_co_ci_u32_e64 v25, s16, 0, v24, s16
	v_dual_cndmask_b32 v6, v24, v6 :: v_dual_cndmask_b32 v5, v23, v5
	s_delay_alu instid0(VALU_DEP_2) | instskip(NEXT) | instid1(VALU_DEP_1)
	v_dual_cndmask_b32 v4, v4, v25 :: v_dual_cndmask_b32 v3, v3, v8
	v_cmp_ge_u64_e32 vcc_lo, v[3:4], v[5:6]
	s_or_b32 s26, vcc_lo, s26
	s_delay_alu instid0(SALU_CYCLE_1)
	s_and_not1_b32 exec_lo, exec_lo, s26
	s_cbranch_execnz .LBB177_222
; %bb.223:
	s_set_inst_prefetch_distance 0x2
	s_or_b32 exec_lo, exec_lo, s26
.LBB177_224:
	s_delay_alu instid0(VALU_DEP_1)
	v_cmp_ne_u64_e32 vcc_lo, s[20:21], v[3:4]
	s_mov_b32 s20, 0
	s_and_saveexec_b32 s16, vcc_lo
	s_cbranch_execz .LBB177_226
; %bb.225:
	v_lshlrev_b64 v[3:4], 3, v[3:4]
	s_delay_alu instid0(VALU_DEP_1) | instskip(NEXT) | instid1(VALU_DEP_2)
	v_add_co_u32 v3, vcc_lo, s18, v3
	v_add_co_ci_u32_e32 v4, vcc_lo, s19, v4, vcc_lo
	global_load_b64 v[3:4], v[3:4], off
	s_waitcnt vmcnt(0)
	v_cmp_ngt_f64_e32 vcc_lo, v[3:4], v[1:2]
	s_and_b32 s20, vcc_lo, exec_lo
.LBB177_226:
	s_or_b32 exec_lo, exec_lo, s16
	v_cndmask_b32_e64 v5, 0, 1, s20
.LBB177_227:
	s_or_b32 exec_lo, exec_lo, s25
	s_add_u32 s16, s22, s23
	s_addc_u32 s17, s17, 0
	v_add_co_u32 v3, s16, s16, v0
	s_delay_alu instid0(VALU_DEP_1) | instskip(SKIP_1) | instid1(SALU_CYCLE_1)
	v_add_co_ci_u32_e64 v4, null, s17, 0, s16
	s_and_saveexec_b32 s16, s0
	s_xor_b32 s0, exec_lo, s16
	s_cbranch_execnz .LBB177_248
; %bb.228:
	s_or_b32 exec_lo, exec_lo, s0
	s_and_saveexec_b32 s0, s1
	s_cbranch_execnz .LBB177_249
.LBB177_229:
	s_or_b32 exec_lo, exec_lo, s0
	s_and_saveexec_b32 s0, s2
	s_cbranch_execnz .LBB177_250
.LBB177_230:
	s_or_b32 exec_lo, exec_lo, s0
	s_and_saveexec_b32 s0, s3
	s_cbranch_execnz .LBB177_251
.LBB177_231:
	s_or_b32 exec_lo, exec_lo, s0
	s_and_saveexec_b32 s0, s4
	s_cbranch_execnz .LBB177_252
.LBB177_232:
	s_or_b32 exec_lo, exec_lo, s0
	s_and_saveexec_b32 s0, s5
	s_cbranch_execnz .LBB177_253
.LBB177_233:
	s_or_b32 exec_lo, exec_lo, s0
	s_and_saveexec_b32 s0, s6
	s_cbranch_execnz .LBB177_254
.LBB177_234:
	s_or_b32 exec_lo, exec_lo, s0
	s_and_saveexec_b32 s0, s7
	s_cbranch_execnz .LBB177_255
.LBB177_235:
	s_or_b32 exec_lo, exec_lo, s0
	s_and_saveexec_b32 s0, s8
	s_cbranch_execnz .LBB177_256
.LBB177_236:
	s_or_b32 exec_lo, exec_lo, s0
	s_and_saveexec_b32 s0, s9
	s_cbranch_execnz .LBB177_257
.LBB177_237:
	s_or_b32 exec_lo, exec_lo, s0
	s_and_saveexec_b32 s0, s10
	s_cbranch_execnz .LBB177_258
.LBB177_238:
	s_or_b32 exec_lo, exec_lo, s0
	s_and_saveexec_b32 s0, s11
	s_cbranch_execnz .LBB177_259
.LBB177_239:
	s_or_b32 exec_lo, exec_lo, s0
	s_and_saveexec_b32 s0, s12
	s_cbranch_execnz .LBB177_260
.LBB177_240:
	s_or_b32 exec_lo, exec_lo, s0
	s_and_saveexec_b32 s0, s13
	s_cbranch_execnz .LBB177_261
.LBB177_241:
	s_or_b32 exec_lo, exec_lo, s0
	s_and_saveexec_b32 s0, s14
	s_cbranch_execnz .LBB177_262
.LBB177_242:
	s_or_b32 exec_lo, exec_lo, s0
	s_and_saveexec_b32 s0, s15
.LBB177_243:
	s_or_b32 s24, s24, exec_lo
.LBB177_244:
	s_or_b32 exec_lo, exec_lo, s0
.LBB177_245:
	s_and_saveexec_b32 s0, s24
	s_cbranch_execnz .LBB177_247
; %bb.246:
	s_nop 0
	s_sendmsg sendmsg(MSG_DEALLOC_VGPRS)
	s_endpgm
.LBB177_247:
	global_store_b8 v[3:4], v5, off offset:960
	s_nop 0
	s_sendmsg sendmsg(MSG_DEALLOC_VGPRS)
	s_endpgm
.LBB177_248:
	global_store_b8 v[3:4], v9, off
	s_or_b32 exec_lo, exec_lo, s0
	s_and_saveexec_b32 s0, s1
	s_cbranch_execz .LBB177_229
.LBB177_249:
	global_store_b8 v[3:4], v10, off offset:64
	s_or_b32 exec_lo, exec_lo, s0
	s_and_saveexec_b32 s0, s2
	s_cbranch_execz .LBB177_230
.LBB177_250:
	global_store_b8 v[3:4], v11, off offset:128
	s_or_b32 exec_lo, exec_lo, s0
	s_and_saveexec_b32 s0, s3
	s_cbranch_execz .LBB177_231
.LBB177_251:
	global_store_b8 v[3:4], v12, off offset:192
	s_or_b32 exec_lo, exec_lo, s0
	s_and_saveexec_b32 s0, s4
	s_cbranch_execz .LBB177_232
.LBB177_252:
	global_store_b8 v[3:4], v13, off offset:256
	s_or_b32 exec_lo, exec_lo, s0
	s_and_saveexec_b32 s0, s5
	s_cbranch_execz .LBB177_233
.LBB177_253:
	global_store_b8 v[3:4], v14, off offset:320
	s_or_b32 exec_lo, exec_lo, s0
	s_and_saveexec_b32 s0, s6
	s_cbranch_execz .LBB177_234
.LBB177_254:
	global_store_b8 v[3:4], v15, off offset:384
	s_or_b32 exec_lo, exec_lo, s0
	s_and_saveexec_b32 s0, s7
	s_cbranch_execz .LBB177_235
.LBB177_255:
	global_store_b8 v[3:4], v16, off offset:448
	s_or_b32 exec_lo, exec_lo, s0
	s_and_saveexec_b32 s0, s8
	s_cbranch_execz .LBB177_236
.LBB177_256:
	global_store_b8 v[3:4], v17, off offset:512
	s_or_b32 exec_lo, exec_lo, s0
	s_and_saveexec_b32 s0, s9
	s_cbranch_execz .LBB177_237
.LBB177_257:
	global_store_b8 v[3:4], v18, off offset:576
	s_or_b32 exec_lo, exec_lo, s0
	s_and_saveexec_b32 s0, s10
	s_cbranch_execz .LBB177_238
.LBB177_258:
	global_store_b8 v[3:4], v19, off offset:640
	s_or_b32 exec_lo, exec_lo, s0
	s_and_saveexec_b32 s0, s11
	s_cbranch_execz .LBB177_239
.LBB177_259:
	global_store_b8 v[3:4], v20, off offset:704
	s_or_b32 exec_lo, exec_lo, s0
	s_and_saveexec_b32 s0, s12
	s_cbranch_execz .LBB177_240
.LBB177_260:
	global_store_b8 v[3:4], v21, off offset:768
	s_or_b32 exec_lo, exec_lo, s0
	s_and_saveexec_b32 s0, s13
	s_cbranch_execz .LBB177_241
.LBB177_261:
	global_store_b8 v[3:4], v22, off offset:832
	s_or_b32 exec_lo, exec_lo, s0
	s_and_saveexec_b32 s0, s14
	s_cbranch_execz .LBB177_242
.LBB177_262:
	global_store_b8 v[3:4], v7, off offset:896
	s_or_b32 exec_lo, exec_lo, s0
	s_and_saveexec_b32 s0, s15
	s_cbranch_execnz .LBB177_243
	s_branch .LBB177_244
	.section	.rodata,"a",@progbits
	.p2align	6, 0x0
	.amdhsa_kernel _ZN7rocprim17ROCPRIM_400000_NS6detail17trampoline_kernelINS0_14default_configENS1_29binary_search_config_selectorIdbEEZNS1_14transform_implILb0ES3_S5_N6thrust23THRUST_200600_302600_NS17counting_iteratorIdNS8_11use_defaultESA_SA_EEPbZNS1_13binary_searchIS3_S5_PdSB_SC_NS1_16binary_search_opENS8_6detail16wrapped_functionINS0_4lessIvEEbEEEE10hipError_tPvRmT1_T2_T3_mmT4_T5_P12ihipStream_tbEUlRKdE_EESL_SP_SQ_mSR_SU_bEUlT_E_NS1_11comp_targetILNS1_3genE9ELNS1_11target_archE1100ELNS1_3gpuE3ELNS1_3repE0EEENS1_30default_config_static_selectorELNS0_4arch9wavefront6targetE0EEEvSO_
		.amdhsa_group_segment_fixed_size 0
		.amdhsa_private_segment_fixed_size 0
		.amdhsa_kernarg_size 312
		.amdhsa_user_sgpr_count 15
		.amdhsa_user_sgpr_dispatch_ptr 0
		.amdhsa_user_sgpr_queue_ptr 0
		.amdhsa_user_sgpr_kernarg_segment_ptr 1
		.amdhsa_user_sgpr_dispatch_id 0
		.amdhsa_user_sgpr_private_segment_size 0
		.amdhsa_wavefront_size32 1
		.amdhsa_uses_dynamic_stack 0
		.amdhsa_enable_private_segment 0
		.amdhsa_system_sgpr_workgroup_id_x 1
		.amdhsa_system_sgpr_workgroup_id_y 0
		.amdhsa_system_sgpr_workgroup_id_z 0
		.amdhsa_system_sgpr_workgroup_info 0
		.amdhsa_system_vgpr_workitem_id 0
		.amdhsa_next_free_vgpr 27
		.amdhsa_next_free_sgpr 28
		.amdhsa_reserve_vcc 1
		.amdhsa_float_round_mode_32 0
		.amdhsa_float_round_mode_16_64 0
		.amdhsa_float_denorm_mode_32 3
		.amdhsa_float_denorm_mode_16_64 3
		.amdhsa_dx10_clamp 1
		.amdhsa_ieee_mode 1
		.amdhsa_fp16_overflow 0
		.amdhsa_workgroup_processor_mode 1
		.amdhsa_memory_ordered 1
		.amdhsa_forward_progress 0
		.amdhsa_shared_vgpr_count 0
		.amdhsa_exception_fp_ieee_invalid_op 0
		.amdhsa_exception_fp_denorm_src 0
		.amdhsa_exception_fp_ieee_div_zero 0
		.amdhsa_exception_fp_ieee_overflow 0
		.amdhsa_exception_fp_ieee_underflow 0
		.amdhsa_exception_fp_ieee_inexact 0
		.amdhsa_exception_int_div_zero 0
	.end_amdhsa_kernel
	.section	.text._ZN7rocprim17ROCPRIM_400000_NS6detail17trampoline_kernelINS0_14default_configENS1_29binary_search_config_selectorIdbEEZNS1_14transform_implILb0ES3_S5_N6thrust23THRUST_200600_302600_NS17counting_iteratorIdNS8_11use_defaultESA_SA_EEPbZNS1_13binary_searchIS3_S5_PdSB_SC_NS1_16binary_search_opENS8_6detail16wrapped_functionINS0_4lessIvEEbEEEE10hipError_tPvRmT1_T2_T3_mmT4_T5_P12ihipStream_tbEUlRKdE_EESL_SP_SQ_mSR_SU_bEUlT_E_NS1_11comp_targetILNS1_3genE9ELNS1_11target_archE1100ELNS1_3gpuE3ELNS1_3repE0EEENS1_30default_config_static_selectorELNS0_4arch9wavefront6targetE0EEEvSO_,"axG",@progbits,_ZN7rocprim17ROCPRIM_400000_NS6detail17trampoline_kernelINS0_14default_configENS1_29binary_search_config_selectorIdbEEZNS1_14transform_implILb0ES3_S5_N6thrust23THRUST_200600_302600_NS17counting_iteratorIdNS8_11use_defaultESA_SA_EEPbZNS1_13binary_searchIS3_S5_PdSB_SC_NS1_16binary_search_opENS8_6detail16wrapped_functionINS0_4lessIvEEbEEEE10hipError_tPvRmT1_T2_T3_mmT4_T5_P12ihipStream_tbEUlRKdE_EESL_SP_SQ_mSR_SU_bEUlT_E_NS1_11comp_targetILNS1_3genE9ELNS1_11target_archE1100ELNS1_3gpuE3ELNS1_3repE0EEENS1_30default_config_static_selectorELNS0_4arch9wavefront6targetE0EEEvSO_,comdat
.Lfunc_end177:
	.size	_ZN7rocprim17ROCPRIM_400000_NS6detail17trampoline_kernelINS0_14default_configENS1_29binary_search_config_selectorIdbEEZNS1_14transform_implILb0ES3_S5_N6thrust23THRUST_200600_302600_NS17counting_iteratorIdNS8_11use_defaultESA_SA_EEPbZNS1_13binary_searchIS3_S5_PdSB_SC_NS1_16binary_search_opENS8_6detail16wrapped_functionINS0_4lessIvEEbEEEE10hipError_tPvRmT1_T2_T3_mmT4_T5_P12ihipStream_tbEUlRKdE_EESL_SP_SQ_mSR_SU_bEUlT_E_NS1_11comp_targetILNS1_3genE9ELNS1_11target_archE1100ELNS1_3gpuE3ELNS1_3repE0EEENS1_30default_config_static_selectorELNS0_4arch9wavefront6targetE0EEEvSO_, .Lfunc_end177-_ZN7rocprim17ROCPRIM_400000_NS6detail17trampoline_kernelINS0_14default_configENS1_29binary_search_config_selectorIdbEEZNS1_14transform_implILb0ES3_S5_N6thrust23THRUST_200600_302600_NS17counting_iteratorIdNS8_11use_defaultESA_SA_EEPbZNS1_13binary_searchIS3_S5_PdSB_SC_NS1_16binary_search_opENS8_6detail16wrapped_functionINS0_4lessIvEEbEEEE10hipError_tPvRmT1_T2_T3_mmT4_T5_P12ihipStream_tbEUlRKdE_EESL_SP_SQ_mSR_SU_bEUlT_E_NS1_11comp_targetILNS1_3genE9ELNS1_11target_archE1100ELNS1_3gpuE3ELNS1_3repE0EEENS1_30default_config_static_selectorELNS0_4arch9wavefront6targetE0EEEvSO_
                                        ; -- End function
	.section	.AMDGPU.csdata,"",@progbits
; Kernel info:
; codeLenInByte = 10896
; NumSgprs: 30
; NumVgprs: 27
; ScratchSize: 0
; MemoryBound: 0
; FloatMode: 240
; IeeeMode: 1
; LDSByteSize: 0 bytes/workgroup (compile time only)
; SGPRBlocks: 3
; VGPRBlocks: 3
; NumSGPRsForWavesPerEU: 30
; NumVGPRsForWavesPerEU: 27
; Occupancy: 16
; WaveLimiterHint : 0
; COMPUTE_PGM_RSRC2:SCRATCH_EN: 0
; COMPUTE_PGM_RSRC2:USER_SGPR: 15
; COMPUTE_PGM_RSRC2:TRAP_HANDLER: 0
; COMPUTE_PGM_RSRC2:TGID_X_EN: 1
; COMPUTE_PGM_RSRC2:TGID_Y_EN: 0
; COMPUTE_PGM_RSRC2:TGID_Z_EN: 0
; COMPUTE_PGM_RSRC2:TIDIG_COMP_CNT: 0
	.section	.text._ZN7rocprim17ROCPRIM_400000_NS6detail17trampoline_kernelINS0_14default_configENS1_29binary_search_config_selectorIdbEEZNS1_14transform_implILb0ES3_S5_N6thrust23THRUST_200600_302600_NS17counting_iteratorIdNS8_11use_defaultESA_SA_EEPbZNS1_13binary_searchIS3_S5_PdSB_SC_NS1_16binary_search_opENS8_6detail16wrapped_functionINS0_4lessIvEEbEEEE10hipError_tPvRmT1_T2_T3_mmT4_T5_P12ihipStream_tbEUlRKdE_EESL_SP_SQ_mSR_SU_bEUlT_E_NS1_11comp_targetILNS1_3genE8ELNS1_11target_archE1030ELNS1_3gpuE2ELNS1_3repE0EEENS1_30default_config_static_selectorELNS0_4arch9wavefront6targetE0EEEvSO_,"axG",@progbits,_ZN7rocprim17ROCPRIM_400000_NS6detail17trampoline_kernelINS0_14default_configENS1_29binary_search_config_selectorIdbEEZNS1_14transform_implILb0ES3_S5_N6thrust23THRUST_200600_302600_NS17counting_iteratorIdNS8_11use_defaultESA_SA_EEPbZNS1_13binary_searchIS3_S5_PdSB_SC_NS1_16binary_search_opENS8_6detail16wrapped_functionINS0_4lessIvEEbEEEE10hipError_tPvRmT1_T2_T3_mmT4_T5_P12ihipStream_tbEUlRKdE_EESL_SP_SQ_mSR_SU_bEUlT_E_NS1_11comp_targetILNS1_3genE8ELNS1_11target_archE1030ELNS1_3gpuE2ELNS1_3repE0EEENS1_30default_config_static_selectorELNS0_4arch9wavefront6targetE0EEEvSO_,comdat
	.protected	_ZN7rocprim17ROCPRIM_400000_NS6detail17trampoline_kernelINS0_14default_configENS1_29binary_search_config_selectorIdbEEZNS1_14transform_implILb0ES3_S5_N6thrust23THRUST_200600_302600_NS17counting_iteratorIdNS8_11use_defaultESA_SA_EEPbZNS1_13binary_searchIS3_S5_PdSB_SC_NS1_16binary_search_opENS8_6detail16wrapped_functionINS0_4lessIvEEbEEEE10hipError_tPvRmT1_T2_T3_mmT4_T5_P12ihipStream_tbEUlRKdE_EESL_SP_SQ_mSR_SU_bEUlT_E_NS1_11comp_targetILNS1_3genE8ELNS1_11target_archE1030ELNS1_3gpuE2ELNS1_3repE0EEENS1_30default_config_static_selectorELNS0_4arch9wavefront6targetE0EEEvSO_ ; -- Begin function _ZN7rocprim17ROCPRIM_400000_NS6detail17trampoline_kernelINS0_14default_configENS1_29binary_search_config_selectorIdbEEZNS1_14transform_implILb0ES3_S5_N6thrust23THRUST_200600_302600_NS17counting_iteratorIdNS8_11use_defaultESA_SA_EEPbZNS1_13binary_searchIS3_S5_PdSB_SC_NS1_16binary_search_opENS8_6detail16wrapped_functionINS0_4lessIvEEbEEEE10hipError_tPvRmT1_T2_T3_mmT4_T5_P12ihipStream_tbEUlRKdE_EESL_SP_SQ_mSR_SU_bEUlT_E_NS1_11comp_targetILNS1_3genE8ELNS1_11target_archE1030ELNS1_3gpuE2ELNS1_3repE0EEENS1_30default_config_static_selectorELNS0_4arch9wavefront6targetE0EEEvSO_
	.globl	_ZN7rocprim17ROCPRIM_400000_NS6detail17trampoline_kernelINS0_14default_configENS1_29binary_search_config_selectorIdbEEZNS1_14transform_implILb0ES3_S5_N6thrust23THRUST_200600_302600_NS17counting_iteratorIdNS8_11use_defaultESA_SA_EEPbZNS1_13binary_searchIS3_S5_PdSB_SC_NS1_16binary_search_opENS8_6detail16wrapped_functionINS0_4lessIvEEbEEEE10hipError_tPvRmT1_T2_T3_mmT4_T5_P12ihipStream_tbEUlRKdE_EESL_SP_SQ_mSR_SU_bEUlT_E_NS1_11comp_targetILNS1_3genE8ELNS1_11target_archE1030ELNS1_3gpuE2ELNS1_3repE0EEENS1_30default_config_static_selectorELNS0_4arch9wavefront6targetE0EEEvSO_
	.p2align	8
	.type	_ZN7rocprim17ROCPRIM_400000_NS6detail17trampoline_kernelINS0_14default_configENS1_29binary_search_config_selectorIdbEEZNS1_14transform_implILb0ES3_S5_N6thrust23THRUST_200600_302600_NS17counting_iteratorIdNS8_11use_defaultESA_SA_EEPbZNS1_13binary_searchIS3_S5_PdSB_SC_NS1_16binary_search_opENS8_6detail16wrapped_functionINS0_4lessIvEEbEEEE10hipError_tPvRmT1_T2_T3_mmT4_T5_P12ihipStream_tbEUlRKdE_EESL_SP_SQ_mSR_SU_bEUlT_E_NS1_11comp_targetILNS1_3genE8ELNS1_11target_archE1030ELNS1_3gpuE2ELNS1_3repE0EEENS1_30default_config_static_selectorELNS0_4arch9wavefront6targetE0EEEvSO_,@function
_ZN7rocprim17ROCPRIM_400000_NS6detail17trampoline_kernelINS0_14default_configENS1_29binary_search_config_selectorIdbEEZNS1_14transform_implILb0ES3_S5_N6thrust23THRUST_200600_302600_NS17counting_iteratorIdNS8_11use_defaultESA_SA_EEPbZNS1_13binary_searchIS3_S5_PdSB_SC_NS1_16binary_search_opENS8_6detail16wrapped_functionINS0_4lessIvEEbEEEE10hipError_tPvRmT1_T2_T3_mmT4_T5_P12ihipStream_tbEUlRKdE_EESL_SP_SQ_mSR_SU_bEUlT_E_NS1_11comp_targetILNS1_3genE8ELNS1_11target_archE1030ELNS1_3gpuE2ELNS1_3repE0EEENS1_30default_config_static_selectorELNS0_4arch9wavefront6targetE0EEEvSO_: ; @_ZN7rocprim17ROCPRIM_400000_NS6detail17trampoline_kernelINS0_14default_configENS1_29binary_search_config_selectorIdbEEZNS1_14transform_implILb0ES3_S5_N6thrust23THRUST_200600_302600_NS17counting_iteratorIdNS8_11use_defaultESA_SA_EEPbZNS1_13binary_searchIS3_S5_PdSB_SC_NS1_16binary_search_opENS8_6detail16wrapped_functionINS0_4lessIvEEbEEEE10hipError_tPvRmT1_T2_T3_mmT4_T5_P12ihipStream_tbEUlRKdE_EESL_SP_SQ_mSR_SU_bEUlT_E_NS1_11comp_targetILNS1_3genE8ELNS1_11target_archE1030ELNS1_3gpuE2ELNS1_3repE0EEENS1_30default_config_static_selectorELNS0_4arch9wavefront6targetE0EEEvSO_
; %bb.0:
	.section	.rodata,"a",@progbits
	.p2align	6, 0x0
	.amdhsa_kernel _ZN7rocprim17ROCPRIM_400000_NS6detail17trampoline_kernelINS0_14default_configENS1_29binary_search_config_selectorIdbEEZNS1_14transform_implILb0ES3_S5_N6thrust23THRUST_200600_302600_NS17counting_iteratorIdNS8_11use_defaultESA_SA_EEPbZNS1_13binary_searchIS3_S5_PdSB_SC_NS1_16binary_search_opENS8_6detail16wrapped_functionINS0_4lessIvEEbEEEE10hipError_tPvRmT1_T2_T3_mmT4_T5_P12ihipStream_tbEUlRKdE_EESL_SP_SQ_mSR_SU_bEUlT_E_NS1_11comp_targetILNS1_3genE8ELNS1_11target_archE1030ELNS1_3gpuE2ELNS1_3repE0EEENS1_30default_config_static_selectorELNS0_4arch9wavefront6targetE0EEEvSO_
		.amdhsa_group_segment_fixed_size 0
		.amdhsa_private_segment_fixed_size 0
		.amdhsa_kernarg_size 56
		.amdhsa_user_sgpr_count 15
		.amdhsa_user_sgpr_dispatch_ptr 0
		.amdhsa_user_sgpr_queue_ptr 0
		.amdhsa_user_sgpr_kernarg_segment_ptr 1
		.amdhsa_user_sgpr_dispatch_id 0
		.amdhsa_user_sgpr_private_segment_size 0
		.amdhsa_wavefront_size32 1
		.amdhsa_uses_dynamic_stack 0
		.amdhsa_enable_private_segment 0
		.amdhsa_system_sgpr_workgroup_id_x 1
		.amdhsa_system_sgpr_workgroup_id_y 0
		.amdhsa_system_sgpr_workgroup_id_z 0
		.amdhsa_system_sgpr_workgroup_info 0
		.amdhsa_system_vgpr_workitem_id 0
		.amdhsa_next_free_vgpr 1
		.amdhsa_next_free_sgpr 1
		.amdhsa_reserve_vcc 0
		.amdhsa_float_round_mode_32 0
		.amdhsa_float_round_mode_16_64 0
		.amdhsa_float_denorm_mode_32 3
		.amdhsa_float_denorm_mode_16_64 3
		.amdhsa_dx10_clamp 1
		.amdhsa_ieee_mode 1
		.amdhsa_fp16_overflow 0
		.amdhsa_workgroup_processor_mode 1
		.amdhsa_memory_ordered 1
		.amdhsa_forward_progress 0
		.amdhsa_shared_vgpr_count 0
		.amdhsa_exception_fp_ieee_invalid_op 0
		.amdhsa_exception_fp_denorm_src 0
		.amdhsa_exception_fp_ieee_div_zero 0
		.amdhsa_exception_fp_ieee_overflow 0
		.amdhsa_exception_fp_ieee_underflow 0
		.amdhsa_exception_fp_ieee_inexact 0
		.amdhsa_exception_int_div_zero 0
	.end_amdhsa_kernel
	.section	.text._ZN7rocprim17ROCPRIM_400000_NS6detail17trampoline_kernelINS0_14default_configENS1_29binary_search_config_selectorIdbEEZNS1_14transform_implILb0ES3_S5_N6thrust23THRUST_200600_302600_NS17counting_iteratorIdNS8_11use_defaultESA_SA_EEPbZNS1_13binary_searchIS3_S5_PdSB_SC_NS1_16binary_search_opENS8_6detail16wrapped_functionINS0_4lessIvEEbEEEE10hipError_tPvRmT1_T2_T3_mmT4_T5_P12ihipStream_tbEUlRKdE_EESL_SP_SQ_mSR_SU_bEUlT_E_NS1_11comp_targetILNS1_3genE8ELNS1_11target_archE1030ELNS1_3gpuE2ELNS1_3repE0EEENS1_30default_config_static_selectorELNS0_4arch9wavefront6targetE0EEEvSO_,"axG",@progbits,_ZN7rocprim17ROCPRIM_400000_NS6detail17trampoline_kernelINS0_14default_configENS1_29binary_search_config_selectorIdbEEZNS1_14transform_implILb0ES3_S5_N6thrust23THRUST_200600_302600_NS17counting_iteratorIdNS8_11use_defaultESA_SA_EEPbZNS1_13binary_searchIS3_S5_PdSB_SC_NS1_16binary_search_opENS8_6detail16wrapped_functionINS0_4lessIvEEbEEEE10hipError_tPvRmT1_T2_T3_mmT4_T5_P12ihipStream_tbEUlRKdE_EESL_SP_SQ_mSR_SU_bEUlT_E_NS1_11comp_targetILNS1_3genE8ELNS1_11target_archE1030ELNS1_3gpuE2ELNS1_3repE0EEENS1_30default_config_static_selectorELNS0_4arch9wavefront6targetE0EEEvSO_,comdat
.Lfunc_end178:
	.size	_ZN7rocprim17ROCPRIM_400000_NS6detail17trampoline_kernelINS0_14default_configENS1_29binary_search_config_selectorIdbEEZNS1_14transform_implILb0ES3_S5_N6thrust23THRUST_200600_302600_NS17counting_iteratorIdNS8_11use_defaultESA_SA_EEPbZNS1_13binary_searchIS3_S5_PdSB_SC_NS1_16binary_search_opENS8_6detail16wrapped_functionINS0_4lessIvEEbEEEE10hipError_tPvRmT1_T2_T3_mmT4_T5_P12ihipStream_tbEUlRKdE_EESL_SP_SQ_mSR_SU_bEUlT_E_NS1_11comp_targetILNS1_3genE8ELNS1_11target_archE1030ELNS1_3gpuE2ELNS1_3repE0EEENS1_30default_config_static_selectorELNS0_4arch9wavefront6targetE0EEEvSO_, .Lfunc_end178-_ZN7rocprim17ROCPRIM_400000_NS6detail17trampoline_kernelINS0_14default_configENS1_29binary_search_config_selectorIdbEEZNS1_14transform_implILb0ES3_S5_N6thrust23THRUST_200600_302600_NS17counting_iteratorIdNS8_11use_defaultESA_SA_EEPbZNS1_13binary_searchIS3_S5_PdSB_SC_NS1_16binary_search_opENS8_6detail16wrapped_functionINS0_4lessIvEEbEEEE10hipError_tPvRmT1_T2_T3_mmT4_T5_P12ihipStream_tbEUlRKdE_EESL_SP_SQ_mSR_SU_bEUlT_E_NS1_11comp_targetILNS1_3genE8ELNS1_11target_archE1030ELNS1_3gpuE2ELNS1_3repE0EEENS1_30default_config_static_selectorELNS0_4arch9wavefront6targetE0EEEvSO_
                                        ; -- End function
	.section	.AMDGPU.csdata,"",@progbits
; Kernel info:
; codeLenInByte = 0
; NumSgprs: 0
; NumVgprs: 0
; ScratchSize: 0
; MemoryBound: 0
; FloatMode: 240
; IeeeMode: 1
; LDSByteSize: 0 bytes/workgroup (compile time only)
; SGPRBlocks: 0
; VGPRBlocks: 0
; NumSGPRsForWavesPerEU: 1
; NumVGPRsForWavesPerEU: 1
; Occupancy: 16
; WaveLimiterHint : 0
; COMPUTE_PGM_RSRC2:SCRATCH_EN: 0
; COMPUTE_PGM_RSRC2:USER_SGPR: 15
; COMPUTE_PGM_RSRC2:TRAP_HANDLER: 0
; COMPUTE_PGM_RSRC2:TGID_X_EN: 1
; COMPUTE_PGM_RSRC2:TGID_Y_EN: 0
; COMPUTE_PGM_RSRC2:TGID_Z_EN: 0
; COMPUTE_PGM_RSRC2:TIDIG_COMP_CNT: 0
	.section	.text._Z20binary_search_kernelIfEvmPT_Pb,"axG",@progbits,_Z20binary_search_kernelIfEvmPT_Pb,comdat
	.protected	_Z20binary_search_kernelIfEvmPT_Pb ; -- Begin function _Z20binary_search_kernelIfEvmPT_Pb
	.globl	_Z20binary_search_kernelIfEvmPT_Pb
	.p2align	8
	.type	_Z20binary_search_kernelIfEvmPT_Pb,@function
_Z20binary_search_kernelIfEvmPT_Pb:     ; @_Z20binary_search_kernelIfEvmPT_Pb
; %bb.0:
	s_clause 0x1
	s_load_b128 s[4:7], s[0:1], 0x0
	s_load_b64 s[2:3], s[0:1], 0x10
	v_mov_b32_e32 v0, 0
	s_waitcnt lgkmcnt(0)
	s_lshl_b64 s[0:1], s[4:5], 2
	s_delay_alu instid0(SALU_CYCLE_1) | instskip(NEXT) | instid1(SALU_CYCLE_1)
	s_ashr_i64 s[8:9], s[0:1], 2
	v_cmp_gt_i64_e64 s0, s[8:9], 0
	s_delay_alu instid0(VALU_DEP_1) | instskip(NEXT) | instid1(VALU_DEP_1)
	v_cndmask_b32_e64 v1, 0, 1, s0
	v_cmp_ne_u32_e64 s0, 1, v1
	v_mov_b32_e32 v1, 0
	s_branch .LBB179_2
.LBB179_1:                              ;   in Loop: Header=BB179_2 Depth=1
	v_add_f32_e32 v1, 1.0, v1
	s_delay_alu instid0(VALU_DEP_1) | instskip(NEXT) | instid1(VALU_DEP_1)
	v_sub_f32_e32 v2, 0x41200000, v1
	v_trunc_f32_e32 v2, v2
	s_delay_alu instid0(VALU_DEP_1) | instskip(SKIP_1) | instid1(VALU_DEP_2)
	v_mul_f32_e64 v3, 0x2f800000, |v2|
	v_ashrrev_i32_e32 v5, 31, v2
	v_floor_f32_e32 v3, v3
	s_delay_alu instid0(VALU_DEP_1) | instskip(SKIP_1) | instid1(VALU_DEP_2)
	v_fma_f32 v4, 0xcf800000, v3, |v2|
	v_cvt_u32_f32_e32 v3, v3
	v_cvt_u32_f32_e32 v2, v4
	s_delay_alu instid0(VALU_DEP_2) | instskip(SKIP_1) | instid1(VALU_DEP_3)
	v_xor_b32_e32 v3, v3, v5
	v_cndmask_b32_e64 v4, 0, 1, s1
	v_xor_b32_e32 v2, v2, v5
	global_store_b8 v0, v4, s[2:3]
	s_add_u32 s2, s2, 1
	s_addc_u32 s3, s3, 0
	v_sub_co_u32 v2, vcc_lo, v2, v5
	v_sub_co_ci_u32_e32 v3, vcc_lo, v3, v5, vcc_lo
	s_delay_alu instid0(VALU_DEP_1)
	v_cmp_ne_u64_e32 vcc_lo, 0, v[2:3]
	s_cbranch_vccz .LBB179_7
.LBB179_2:                              ; =>This Loop Header: Depth=1
                                        ;     Child Loop BB179_4 Depth 2
	s_delay_alu instid0(VALU_DEP_2)
	s_and_b32 vcc_lo, exec_lo, s0
	s_mov_b64 s[10:11], 0
	s_cbranch_vccnz .LBB179_5
; %bb.3:                                ;   in Loop: Header=BB179_2 Depth=1
	s_mov_b64 s[12:13], s[8:9]
	.p2align	6
.LBB179_4:                              ;   Parent Loop BB179_2 Depth=1
                                        ; =>  This Inner Loop Header: Depth=2
	s_delay_alu instid0(SALU_CYCLE_1) | instskip(SKIP_1) | instid1(SALU_CYCLE_1)
	s_sub_u32 s1, s12, s10
	s_subb_u32 s15, s13, s11
	s_lshr_b32 s14, s15, 31
	s_delay_alu instid0(SALU_CYCLE_1) | instskip(SKIP_1) | instid1(SALU_CYCLE_1)
	s_add_u32 s14, s1, s14
	s_addc_u32 s15, s15, 0
	s_ashr_i64 s[14:15], s[14:15], 1
	s_delay_alu instid0(SALU_CYCLE_1) | instskip(SKIP_1) | instid1(SALU_CYCLE_1)
	s_add_u32 s14, s14, s10
	s_addc_u32 s15, s15, s11
	s_lshl_b64 s[16:17], s[14:15], 2
	s_delay_alu instid0(SALU_CYCLE_1)
	s_add_u32 s16, s6, s16
	s_addc_u32 s17, s7, s17
	s_load_b32 s1, s[16:17], 0x0
	s_add_u32 s16, s14, 1
	s_waitcnt lgkmcnt(0)
	v_cmp_lt_f32_e32 vcc_lo, s1, v1
	s_addc_u32 s1, s15, 0
	s_and_b32 s17, vcc_lo, exec_lo
	s_cselect_b32 s11, s1, s11
	s_cselect_b32 s10, s16, s10
	;; [unrolled: 1-line block ×4, first 2 shown]
	s_delay_alu instid0(SALU_CYCLE_1) | instskip(NEXT) | instid1(VALU_DEP_1)
	v_cmp_lt_i64_e64 s1, s[10:11], s[12:13]
	s_and_b32 vcc_lo, exec_lo, s1
	s_cbranch_vccnz .LBB179_4
.LBB179_5:                              ;   in Loop: Header=BB179_2 Depth=1
	s_cmp_eq_u64 s[10:11], s[4:5]
	s_mov_b32 s1, 0
	s_cbranch_scc1 .LBB179_1
; %bb.6:                                ;   in Loop: Header=BB179_2 Depth=1
	s_lshl_b64 s[10:11], s[10:11], 2
	s_delay_alu instid0(SALU_CYCLE_1)
	s_add_u32 s10, s6, s10
	s_addc_u32 s11, s7, s11
	s_load_b32 s1, s[10:11], 0x0
	s_waitcnt lgkmcnt(0)
	v_cmp_ngt_f32_e64 s1, s1, v1
	s_branch .LBB179_1
.LBB179_7:
	s_nop 0
	s_sendmsg sendmsg(MSG_DEALLOC_VGPRS)
	s_endpgm
	.section	.rodata,"a",@progbits
	.p2align	6, 0x0
	.amdhsa_kernel _Z20binary_search_kernelIfEvmPT_Pb
		.amdhsa_group_segment_fixed_size 0
		.amdhsa_private_segment_fixed_size 0
		.amdhsa_kernarg_size 24
		.amdhsa_user_sgpr_count 15
		.amdhsa_user_sgpr_dispatch_ptr 0
		.amdhsa_user_sgpr_queue_ptr 0
		.amdhsa_user_sgpr_kernarg_segment_ptr 1
		.amdhsa_user_sgpr_dispatch_id 0
		.amdhsa_user_sgpr_private_segment_size 0
		.amdhsa_wavefront_size32 1
		.amdhsa_uses_dynamic_stack 0
		.amdhsa_enable_private_segment 0
		.amdhsa_system_sgpr_workgroup_id_x 1
		.amdhsa_system_sgpr_workgroup_id_y 0
		.amdhsa_system_sgpr_workgroup_id_z 0
		.amdhsa_system_sgpr_workgroup_info 0
		.amdhsa_system_vgpr_workitem_id 0
		.amdhsa_next_free_vgpr 6
		.amdhsa_next_free_sgpr 18
		.amdhsa_reserve_vcc 1
		.amdhsa_float_round_mode_32 0
		.amdhsa_float_round_mode_16_64 0
		.amdhsa_float_denorm_mode_32 3
		.amdhsa_float_denorm_mode_16_64 3
		.amdhsa_dx10_clamp 1
		.amdhsa_ieee_mode 1
		.amdhsa_fp16_overflow 0
		.amdhsa_workgroup_processor_mode 1
		.amdhsa_memory_ordered 1
		.amdhsa_forward_progress 0
		.amdhsa_shared_vgpr_count 0
		.amdhsa_exception_fp_ieee_invalid_op 0
		.amdhsa_exception_fp_denorm_src 0
		.amdhsa_exception_fp_ieee_div_zero 0
		.amdhsa_exception_fp_ieee_overflow 0
		.amdhsa_exception_fp_ieee_underflow 0
		.amdhsa_exception_fp_ieee_inexact 0
		.amdhsa_exception_int_div_zero 0
	.end_amdhsa_kernel
	.section	.text._Z20binary_search_kernelIfEvmPT_Pb,"axG",@progbits,_Z20binary_search_kernelIfEvmPT_Pb,comdat
.Lfunc_end179:
	.size	_Z20binary_search_kernelIfEvmPT_Pb, .Lfunc_end179-_Z20binary_search_kernelIfEvmPT_Pb
                                        ; -- End function
	.section	.AMDGPU.csdata,"",@progbits
; Kernel info:
; codeLenInByte = 412
; NumSgprs: 20
; NumVgprs: 6
; ScratchSize: 0
; MemoryBound: 0
; FloatMode: 240
; IeeeMode: 1
; LDSByteSize: 0 bytes/workgroup (compile time only)
; SGPRBlocks: 2
; VGPRBlocks: 0
; NumSGPRsForWavesPerEU: 20
; NumVGPRsForWavesPerEU: 6
; Occupancy: 16
; WaveLimiterHint : 0
; COMPUTE_PGM_RSRC2:SCRATCH_EN: 0
; COMPUTE_PGM_RSRC2:USER_SGPR: 15
; COMPUTE_PGM_RSRC2:TRAP_HANDLER: 0
; COMPUTE_PGM_RSRC2:TGID_X_EN: 1
; COMPUTE_PGM_RSRC2:TGID_Y_EN: 0
; COMPUTE_PGM_RSRC2:TGID_Z_EN: 0
; COMPUTE_PGM_RSRC2:TIDIG_COMP_CNT: 0
	.section	.text._ZN7rocprim17ROCPRIM_400000_NS6detail17trampoline_kernelINS0_14default_configENS1_29binary_search_config_selectorIfbEEZNS1_14transform_implILb0ES3_S5_N6thrust23THRUST_200600_302600_NS17counting_iteratorIfNS8_11use_defaultESA_SA_EEPbZNS1_13binary_searchIS3_S5_PfSB_SC_NS1_16binary_search_opENS8_6detail16wrapped_functionINS0_4lessIvEEbEEEE10hipError_tPvRmT1_T2_T3_mmT4_T5_P12ihipStream_tbEUlRKfE_EESL_SP_SQ_mSR_SU_bEUlT_E_NS1_11comp_targetILNS1_3genE0ELNS1_11target_archE4294967295ELNS1_3gpuE0ELNS1_3repE0EEENS1_30default_config_static_selectorELNS0_4arch9wavefront6targetE0EEEvSO_,"axG",@progbits,_ZN7rocprim17ROCPRIM_400000_NS6detail17trampoline_kernelINS0_14default_configENS1_29binary_search_config_selectorIfbEEZNS1_14transform_implILb0ES3_S5_N6thrust23THRUST_200600_302600_NS17counting_iteratorIfNS8_11use_defaultESA_SA_EEPbZNS1_13binary_searchIS3_S5_PfSB_SC_NS1_16binary_search_opENS8_6detail16wrapped_functionINS0_4lessIvEEbEEEE10hipError_tPvRmT1_T2_T3_mmT4_T5_P12ihipStream_tbEUlRKfE_EESL_SP_SQ_mSR_SU_bEUlT_E_NS1_11comp_targetILNS1_3genE0ELNS1_11target_archE4294967295ELNS1_3gpuE0ELNS1_3repE0EEENS1_30default_config_static_selectorELNS0_4arch9wavefront6targetE0EEEvSO_,comdat
	.protected	_ZN7rocprim17ROCPRIM_400000_NS6detail17trampoline_kernelINS0_14default_configENS1_29binary_search_config_selectorIfbEEZNS1_14transform_implILb0ES3_S5_N6thrust23THRUST_200600_302600_NS17counting_iteratorIfNS8_11use_defaultESA_SA_EEPbZNS1_13binary_searchIS3_S5_PfSB_SC_NS1_16binary_search_opENS8_6detail16wrapped_functionINS0_4lessIvEEbEEEE10hipError_tPvRmT1_T2_T3_mmT4_T5_P12ihipStream_tbEUlRKfE_EESL_SP_SQ_mSR_SU_bEUlT_E_NS1_11comp_targetILNS1_3genE0ELNS1_11target_archE4294967295ELNS1_3gpuE0ELNS1_3repE0EEENS1_30default_config_static_selectorELNS0_4arch9wavefront6targetE0EEEvSO_ ; -- Begin function _ZN7rocprim17ROCPRIM_400000_NS6detail17trampoline_kernelINS0_14default_configENS1_29binary_search_config_selectorIfbEEZNS1_14transform_implILb0ES3_S5_N6thrust23THRUST_200600_302600_NS17counting_iteratorIfNS8_11use_defaultESA_SA_EEPbZNS1_13binary_searchIS3_S5_PfSB_SC_NS1_16binary_search_opENS8_6detail16wrapped_functionINS0_4lessIvEEbEEEE10hipError_tPvRmT1_T2_T3_mmT4_T5_P12ihipStream_tbEUlRKfE_EESL_SP_SQ_mSR_SU_bEUlT_E_NS1_11comp_targetILNS1_3genE0ELNS1_11target_archE4294967295ELNS1_3gpuE0ELNS1_3repE0EEENS1_30default_config_static_selectorELNS0_4arch9wavefront6targetE0EEEvSO_
	.globl	_ZN7rocprim17ROCPRIM_400000_NS6detail17trampoline_kernelINS0_14default_configENS1_29binary_search_config_selectorIfbEEZNS1_14transform_implILb0ES3_S5_N6thrust23THRUST_200600_302600_NS17counting_iteratorIfNS8_11use_defaultESA_SA_EEPbZNS1_13binary_searchIS3_S5_PfSB_SC_NS1_16binary_search_opENS8_6detail16wrapped_functionINS0_4lessIvEEbEEEE10hipError_tPvRmT1_T2_T3_mmT4_T5_P12ihipStream_tbEUlRKfE_EESL_SP_SQ_mSR_SU_bEUlT_E_NS1_11comp_targetILNS1_3genE0ELNS1_11target_archE4294967295ELNS1_3gpuE0ELNS1_3repE0EEENS1_30default_config_static_selectorELNS0_4arch9wavefront6targetE0EEEvSO_
	.p2align	8
	.type	_ZN7rocprim17ROCPRIM_400000_NS6detail17trampoline_kernelINS0_14default_configENS1_29binary_search_config_selectorIfbEEZNS1_14transform_implILb0ES3_S5_N6thrust23THRUST_200600_302600_NS17counting_iteratorIfNS8_11use_defaultESA_SA_EEPbZNS1_13binary_searchIS3_S5_PfSB_SC_NS1_16binary_search_opENS8_6detail16wrapped_functionINS0_4lessIvEEbEEEE10hipError_tPvRmT1_T2_T3_mmT4_T5_P12ihipStream_tbEUlRKfE_EESL_SP_SQ_mSR_SU_bEUlT_E_NS1_11comp_targetILNS1_3genE0ELNS1_11target_archE4294967295ELNS1_3gpuE0ELNS1_3repE0EEENS1_30default_config_static_selectorELNS0_4arch9wavefront6targetE0EEEvSO_,@function
_ZN7rocprim17ROCPRIM_400000_NS6detail17trampoline_kernelINS0_14default_configENS1_29binary_search_config_selectorIfbEEZNS1_14transform_implILb0ES3_S5_N6thrust23THRUST_200600_302600_NS17counting_iteratorIfNS8_11use_defaultESA_SA_EEPbZNS1_13binary_searchIS3_S5_PfSB_SC_NS1_16binary_search_opENS8_6detail16wrapped_functionINS0_4lessIvEEbEEEE10hipError_tPvRmT1_T2_T3_mmT4_T5_P12ihipStream_tbEUlRKfE_EESL_SP_SQ_mSR_SU_bEUlT_E_NS1_11comp_targetILNS1_3genE0ELNS1_11target_archE4294967295ELNS1_3gpuE0ELNS1_3repE0EEENS1_30default_config_static_selectorELNS0_4arch9wavefront6targetE0EEEvSO_: ; @_ZN7rocprim17ROCPRIM_400000_NS6detail17trampoline_kernelINS0_14default_configENS1_29binary_search_config_selectorIfbEEZNS1_14transform_implILb0ES3_S5_N6thrust23THRUST_200600_302600_NS17counting_iteratorIfNS8_11use_defaultESA_SA_EEPbZNS1_13binary_searchIS3_S5_PfSB_SC_NS1_16binary_search_opENS8_6detail16wrapped_functionINS0_4lessIvEEbEEEE10hipError_tPvRmT1_T2_T3_mmT4_T5_P12ihipStream_tbEUlRKfE_EESL_SP_SQ_mSR_SU_bEUlT_E_NS1_11comp_targetILNS1_3genE0ELNS1_11target_archE4294967295ELNS1_3gpuE0ELNS1_3repE0EEENS1_30default_config_static_selectorELNS0_4arch9wavefront6targetE0EEEvSO_
; %bb.0:
	.section	.rodata,"a",@progbits
	.p2align	6, 0x0
	.amdhsa_kernel _ZN7rocprim17ROCPRIM_400000_NS6detail17trampoline_kernelINS0_14default_configENS1_29binary_search_config_selectorIfbEEZNS1_14transform_implILb0ES3_S5_N6thrust23THRUST_200600_302600_NS17counting_iteratorIfNS8_11use_defaultESA_SA_EEPbZNS1_13binary_searchIS3_S5_PfSB_SC_NS1_16binary_search_opENS8_6detail16wrapped_functionINS0_4lessIvEEbEEEE10hipError_tPvRmT1_T2_T3_mmT4_T5_P12ihipStream_tbEUlRKfE_EESL_SP_SQ_mSR_SU_bEUlT_E_NS1_11comp_targetILNS1_3genE0ELNS1_11target_archE4294967295ELNS1_3gpuE0ELNS1_3repE0EEENS1_30default_config_static_selectorELNS0_4arch9wavefront6targetE0EEEvSO_
		.amdhsa_group_segment_fixed_size 0
		.amdhsa_private_segment_fixed_size 0
		.amdhsa_kernarg_size 56
		.amdhsa_user_sgpr_count 15
		.amdhsa_user_sgpr_dispatch_ptr 0
		.amdhsa_user_sgpr_queue_ptr 0
		.amdhsa_user_sgpr_kernarg_segment_ptr 1
		.amdhsa_user_sgpr_dispatch_id 0
		.amdhsa_user_sgpr_private_segment_size 0
		.amdhsa_wavefront_size32 1
		.amdhsa_uses_dynamic_stack 0
		.amdhsa_enable_private_segment 0
		.amdhsa_system_sgpr_workgroup_id_x 1
		.amdhsa_system_sgpr_workgroup_id_y 0
		.amdhsa_system_sgpr_workgroup_id_z 0
		.amdhsa_system_sgpr_workgroup_info 0
		.amdhsa_system_vgpr_workitem_id 0
		.amdhsa_next_free_vgpr 1
		.amdhsa_next_free_sgpr 1
		.amdhsa_reserve_vcc 0
		.amdhsa_float_round_mode_32 0
		.amdhsa_float_round_mode_16_64 0
		.amdhsa_float_denorm_mode_32 3
		.amdhsa_float_denorm_mode_16_64 3
		.amdhsa_dx10_clamp 1
		.amdhsa_ieee_mode 1
		.amdhsa_fp16_overflow 0
		.amdhsa_workgroup_processor_mode 1
		.amdhsa_memory_ordered 1
		.amdhsa_forward_progress 0
		.amdhsa_shared_vgpr_count 0
		.amdhsa_exception_fp_ieee_invalid_op 0
		.amdhsa_exception_fp_denorm_src 0
		.amdhsa_exception_fp_ieee_div_zero 0
		.amdhsa_exception_fp_ieee_overflow 0
		.amdhsa_exception_fp_ieee_underflow 0
		.amdhsa_exception_fp_ieee_inexact 0
		.amdhsa_exception_int_div_zero 0
	.end_amdhsa_kernel
	.section	.text._ZN7rocprim17ROCPRIM_400000_NS6detail17trampoline_kernelINS0_14default_configENS1_29binary_search_config_selectorIfbEEZNS1_14transform_implILb0ES3_S5_N6thrust23THRUST_200600_302600_NS17counting_iteratorIfNS8_11use_defaultESA_SA_EEPbZNS1_13binary_searchIS3_S5_PfSB_SC_NS1_16binary_search_opENS8_6detail16wrapped_functionINS0_4lessIvEEbEEEE10hipError_tPvRmT1_T2_T3_mmT4_T5_P12ihipStream_tbEUlRKfE_EESL_SP_SQ_mSR_SU_bEUlT_E_NS1_11comp_targetILNS1_3genE0ELNS1_11target_archE4294967295ELNS1_3gpuE0ELNS1_3repE0EEENS1_30default_config_static_selectorELNS0_4arch9wavefront6targetE0EEEvSO_,"axG",@progbits,_ZN7rocprim17ROCPRIM_400000_NS6detail17trampoline_kernelINS0_14default_configENS1_29binary_search_config_selectorIfbEEZNS1_14transform_implILb0ES3_S5_N6thrust23THRUST_200600_302600_NS17counting_iteratorIfNS8_11use_defaultESA_SA_EEPbZNS1_13binary_searchIS3_S5_PfSB_SC_NS1_16binary_search_opENS8_6detail16wrapped_functionINS0_4lessIvEEbEEEE10hipError_tPvRmT1_T2_T3_mmT4_T5_P12ihipStream_tbEUlRKfE_EESL_SP_SQ_mSR_SU_bEUlT_E_NS1_11comp_targetILNS1_3genE0ELNS1_11target_archE4294967295ELNS1_3gpuE0ELNS1_3repE0EEENS1_30default_config_static_selectorELNS0_4arch9wavefront6targetE0EEEvSO_,comdat
.Lfunc_end180:
	.size	_ZN7rocprim17ROCPRIM_400000_NS6detail17trampoline_kernelINS0_14default_configENS1_29binary_search_config_selectorIfbEEZNS1_14transform_implILb0ES3_S5_N6thrust23THRUST_200600_302600_NS17counting_iteratorIfNS8_11use_defaultESA_SA_EEPbZNS1_13binary_searchIS3_S5_PfSB_SC_NS1_16binary_search_opENS8_6detail16wrapped_functionINS0_4lessIvEEbEEEE10hipError_tPvRmT1_T2_T3_mmT4_T5_P12ihipStream_tbEUlRKfE_EESL_SP_SQ_mSR_SU_bEUlT_E_NS1_11comp_targetILNS1_3genE0ELNS1_11target_archE4294967295ELNS1_3gpuE0ELNS1_3repE0EEENS1_30default_config_static_selectorELNS0_4arch9wavefront6targetE0EEEvSO_, .Lfunc_end180-_ZN7rocprim17ROCPRIM_400000_NS6detail17trampoline_kernelINS0_14default_configENS1_29binary_search_config_selectorIfbEEZNS1_14transform_implILb0ES3_S5_N6thrust23THRUST_200600_302600_NS17counting_iteratorIfNS8_11use_defaultESA_SA_EEPbZNS1_13binary_searchIS3_S5_PfSB_SC_NS1_16binary_search_opENS8_6detail16wrapped_functionINS0_4lessIvEEbEEEE10hipError_tPvRmT1_T2_T3_mmT4_T5_P12ihipStream_tbEUlRKfE_EESL_SP_SQ_mSR_SU_bEUlT_E_NS1_11comp_targetILNS1_3genE0ELNS1_11target_archE4294967295ELNS1_3gpuE0ELNS1_3repE0EEENS1_30default_config_static_selectorELNS0_4arch9wavefront6targetE0EEEvSO_
                                        ; -- End function
	.section	.AMDGPU.csdata,"",@progbits
; Kernel info:
; codeLenInByte = 0
; NumSgprs: 0
; NumVgprs: 0
; ScratchSize: 0
; MemoryBound: 0
; FloatMode: 240
; IeeeMode: 1
; LDSByteSize: 0 bytes/workgroup (compile time only)
; SGPRBlocks: 0
; VGPRBlocks: 0
; NumSGPRsForWavesPerEU: 1
; NumVGPRsForWavesPerEU: 1
; Occupancy: 16
; WaveLimiterHint : 0
; COMPUTE_PGM_RSRC2:SCRATCH_EN: 0
; COMPUTE_PGM_RSRC2:USER_SGPR: 15
; COMPUTE_PGM_RSRC2:TRAP_HANDLER: 0
; COMPUTE_PGM_RSRC2:TGID_X_EN: 1
; COMPUTE_PGM_RSRC2:TGID_Y_EN: 0
; COMPUTE_PGM_RSRC2:TGID_Z_EN: 0
; COMPUTE_PGM_RSRC2:TIDIG_COMP_CNT: 0
	.section	.text._ZN7rocprim17ROCPRIM_400000_NS6detail17trampoline_kernelINS0_14default_configENS1_29binary_search_config_selectorIfbEEZNS1_14transform_implILb0ES3_S5_N6thrust23THRUST_200600_302600_NS17counting_iteratorIfNS8_11use_defaultESA_SA_EEPbZNS1_13binary_searchIS3_S5_PfSB_SC_NS1_16binary_search_opENS8_6detail16wrapped_functionINS0_4lessIvEEbEEEE10hipError_tPvRmT1_T2_T3_mmT4_T5_P12ihipStream_tbEUlRKfE_EESL_SP_SQ_mSR_SU_bEUlT_E_NS1_11comp_targetILNS1_3genE5ELNS1_11target_archE942ELNS1_3gpuE9ELNS1_3repE0EEENS1_30default_config_static_selectorELNS0_4arch9wavefront6targetE0EEEvSO_,"axG",@progbits,_ZN7rocprim17ROCPRIM_400000_NS6detail17trampoline_kernelINS0_14default_configENS1_29binary_search_config_selectorIfbEEZNS1_14transform_implILb0ES3_S5_N6thrust23THRUST_200600_302600_NS17counting_iteratorIfNS8_11use_defaultESA_SA_EEPbZNS1_13binary_searchIS3_S5_PfSB_SC_NS1_16binary_search_opENS8_6detail16wrapped_functionINS0_4lessIvEEbEEEE10hipError_tPvRmT1_T2_T3_mmT4_T5_P12ihipStream_tbEUlRKfE_EESL_SP_SQ_mSR_SU_bEUlT_E_NS1_11comp_targetILNS1_3genE5ELNS1_11target_archE942ELNS1_3gpuE9ELNS1_3repE0EEENS1_30default_config_static_selectorELNS0_4arch9wavefront6targetE0EEEvSO_,comdat
	.protected	_ZN7rocprim17ROCPRIM_400000_NS6detail17trampoline_kernelINS0_14default_configENS1_29binary_search_config_selectorIfbEEZNS1_14transform_implILb0ES3_S5_N6thrust23THRUST_200600_302600_NS17counting_iteratorIfNS8_11use_defaultESA_SA_EEPbZNS1_13binary_searchIS3_S5_PfSB_SC_NS1_16binary_search_opENS8_6detail16wrapped_functionINS0_4lessIvEEbEEEE10hipError_tPvRmT1_T2_T3_mmT4_T5_P12ihipStream_tbEUlRKfE_EESL_SP_SQ_mSR_SU_bEUlT_E_NS1_11comp_targetILNS1_3genE5ELNS1_11target_archE942ELNS1_3gpuE9ELNS1_3repE0EEENS1_30default_config_static_selectorELNS0_4arch9wavefront6targetE0EEEvSO_ ; -- Begin function _ZN7rocprim17ROCPRIM_400000_NS6detail17trampoline_kernelINS0_14default_configENS1_29binary_search_config_selectorIfbEEZNS1_14transform_implILb0ES3_S5_N6thrust23THRUST_200600_302600_NS17counting_iteratorIfNS8_11use_defaultESA_SA_EEPbZNS1_13binary_searchIS3_S5_PfSB_SC_NS1_16binary_search_opENS8_6detail16wrapped_functionINS0_4lessIvEEbEEEE10hipError_tPvRmT1_T2_T3_mmT4_T5_P12ihipStream_tbEUlRKfE_EESL_SP_SQ_mSR_SU_bEUlT_E_NS1_11comp_targetILNS1_3genE5ELNS1_11target_archE942ELNS1_3gpuE9ELNS1_3repE0EEENS1_30default_config_static_selectorELNS0_4arch9wavefront6targetE0EEEvSO_
	.globl	_ZN7rocprim17ROCPRIM_400000_NS6detail17trampoline_kernelINS0_14default_configENS1_29binary_search_config_selectorIfbEEZNS1_14transform_implILb0ES3_S5_N6thrust23THRUST_200600_302600_NS17counting_iteratorIfNS8_11use_defaultESA_SA_EEPbZNS1_13binary_searchIS3_S5_PfSB_SC_NS1_16binary_search_opENS8_6detail16wrapped_functionINS0_4lessIvEEbEEEE10hipError_tPvRmT1_T2_T3_mmT4_T5_P12ihipStream_tbEUlRKfE_EESL_SP_SQ_mSR_SU_bEUlT_E_NS1_11comp_targetILNS1_3genE5ELNS1_11target_archE942ELNS1_3gpuE9ELNS1_3repE0EEENS1_30default_config_static_selectorELNS0_4arch9wavefront6targetE0EEEvSO_
	.p2align	8
	.type	_ZN7rocprim17ROCPRIM_400000_NS6detail17trampoline_kernelINS0_14default_configENS1_29binary_search_config_selectorIfbEEZNS1_14transform_implILb0ES3_S5_N6thrust23THRUST_200600_302600_NS17counting_iteratorIfNS8_11use_defaultESA_SA_EEPbZNS1_13binary_searchIS3_S5_PfSB_SC_NS1_16binary_search_opENS8_6detail16wrapped_functionINS0_4lessIvEEbEEEE10hipError_tPvRmT1_T2_T3_mmT4_T5_P12ihipStream_tbEUlRKfE_EESL_SP_SQ_mSR_SU_bEUlT_E_NS1_11comp_targetILNS1_3genE5ELNS1_11target_archE942ELNS1_3gpuE9ELNS1_3repE0EEENS1_30default_config_static_selectorELNS0_4arch9wavefront6targetE0EEEvSO_,@function
_ZN7rocprim17ROCPRIM_400000_NS6detail17trampoline_kernelINS0_14default_configENS1_29binary_search_config_selectorIfbEEZNS1_14transform_implILb0ES3_S5_N6thrust23THRUST_200600_302600_NS17counting_iteratorIfNS8_11use_defaultESA_SA_EEPbZNS1_13binary_searchIS3_S5_PfSB_SC_NS1_16binary_search_opENS8_6detail16wrapped_functionINS0_4lessIvEEbEEEE10hipError_tPvRmT1_T2_T3_mmT4_T5_P12ihipStream_tbEUlRKfE_EESL_SP_SQ_mSR_SU_bEUlT_E_NS1_11comp_targetILNS1_3genE5ELNS1_11target_archE942ELNS1_3gpuE9ELNS1_3repE0EEENS1_30default_config_static_selectorELNS0_4arch9wavefront6targetE0EEEvSO_: ; @_ZN7rocprim17ROCPRIM_400000_NS6detail17trampoline_kernelINS0_14default_configENS1_29binary_search_config_selectorIfbEEZNS1_14transform_implILb0ES3_S5_N6thrust23THRUST_200600_302600_NS17counting_iteratorIfNS8_11use_defaultESA_SA_EEPbZNS1_13binary_searchIS3_S5_PfSB_SC_NS1_16binary_search_opENS8_6detail16wrapped_functionINS0_4lessIvEEbEEEE10hipError_tPvRmT1_T2_T3_mmT4_T5_P12ihipStream_tbEUlRKfE_EESL_SP_SQ_mSR_SU_bEUlT_E_NS1_11comp_targetILNS1_3genE5ELNS1_11target_archE942ELNS1_3gpuE9ELNS1_3repE0EEENS1_30default_config_static_selectorELNS0_4arch9wavefront6targetE0EEEvSO_
; %bb.0:
	.section	.rodata,"a",@progbits
	.p2align	6, 0x0
	.amdhsa_kernel _ZN7rocprim17ROCPRIM_400000_NS6detail17trampoline_kernelINS0_14default_configENS1_29binary_search_config_selectorIfbEEZNS1_14transform_implILb0ES3_S5_N6thrust23THRUST_200600_302600_NS17counting_iteratorIfNS8_11use_defaultESA_SA_EEPbZNS1_13binary_searchIS3_S5_PfSB_SC_NS1_16binary_search_opENS8_6detail16wrapped_functionINS0_4lessIvEEbEEEE10hipError_tPvRmT1_T2_T3_mmT4_T5_P12ihipStream_tbEUlRKfE_EESL_SP_SQ_mSR_SU_bEUlT_E_NS1_11comp_targetILNS1_3genE5ELNS1_11target_archE942ELNS1_3gpuE9ELNS1_3repE0EEENS1_30default_config_static_selectorELNS0_4arch9wavefront6targetE0EEEvSO_
		.amdhsa_group_segment_fixed_size 0
		.amdhsa_private_segment_fixed_size 0
		.amdhsa_kernarg_size 56
		.amdhsa_user_sgpr_count 15
		.amdhsa_user_sgpr_dispatch_ptr 0
		.amdhsa_user_sgpr_queue_ptr 0
		.amdhsa_user_sgpr_kernarg_segment_ptr 1
		.amdhsa_user_sgpr_dispatch_id 0
		.amdhsa_user_sgpr_private_segment_size 0
		.amdhsa_wavefront_size32 1
		.amdhsa_uses_dynamic_stack 0
		.amdhsa_enable_private_segment 0
		.amdhsa_system_sgpr_workgroup_id_x 1
		.amdhsa_system_sgpr_workgroup_id_y 0
		.amdhsa_system_sgpr_workgroup_id_z 0
		.amdhsa_system_sgpr_workgroup_info 0
		.amdhsa_system_vgpr_workitem_id 0
		.amdhsa_next_free_vgpr 1
		.amdhsa_next_free_sgpr 1
		.amdhsa_reserve_vcc 0
		.amdhsa_float_round_mode_32 0
		.amdhsa_float_round_mode_16_64 0
		.amdhsa_float_denorm_mode_32 3
		.amdhsa_float_denorm_mode_16_64 3
		.amdhsa_dx10_clamp 1
		.amdhsa_ieee_mode 1
		.amdhsa_fp16_overflow 0
		.amdhsa_workgroup_processor_mode 1
		.amdhsa_memory_ordered 1
		.amdhsa_forward_progress 0
		.amdhsa_shared_vgpr_count 0
		.amdhsa_exception_fp_ieee_invalid_op 0
		.amdhsa_exception_fp_denorm_src 0
		.amdhsa_exception_fp_ieee_div_zero 0
		.amdhsa_exception_fp_ieee_overflow 0
		.amdhsa_exception_fp_ieee_underflow 0
		.amdhsa_exception_fp_ieee_inexact 0
		.amdhsa_exception_int_div_zero 0
	.end_amdhsa_kernel
	.section	.text._ZN7rocprim17ROCPRIM_400000_NS6detail17trampoline_kernelINS0_14default_configENS1_29binary_search_config_selectorIfbEEZNS1_14transform_implILb0ES3_S5_N6thrust23THRUST_200600_302600_NS17counting_iteratorIfNS8_11use_defaultESA_SA_EEPbZNS1_13binary_searchIS3_S5_PfSB_SC_NS1_16binary_search_opENS8_6detail16wrapped_functionINS0_4lessIvEEbEEEE10hipError_tPvRmT1_T2_T3_mmT4_T5_P12ihipStream_tbEUlRKfE_EESL_SP_SQ_mSR_SU_bEUlT_E_NS1_11comp_targetILNS1_3genE5ELNS1_11target_archE942ELNS1_3gpuE9ELNS1_3repE0EEENS1_30default_config_static_selectorELNS0_4arch9wavefront6targetE0EEEvSO_,"axG",@progbits,_ZN7rocprim17ROCPRIM_400000_NS6detail17trampoline_kernelINS0_14default_configENS1_29binary_search_config_selectorIfbEEZNS1_14transform_implILb0ES3_S5_N6thrust23THRUST_200600_302600_NS17counting_iteratorIfNS8_11use_defaultESA_SA_EEPbZNS1_13binary_searchIS3_S5_PfSB_SC_NS1_16binary_search_opENS8_6detail16wrapped_functionINS0_4lessIvEEbEEEE10hipError_tPvRmT1_T2_T3_mmT4_T5_P12ihipStream_tbEUlRKfE_EESL_SP_SQ_mSR_SU_bEUlT_E_NS1_11comp_targetILNS1_3genE5ELNS1_11target_archE942ELNS1_3gpuE9ELNS1_3repE0EEENS1_30default_config_static_selectorELNS0_4arch9wavefront6targetE0EEEvSO_,comdat
.Lfunc_end181:
	.size	_ZN7rocprim17ROCPRIM_400000_NS6detail17trampoline_kernelINS0_14default_configENS1_29binary_search_config_selectorIfbEEZNS1_14transform_implILb0ES3_S5_N6thrust23THRUST_200600_302600_NS17counting_iteratorIfNS8_11use_defaultESA_SA_EEPbZNS1_13binary_searchIS3_S5_PfSB_SC_NS1_16binary_search_opENS8_6detail16wrapped_functionINS0_4lessIvEEbEEEE10hipError_tPvRmT1_T2_T3_mmT4_T5_P12ihipStream_tbEUlRKfE_EESL_SP_SQ_mSR_SU_bEUlT_E_NS1_11comp_targetILNS1_3genE5ELNS1_11target_archE942ELNS1_3gpuE9ELNS1_3repE0EEENS1_30default_config_static_selectorELNS0_4arch9wavefront6targetE0EEEvSO_, .Lfunc_end181-_ZN7rocprim17ROCPRIM_400000_NS6detail17trampoline_kernelINS0_14default_configENS1_29binary_search_config_selectorIfbEEZNS1_14transform_implILb0ES3_S5_N6thrust23THRUST_200600_302600_NS17counting_iteratorIfNS8_11use_defaultESA_SA_EEPbZNS1_13binary_searchIS3_S5_PfSB_SC_NS1_16binary_search_opENS8_6detail16wrapped_functionINS0_4lessIvEEbEEEE10hipError_tPvRmT1_T2_T3_mmT4_T5_P12ihipStream_tbEUlRKfE_EESL_SP_SQ_mSR_SU_bEUlT_E_NS1_11comp_targetILNS1_3genE5ELNS1_11target_archE942ELNS1_3gpuE9ELNS1_3repE0EEENS1_30default_config_static_selectorELNS0_4arch9wavefront6targetE0EEEvSO_
                                        ; -- End function
	.section	.AMDGPU.csdata,"",@progbits
; Kernel info:
; codeLenInByte = 0
; NumSgprs: 0
; NumVgprs: 0
; ScratchSize: 0
; MemoryBound: 0
; FloatMode: 240
; IeeeMode: 1
; LDSByteSize: 0 bytes/workgroup (compile time only)
; SGPRBlocks: 0
; VGPRBlocks: 0
; NumSGPRsForWavesPerEU: 1
; NumVGPRsForWavesPerEU: 1
; Occupancy: 16
; WaveLimiterHint : 0
; COMPUTE_PGM_RSRC2:SCRATCH_EN: 0
; COMPUTE_PGM_RSRC2:USER_SGPR: 15
; COMPUTE_PGM_RSRC2:TRAP_HANDLER: 0
; COMPUTE_PGM_RSRC2:TGID_X_EN: 1
; COMPUTE_PGM_RSRC2:TGID_Y_EN: 0
; COMPUTE_PGM_RSRC2:TGID_Z_EN: 0
; COMPUTE_PGM_RSRC2:TIDIG_COMP_CNT: 0
	.section	.text._ZN7rocprim17ROCPRIM_400000_NS6detail17trampoline_kernelINS0_14default_configENS1_29binary_search_config_selectorIfbEEZNS1_14transform_implILb0ES3_S5_N6thrust23THRUST_200600_302600_NS17counting_iteratorIfNS8_11use_defaultESA_SA_EEPbZNS1_13binary_searchIS3_S5_PfSB_SC_NS1_16binary_search_opENS8_6detail16wrapped_functionINS0_4lessIvEEbEEEE10hipError_tPvRmT1_T2_T3_mmT4_T5_P12ihipStream_tbEUlRKfE_EESL_SP_SQ_mSR_SU_bEUlT_E_NS1_11comp_targetILNS1_3genE4ELNS1_11target_archE910ELNS1_3gpuE8ELNS1_3repE0EEENS1_30default_config_static_selectorELNS0_4arch9wavefront6targetE0EEEvSO_,"axG",@progbits,_ZN7rocprim17ROCPRIM_400000_NS6detail17trampoline_kernelINS0_14default_configENS1_29binary_search_config_selectorIfbEEZNS1_14transform_implILb0ES3_S5_N6thrust23THRUST_200600_302600_NS17counting_iteratorIfNS8_11use_defaultESA_SA_EEPbZNS1_13binary_searchIS3_S5_PfSB_SC_NS1_16binary_search_opENS8_6detail16wrapped_functionINS0_4lessIvEEbEEEE10hipError_tPvRmT1_T2_T3_mmT4_T5_P12ihipStream_tbEUlRKfE_EESL_SP_SQ_mSR_SU_bEUlT_E_NS1_11comp_targetILNS1_3genE4ELNS1_11target_archE910ELNS1_3gpuE8ELNS1_3repE0EEENS1_30default_config_static_selectorELNS0_4arch9wavefront6targetE0EEEvSO_,comdat
	.protected	_ZN7rocprim17ROCPRIM_400000_NS6detail17trampoline_kernelINS0_14default_configENS1_29binary_search_config_selectorIfbEEZNS1_14transform_implILb0ES3_S5_N6thrust23THRUST_200600_302600_NS17counting_iteratorIfNS8_11use_defaultESA_SA_EEPbZNS1_13binary_searchIS3_S5_PfSB_SC_NS1_16binary_search_opENS8_6detail16wrapped_functionINS0_4lessIvEEbEEEE10hipError_tPvRmT1_T2_T3_mmT4_T5_P12ihipStream_tbEUlRKfE_EESL_SP_SQ_mSR_SU_bEUlT_E_NS1_11comp_targetILNS1_3genE4ELNS1_11target_archE910ELNS1_3gpuE8ELNS1_3repE0EEENS1_30default_config_static_selectorELNS0_4arch9wavefront6targetE0EEEvSO_ ; -- Begin function _ZN7rocprim17ROCPRIM_400000_NS6detail17trampoline_kernelINS0_14default_configENS1_29binary_search_config_selectorIfbEEZNS1_14transform_implILb0ES3_S5_N6thrust23THRUST_200600_302600_NS17counting_iteratorIfNS8_11use_defaultESA_SA_EEPbZNS1_13binary_searchIS3_S5_PfSB_SC_NS1_16binary_search_opENS8_6detail16wrapped_functionINS0_4lessIvEEbEEEE10hipError_tPvRmT1_T2_T3_mmT4_T5_P12ihipStream_tbEUlRKfE_EESL_SP_SQ_mSR_SU_bEUlT_E_NS1_11comp_targetILNS1_3genE4ELNS1_11target_archE910ELNS1_3gpuE8ELNS1_3repE0EEENS1_30default_config_static_selectorELNS0_4arch9wavefront6targetE0EEEvSO_
	.globl	_ZN7rocprim17ROCPRIM_400000_NS6detail17trampoline_kernelINS0_14default_configENS1_29binary_search_config_selectorIfbEEZNS1_14transform_implILb0ES3_S5_N6thrust23THRUST_200600_302600_NS17counting_iteratorIfNS8_11use_defaultESA_SA_EEPbZNS1_13binary_searchIS3_S5_PfSB_SC_NS1_16binary_search_opENS8_6detail16wrapped_functionINS0_4lessIvEEbEEEE10hipError_tPvRmT1_T2_T3_mmT4_T5_P12ihipStream_tbEUlRKfE_EESL_SP_SQ_mSR_SU_bEUlT_E_NS1_11comp_targetILNS1_3genE4ELNS1_11target_archE910ELNS1_3gpuE8ELNS1_3repE0EEENS1_30default_config_static_selectorELNS0_4arch9wavefront6targetE0EEEvSO_
	.p2align	8
	.type	_ZN7rocprim17ROCPRIM_400000_NS6detail17trampoline_kernelINS0_14default_configENS1_29binary_search_config_selectorIfbEEZNS1_14transform_implILb0ES3_S5_N6thrust23THRUST_200600_302600_NS17counting_iteratorIfNS8_11use_defaultESA_SA_EEPbZNS1_13binary_searchIS3_S5_PfSB_SC_NS1_16binary_search_opENS8_6detail16wrapped_functionINS0_4lessIvEEbEEEE10hipError_tPvRmT1_T2_T3_mmT4_T5_P12ihipStream_tbEUlRKfE_EESL_SP_SQ_mSR_SU_bEUlT_E_NS1_11comp_targetILNS1_3genE4ELNS1_11target_archE910ELNS1_3gpuE8ELNS1_3repE0EEENS1_30default_config_static_selectorELNS0_4arch9wavefront6targetE0EEEvSO_,@function
_ZN7rocprim17ROCPRIM_400000_NS6detail17trampoline_kernelINS0_14default_configENS1_29binary_search_config_selectorIfbEEZNS1_14transform_implILb0ES3_S5_N6thrust23THRUST_200600_302600_NS17counting_iteratorIfNS8_11use_defaultESA_SA_EEPbZNS1_13binary_searchIS3_S5_PfSB_SC_NS1_16binary_search_opENS8_6detail16wrapped_functionINS0_4lessIvEEbEEEE10hipError_tPvRmT1_T2_T3_mmT4_T5_P12ihipStream_tbEUlRKfE_EESL_SP_SQ_mSR_SU_bEUlT_E_NS1_11comp_targetILNS1_3genE4ELNS1_11target_archE910ELNS1_3gpuE8ELNS1_3repE0EEENS1_30default_config_static_selectorELNS0_4arch9wavefront6targetE0EEEvSO_: ; @_ZN7rocprim17ROCPRIM_400000_NS6detail17trampoline_kernelINS0_14default_configENS1_29binary_search_config_selectorIfbEEZNS1_14transform_implILb0ES3_S5_N6thrust23THRUST_200600_302600_NS17counting_iteratorIfNS8_11use_defaultESA_SA_EEPbZNS1_13binary_searchIS3_S5_PfSB_SC_NS1_16binary_search_opENS8_6detail16wrapped_functionINS0_4lessIvEEbEEEE10hipError_tPvRmT1_T2_T3_mmT4_T5_P12ihipStream_tbEUlRKfE_EESL_SP_SQ_mSR_SU_bEUlT_E_NS1_11comp_targetILNS1_3genE4ELNS1_11target_archE910ELNS1_3gpuE8ELNS1_3repE0EEENS1_30default_config_static_selectorELNS0_4arch9wavefront6targetE0EEEvSO_
; %bb.0:
	.section	.rodata,"a",@progbits
	.p2align	6, 0x0
	.amdhsa_kernel _ZN7rocprim17ROCPRIM_400000_NS6detail17trampoline_kernelINS0_14default_configENS1_29binary_search_config_selectorIfbEEZNS1_14transform_implILb0ES3_S5_N6thrust23THRUST_200600_302600_NS17counting_iteratorIfNS8_11use_defaultESA_SA_EEPbZNS1_13binary_searchIS3_S5_PfSB_SC_NS1_16binary_search_opENS8_6detail16wrapped_functionINS0_4lessIvEEbEEEE10hipError_tPvRmT1_T2_T3_mmT4_T5_P12ihipStream_tbEUlRKfE_EESL_SP_SQ_mSR_SU_bEUlT_E_NS1_11comp_targetILNS1_3genE4ELNS1_11target_archE910ELNS1_3gpuE8ELNS1_3repE0EEENS1_30default_config_static_selectorELNS0_4arch9wavefront6targetE0EEEvSO_
		.amdhsa_group_segment_fixed_size 0
		.amdhsa_private_segment_fixed_size 0
		.amdhsa_kernarg_size 56
		.amdhsa_user_sgpr_count 15
		.amdhsa_user_sgpr_dispatch_ptr 0
		.amdhsa_user_sgpr_queue_ptr 0
		.amdhsa_user_sgpr_kernarg_segment_ptr 1
		.amdhsa_user_sgpr_dispatch_id 0
		.amdhsa_user_sgpr_private_segment_size 0
		.amdhsa_wavefront_size32 1
		.amdhsa_uses_dynamic_stack 0
		.amdhsa_enable_private_segment 0
		.amdhsa_system_sgpr_workgroup_id_x 1
		.amdhsa_system_sgpr_workgroup_id_y 0
		.amdhsa_system_sgpr_workgroup_id_z 0
		.amdhsa_system_sgpr_workgroup_info 0
		.amdhsa_system_vgpr_workitem_id 0
		.amdhsa_next_free_vgpr 1
		.amdhsa_next_free_sgpr 1
		.amdhsa_reserve_vcc 0
		.amdhsa_float_round_mode_32 0
		.amdhsa_float_round_mode_16_64 0
		.amdhsa_float_denorm_mode_32 3
		.amdhsa_float_denorm_mode_16_64 3
		.amdhsa_dx10_clamp 1
		.amdhsa_ieee_mode 1
		.amdhsa_fp16_overflow 0
		.amdhsa_workgroup_processor_mode 1
		.amdhsa_memory_ordered 1
		.amdhsa_forward_progress 0
		.amdhsa_shared_vgpr_count 0
		.amdhsa_exception_fp_ieee_invalid_op 0
		.amdhsa_exception_fp_denorm_src 0
		.amdhsa_exception_fp_ieee_div_zero 0
		.amdhsa_exception_fp_ieee_overflow 0
		.amdhsa_exception_fp_ieee_underflow 0
		.amdhsa_exception_fp_ieee_inexact 0
		.amdhsa_exception_int_div_zero 0
	.end_amdhsa_kernel
	.section	.text._ZN7rocprim17ROCPRIM_400000_NS6detail17trampoline_kernelINS0_14default_configENS1_29binary_search_config_selectorIfbEEZNS1_14transform_implILb0ES3_S5_N6thrust23THRUST_200600_302600_NS17counting_iteratorIfNS8_11use_defaultESA_SA_EEPbZNS1_13binary_searchIS3_S5_PfSB_SC_NS1_16binary_search_opENS8_6detail16wrapped_functionINS0_4lessIvEEbEEEE10hipError_tPvRmT1_T2_T3_mmT4_T5_P12ihipStream_tbEUlRKfE_EESL_SP_SQ_mSR_SU_bEUlT_E_NS1_11comp_targetILNS1_3genE4ELNS1_11target_archE910ELNS1_3gpuE8ELNS1_3repE0EEENS1_30default_config_static_selectorELNS0_4arch9wavefront6targetE0EEEvSO_,"axG",@progbits,_ZN7rocprim17ROCPRIM_400000_NS6detail17trampoline_kernelINS0_14default_configENS1_29binary_search_config_selectorIfbEEZNS1_14transform_implILb0ES3_S5_N6thrust23THRUST_200600_302600_NS17counting_iteratorIfNS8_11use_defaultESA_SA_EEPbZNS1_13binary_searchIS3_S5_PfSB_SC_NS1_16binary_search_opENS8_6detail16wrapped_functionINS0_4lessIvEEbEEEE10hipError_tPvRmT1_T2_T3_mmT4_T5_P12ihipStream_tbEUlRKfE_EESL_SP_SQ_mSR_SU_bEUlT_E_NS1_11comp_targetILNS1_3genE4ELNS1_11target_archE910ELNS1_3gpuE8ELNS1_3repE0EEENS1_30default_config_static_selectorELNS0_4arch9wavefront6targetE0EEEvSO_,comdat
.Lfunc_end182:
	.size	_ZN7rocprim17ROCPRIM_400000_NS6detail17trampoline_kernelINS0_14default_configENS1_29binary_search_config_selectorIfbEEZNS1_14transform_implILb0ES3_S5_N6thrust23THRUST_200600_302600_NS17counting_iteratorIfNS8_11use_defaultESA_SA_EEPbZNS1_13binary_searchIS3_S5_PfSB_SC_NS1_16binary_search_opENS8_6detail16wrapped_functionINS0_4lessIvEEbEEEE10hipError_tPvRmT1_T2_T3_mmT4_T5_P12ihipStream_tbEUlRKfE_EESL_SP_SQ_mSR_SU_bEUlT_E_NS1_11comp_targetILNS1_3genE4ELNS1_11target_archE910ELNS1_3gpuE8ELNS1_3repE0EEENS1_30default_config_static_selectorELNS0_4arch9wavefront6targetE0EEEvSO_, .Lfunc_end182-_ZN7rocprim17ROCPRIM_400000_NS6detail17trampoline_kernelINS0_14default_configENS1_29binary_search_config_selectorIfbEEZNS1_14transform_implILb0ES3_S5_N6thrust23THRUST_200600_302600_NS17counting_iteratorIfNS8_11use_defaultESA_SA_EEPbZNS1_13binary_searchIS3_S5_PfSB_SC_NS1_16binary_search_opENS8_6detail16wrapped_functionINS0_4lessIvEEbEEEE10hipError_tPvRmT1_T2_T3_mmT4_T5_P12ihipStream_tbEUlRKfE_EESL_SP_SQ_mSR_SU_bEUlT_E_NS1_11comp_targetILNS1_3genE4ELNS1_11target_archE910ELNS1_3gpuE8ELNS1_3repE0EEENS1_30default_config_static_selectorELNS0_4arch9wavefront6targetE0EEEvSO_
                                        ; -- End function
	.section	.AMDGPU.csdata,"",@progbits
; Kernel info:
; codeLenInByte = 0
; NumSgprs: 0
; NumVgprs: 0
; ScratchSize: 0
; MemoryBound: 0
; FloatMode: 240
; IeeeMode: 1
; LDSByteSize: 0 bytes/workgroup (compile time only)
; SGPRBlocks: 0
; VGPRBlocks: 0
; NumSGPRsForWavesPerEU: 1
; NumVGPRsForWavesPerEU: 1
; Occupancy: 16
; WaveLimiterHint : 0
; COMPUTE_PGM_RSRC2:SCRATCH_EN: 0
; COMPUTE_PGM_RSRC2:USER_SGPR: 15
; COMPUTE_PGM_RSRC2:TRAP_HANDLER: 0
; COMPUTE_PGM_RSRC2:TGID_X_EN: 1
; COMPUTE_PGM_RSRC2:TGID_Y_EN: 0
; COMPUTE_PGM_RSRC2:TGID_Z_EN: 0
; COMPUTE_PGM_RSRC2:TIDIG_COMP_CNT: 0
	.section	.text._ZN7rocprim17ROCPRIM_400000_NS6detail17trampoline_kernelINS0_14default_configENS1_29binary_search_config_selectorIfbEEZNS1_14transform_implILb0ES3_S5_N6thrust23THRUST_200600_302600_NS17counting_iteratorIfNS8_11use_defaultESA_SA_EEPbZNS1_13binary_searchIS3_S5_PfSB_SC_NS1_16binary_search_opENS8_6detail16wrapped_functionINS0_4lessIvEEbEEEE10hipError_tPvRmT1_T2_T3_mmT4_T5_P12ihipStream_tbEUlRKfE_EESL_SP_SQ_mSR_SU_bEUlT_E_NS1_11comp_targetILNS1_3genE3ELNS1_11target_archE908ELNS1_3gpuE7ELNS1_3repE0EEENS1_30default_config_static_selectorELNS0_4arch9wavefront6targetE0EEEvSO_,"axG",@progbits,_ZN7rocprim17ROCPRIM_400000_NS6detail17trampoline_kernelINS0_14default_configENS1_29binary_search_config_selectorIfbEEZNS1_14transform_implILb0ES3_S5_N6thrust23THRUST_200600_302600_NS17counting_iteratorIfNS8_11use_defaultESA_SA_EEPbZNS1_13binary_searchIS3_S5_PfSB_SC_NS1_16binary_search_opENS8_6detail16wrapped_functionINS0_4lessIvEEbEEEE10hipError_tPvRmT1_T2_T3_mmT4_T5_P12ihipStream_tbEUlRKfE_EESL_SP_SQ_mSR_SU_bEUlT_E_NS1_11comp_targetILNS1_3genE3ELNS1_11target_archE908ELNS1_3gpuE7ELNS1_3repE0EEENS1_30default_config_static_selectorELNS0_4arch9wavefront6targetE0EEEvSO_,comdat
	.protected	_ZN7rocprim17ROCPRIM_400000_NS6detail17trampoline_kernelINS0_14default_configENS1_29binary_search_config_selectorIfbEEZNS1_14transform_implILb0ES3_S5_N6thrust23THRUST_200600_302600_NS17counting_iteratorIfNS8_11use_defaultESA_SA_EEPbZNS1_13binary_searchIS3_S5_PfSB_SC_NS1_16binary_search_opENS8_6detail16wrapped_functionINS0_4lessIvEEbEEEE10hipError_tPvRmT1_T2_T3_mmT4_T5_P12ihipStream_tbEUlRKfE_EESL_SP_SQ_mSR_SU_bEUlT_E_NS1_11comp_targetILNS1_3genE3ELNS1_11target_archE908ELNS1_3gpuE7ELNS1_3repE0EEENS1_30default_config_static_selectorELNS0_4arch9wavefront6targetE0EEEvSO_ ; -- Begin function _ZN7rocprim17ROCPRIM_400000_NS6detail17trampoline_kernelINS0_14default_configENS1_29binary_search_config_selectorIfbEEZNS1_14transform_implILb0ES3_S5_N6thrust23THRUST_200600_302600_NS17counting_iteratorIfNS8_11use_defaultESA_SA_EEPbZNS1_13binary_searchIS3_S5_PfSB_SC_NS1_16binary_search_opENS8_6detail16wrapped_functionINS0_4lessIvEEbEEEE10hipError_tPvRmT1_T2_T3_mmT4_T5_P12ihipStream_tbEUlRKfE_EESL_SP_SQ_mSR_SU_bEUlT_E_NS1_11comp_targetILNS1_3genE3ELNS1_11target_archE908ELNS1_3gpuE7ELNS1_3repE0EEENS1_30default_config_static_selectorELNS0_4arch9wavefront6targetE0EEEvSO_
	.globl	_ZN7rocprim17ROCPRIM_400000_NS6detail17trampoline_kernelINS0_14default_configENS1_29binary_search_config_selectorIfbEEZNS1_14transform_implILb0ES3_S5_N6thrust23THRUST_200600_302600_NS17counting_iteratorIfNS8_11use_defaultESA_SA_EEPbZNS1_13binary_searchIS3_S5_PfSB_SC_NS1_16binary_search_opENS8_6detail16wrapped_functionINS0_4lessIvEEbEEEE10hipError_tPvRmT1_T2_T3_mmT4_T5_P12ihipStream_tbEUlRKfE_EESL_SP_SQ_mSR_SU_bEUlT_E_NS1_11comp_targetILNS1_3genE3ELNS1_11target_archE908ELNS1_3gpuE7ELNS1_3repE0EEENS1_30default_config_static_selectorELNS0_4arch9wavefront6targetE0EEEvSO_
	.p2align	8
	.type	_ZN7rocprim17ROCPRIM_400000_NS6detail17trampoline_kernelINS0_14default_configENS1_29binary_search_config_selectorIfbEEZNS1_14transform_implILb0ES3_S5_N6thrust23THRUST_200600_302600_NS17counting_iteratorIfNS8_11use_defaultESA_SA_EEPbZNS1_13binary_searchIS3_S5_PfSB_SC_NS1_16binary_search_opENS8_6detail16wrapped_functionINS0_4lessIvEEbEEEE10hipError_tPvRmT1_T2_T3_mmT4_T5_P12ihipStream_tbEUlRKfE_EESL_SP_SQ_mSR_SU_bEUlT_E_NS1_11comp_targetILNS1_3genE3ELNS1_11target_archE908ELNS1_3gpuE7ELNS1_3repE0EEENS1_30default_config_static_selectorELNS0_4arch9wavefront6targetE0EEEvSO_,@function
_ZN7rocprim17ROCPRIM_400000_NS6detail17trampoline_kernelINS0_14default_configENS1_29binary_search_config_selectorIfbEEZNS1_14transform_implILb0ES3_S5_N6thrust23THRUST_200600_302600_NS17counting_iteratorIfNS8_11use_defaultESA_SA_EEPbZNS1_13binary_searchIS3_S5_PfSB_SC_NS1_16binary_search_opENS8_6detail16wrapped_functionINS0_4lessIvEEbEEEE10hipError_tPvRmT1_T2_T3_mmT4_T5_P12ihipStream_tbEUlRKfE_EESL_SP_SQ_mSR_SU_bEUlT_E_NS1_11comp_targetILNS1_3genE3ELNS1_11target_archE908ELNS1_3gpuE7ELNS1_3repE0EEENS1_30default_config_static_selectorELNS0_4arch9wavefront6targetE0EEEvSO_: ; @_ZN7rocprim17ROCPRIM_400000_NS6detail17trampoline_kernelINS0_14default_configENS1_29binary_search_config_selectorIfbEEZNS1_14transform_implILb0ES3_S5_N6thrust23THRUST_200600_302600_NS17counting_iteratorIfNS8_11use_defaultESA_SA_EEPbZNS1_13binary_searchIS3_S5_PfSB_SC_NS1_16binary_search_opENS8_6detail16wrapped_functionINS0_4lessIvEEbEEEE10hipError_tPvRmT1_T2_T3_mmT4_T5_P12ihipStream_tbEUlRKfE_EESL_SP_SQ_mSR_SU_bEUlT_E_NS1_11comp_targetILNS1_3genE3ELNS1_11target_archE908ELNS1_3gpuE7ELNS1_3repE0EEENS1_30default_config_static_selectorELNS0_4arch9wavefront6targetE0EEEvSO_
; %bb.0:
	.section	.rodata,"a",@progbits
	.p2align	6, 0x0
	.amdhsa_kernel _ZN7rocprim17ROCPRIM_400000_NS6detail17trampoline_kernelINS0_14default_configENS1_29binary_search_config_selectorIfbEEZNS1_14transform_implILb0ES3_S5_N6thrust23THRUST_200600_302600_NS17counting_iteratorIfNS8_11use_defaultESA_SA_EEPbZNS1_13binary_searchIS3_S5_PfSB_SC_NS1_16binary_search_opENS8_6detail16wrapped_functionINS0_4lessIvEEbEEEE10hipError_tPvRmT1_T2_T3_mmT4_T5_P12ihipStream_tbEUlRKfE_EESL_SP_SQ_mSR_SU_bEUlT_E_NS1_11comp_targetILNS1_3genE3ELNS1_11target_archE908ELNS1_3gpuE7ELNS1_3repE0EEENS1_30default_config_static_selectorELNS0_4arch9wavefront6targetE0EEEvSO_
		.amdhsa_group_segment_fixed_size 0
		.amdhsa_private_segment_fixed_size 0
		.amdhsa_kernarg_size 56
		.amdhsa_user_sgpr_count 15
		.amdhsa_user_sgpr_dispatch_ptr 0
		.amdhsa_user_sgpr_queue_ptr 0
		.amdhsa_user_sgpr_kernarg_segment_ptr 1
		.amdhsa_user_sgpr_dispatch_id 0
		.amdhsa_user_sgpr_private_segment_size 0
		.amdhsa_wavefront_size32 1
		.amdhsa_uses_dynamic_stack 0
		.amdhsa_enable_private_segment 0
		.amdhsa_system_sgpr_workgroup_id_x 1
		.amdhsa_system_sgpr_workgroup_id_y 0
		.amdhsa_system_sgpr_workgroup_id_z 0
		.amdhsa_system_sgpr_workgroup_info 0
		.amdhsa_system_vgpr_workitem_id 0
		.amdhsa_next_free_vgpr 1
		.amdhsa_next_free_sgpr 1
		.amdhsa_reserve_vcc 0
		.amdhsa_float_round_mode_32 0
		.amdhsa_float_round_mode_16_64 0
		.amdhsa_float_denorm_mode_32 3
		.amdhsa_float_denorm_mode_16_64 3
		.amdhsa_dx10_clamp 1
		.amdhsa_ieee_mode 1
		.amdhsa_fp16_overflow 0
		.amdhsa_workgroup_processor_mode 1
		.amdhsa_memory_ordered 1
		.amdhsa_forward_progress 0
		.amdhsa_shared_vgpr_count 0
		.amdhsa_exception_fp_ieee_invalid_op 0
		.amdhsa_exception_fp_denorm_src 0
		.amdhsa_exception_fp_ieee_div_zero 0
		.amdhsa_exception_fp_ieee_overflow 0
		.amdhsa_exception_fp_ieee_underflow 0
		.amdhsa_exception_fp_ieee_inexact 0
		.amdhsa_exception_int_div_zero 0
	.end_amdhsa_kernel
	.section	.text._ZN7rocprim17ROCPRIM_400000_NS6detail17trampoline_kernelINS0_14default_configENS1_29binary_search_config_selectorIfbEEZNS1_14transform_implILb0ES3_S5_N6thrust23THRUST_200600_302600_NS17counting_iteratorIfNS8_11use_defaultESA_SA_EEPbZNS1_13binary_searchIS3_S5_PfSB_SC_NS1_16binary_search_opENS8_6detail16wrapped_functionINS0_4lessIvEEbEEEE10hipError_tPvRmT1_T2_T3_mmT4_T5_P12ihipStream_tbEUlRKfE_EESL_SP_SQ_mSR_SU_bEUlT_E_NS1_11comp_targetILNS1_3genE3ELNS1_11target_archE908ELNS1_3gpuE7ELNS1_3repE0EEENS1_30default_config_static_selectorELNS0_4arch9wavefront6targetE0EEEvSO_,"axG",@progbits,_ZN7rocprim17ROCPRIM_400000_NS6detail17trampoline_kernelINS0_14default_configENS1_29binary_search_config_selectorIfbEEZNS1_14transform_implILb0ES3_S5_N6thrust23THRUST_200600_302600_NS17counting_iteratorIfNS8_11use_defaultESA_SA_EEPbZNS1_13binary_searchIS3_S5_PfSB_SC_NS1_16binary_search_opENS8_6detail16wrapped_functionINS0_4lessIvEEbEEEE10hipError_tPvRmT1_T2_T3_mmT4_T5_P12ihipStream_tbEUlRKfE_EESL_SP_SQ_mSR_SU_bEUlT_E_NS1_11comp_targetILNS1_3genE3ELNS1_11target_archE908ELNS1_3gpuE7ELNS1_3repE0EEENS1_30default_config_static_selectorELNS0_4arch9wavefront6targetE0EEEvSO_,comdat
.Lfunc_end183:
	.size	_ZN7rocprim17ROCPRIM_400000_NS6detail17trampoline_kernelINS0_14default_configENS1_29binary_search_config_selectorIfbEEZNS1_14transform_implILb0ES3_S5_N6thrust23THRUST_200600_302600_NS17counting_iteratorIfNS8_11use_defaultESA_SA_EEPbZNS1_13binary_searchIS3_S5_PfSB_SC_NS1_16binary_search_opENS8_6detail16wrapped_functionINS0_4lessIvEEbEEEE10hipError_tPvRmT1_T2_T3_mmT4_T5_P12ihipStream_tbEUlRKfE_EESL_SP_SQ_mSR_SU_bEUlT_E_NS1_11comp_targetILNS1_3genE3ELNS1_11target_archE908ELNS1_3gpuE7ELNS1_3repE0EEENS1_30default_config_static_selectorELNS0_4arch9wavefront6targetE0EEEvSO_, .Lfunc_end183-_ZN7rocprim17ROCPRIM_400000_NS6detail17trampoline_kernelINS0_14default_configENS1_29binary_search_config_selectorIfbEEZNS1_14transform_implILb0ES3_S5_N6thrust23THRUST_200600_302600_NS17counting_iteratorIfNS8_11use_defaultESA_SA_EEPbZNS1_13binary_searchIS3_S5_PfSB_SC_NS1_16binary_search_opENS8_6detail16wrapped_functionINS0_4lessIvEEbEEEE10hipError_tPvRmT1_T2_T3_mmT4_T5_P12ihipStream_tbEUlRKfE_EESL_SP_SQ_mSR_SU_bEUlT_E_NS1_11comp_targetILNS1_3genE3ELNS1_11target_archE908ELNS1_3gpuE7ELNS1_3repE0EEENS1_30default_config_static_selectorELNS0_4arch9wavefront6targetE0EEEvSO_
                                        ; -- End function
	.section	.AMDGPU.csdata,"",@progbits
; Kernel info:
; codeLenInByte = 0
; NumSgprs: 0
; NumVgprs: 0
; ScratchSize: 0
; MemoryBound: 0
; FloatMode: 240
; IeeeMode: 1
; LDSByteSize: 0 bytes/workgroup (compile time only)
; SGPRBlocks: 0
; VGPRBlocks: 0
; NumSGPRsForWavesPerEU: 1
; NumVGPRsForWavesPerEU: 1
; Occupancy: 16
; WaveLimiterHint : 0
; COMPUTE_PGM_RSRC2:SCRATCH_EN: 0
; COMPUTE_PGM_RSRC2:USER_SGPR: 15
; COMPUTE_PGM_RSRC2:TRAP_HANDLER: 0
; COMPUTE_PGM_RSRC2:TGID_X_EN: 1
; COMPUTE_PGM_RSRC2:TGID_Y_EN: 0
; COMPUTE_PGM_RSRC2:TGID_Z_EN: 0
; COMPUTE_PGM_RSRC2:TIDIG_COMP_CNT: 0
	.section	.text._ZN7rocprim17ROCPRIM_400000_NS6detail17trampoline_kernelINS0_14default_configENS1_29binary_search_config_selectorIfbEEZNS1_14transform_implILb0ES3_S5_N6thrust23THRUST_200600_302600_NS17counting_iteratorIfNS8_11use_defaultESA_SA_EEPbZNS1_13binary_searchIS3_S5_PfSB_SC_NS1_16binary_search_opENS8_6detail16wrapped_functionINS0_4lessIvEEbEEEE10hipError_tPvRmT1_T2_T3_mmT4_T5_P12ihipStream_tbEUlRKfE_EESL_SP_SQ_mSR_SU_bEUlT_E_NS1_11comp_targetILNS1_3genE2ELNS1_11target_archE906ELNS1_3gpuE6ELNS1_3repE0EEENS1_30default_config_static_selectorELNS0_4arch9wavefront6targetE0EEEvSO_,"axG",@progbits,_ZN7rocprim17ROCPRIM_400000_NS6detail17trampoline_kernelINS0_14default_configENS1_29binary_search_config_selectorIfbEEZNS1_14transform_implILb0ES3_S5_N6thrust23THRUST_200600_302600_NS17counting_iteratorIfNS8_11use_defaultESA_SA_EEPbZNS1_13binary_searchIS3_S5_PfSB_SC_NS1_16binary_search_opENS8_6detail16wrapped_functionINS0_4lessIvEEbEEEE10hipError_tPvRmT1_T2_T3_mmT4_T5_P12ihipStream_tbEUlRKfE_EESL_SP_SQ_mSR_SU_bEUlT_E_NS1_11comp_targetILNS1_3genE2ELNS1_11target_archE906ELNS1_3gpuE6ELNS1_3repE0EEENS1_30default_config_static_selectorELNS0_4arch9wavefront6targetE0EEEvSO_,comdat
	.protected	_ZN7rocprim17ROCPRIM_400000_NS6detail17trampoline_kernelINS0_14default_configENS1_29binary_search_config_selectorIfbEEZNS1_14transform_implILb0ES3_S5_N6thrust23THRUST_200600_302600_NS17counting_iteratorIfNS8_11use_defaultESA_SA_EEPbZNS1_13binary_searchIS3_S5_PfSB_SC_NS1_16binary_search_opENS8_6detail16wrapped_functionINS0_4lessIvEEbEEEE10hipError_tPvRmT1_T2_T3_mmT4_T5_P12ihipStream_tbEUlRKfE_EESL_SP_SQ_mSR_SU_bEUlT_E_NS1_11comp_targetILNS1_3genE2ELNS1_11target_archE906ELNS1_3gpuE6ELNS1_3repE0EEENS1_30default_config_static_selectorELNS0_4arch9wavefront6targetE0EEEvSO_ ; -- Begin function _ZN7rocprim17ROCPRIM_400000_NS6detail17trampoline_kernelINS0_14default_configENS1_29binary_search_config_selectorIfbEEZNS1_14transform_implILb0ES3_S5_N6thrust23THRUST_200600_302600_NS17counting_iteratorIfNS8_11use_defaultESA_SA_EEPbZNS1_13binary_searchIS3_S5_PfSB_SC_NS1_16binary_search_opENS8_6detail16wrapped_functionINS0_4lessIvEEbEEEE10hipError_tPvRmT1_T2_T3_mmT4_T5_P12ihipStream_tbEUlRKfE_EESL_SP_SQ_mSR_SU_bEUlT_E_NS1_11comp_targetILNS1_3genE2ELNS1_11target_archE906ELNS1_3gpuE6ELNS1_3repE0EEENS1_30default_config_static_selectorELNS0_4arch9wavefront6targetE0EEEvSO_
	.globl	_ZN7rocprim17ROCPRIM_400000_NS6detail17trampoline_kernelINS0_14default_configENS1_29binary_search_config_selectorIfbEEZNS1_14transform_implILb0ES3_S5_N6thrust23THRUST_200600_302600_NS17counting_iteratorIfNS8_11use_defaultESA_SA_EEPbZNS1_13binary_searchIS3_S5_PfSB_SC_NS1_16binary_search_opENS8_6detail16wrapped_functionINS0_4lessIvEEbEEEE10hipError_tPvRmT1_T2_T3_mmT4_T5_P12ihipStream_tbEUlRKfE_EESL_SP_SQ_mSR_SU_bEUlT_E_NS1_11comp_targetILNS1_3genE2ELNS1_11target_archE906ELNS1_3gpuE6ELNS1_3repE0EEENS1_30default_config_static_selectorELNS0_4arch9wavefront6targetE0EEEvSO_
	.p2align	8
	.type	_ZN7rocprim17ROCPRIM_400000_NS6detail17trampoline_kernelINS0_14default_configENS1_29binary_search_config_selectorIfbEEZNS1_14transform_implILb0ES3_S5_N6thrust23THRUST_200600_302600_NS17counting_iteratorIfNS8_11use_defaultESA_SA_EEPbZNS1_13binary_searchIS3_S5_PfSB_SC_NS1_16binary_search_opENS8_6detail16wrapped_functionINS0_4lessIvEEbEEEE10hipError_tPvRmT1_T2_T3_mmT4_T5_P12ihipStream_tbEUlRKfE_EESL_SP_SQ_mSR_SU_bEUlT_E_NS1_11comp_targetILNS1_3genE2ELNS1_11target_archE906ELNS1_3gpuE6ELNS1_3repE0EEENS1_30default_config_static_selectorELNS0_4arch9wavefront6targetE0EEEvSO_,@function
_ZN7rocprim17ROCPRIM_400000_NS6detail17trampoline_kernelINS0_14default_configENS1_29binary_search_config_selectorIfbEEZNS1_14transform_implILb0ES3_S5_N6thrust23THRUST_200600_302600_NS17counting_iteratorIfNS8_11use_defaultESA_SA_EEPbZNS1_13binary_searchIS3_S5_PfSB_SC_NS1_16binary_search_opENS8_6detail16wrapped_functionINS0_4lessIvEEbEEEE10hipError_tPvRmT1_T2_T3_mmT4_T5_P12ihipStream_tbEUlRKfE_EESL_SP_SQ_mSR_SU_bEUlT_E_NS1_11comp_targetILNS1_3genE2ELNS1_11target_archE906ELNS1_3gpuE6ELNS1_3repE0EEENS1_30default_config_static_selectorELNS0_4arch9wavefront6targetE0EEEvSO_: ; @_ZN7rocprim17ROCPRIM_400000_NS6detail17trampoline_kernelINS0_14default_configENS1_29binary_search_config_selectorIfbEEZNS1_14transform_implILb0ES3_S5_N6thrust23THRUST_200600_302600_NS17counting_iteratorIfNS8_11use_defaultESA_SA_EEPbZNS1_13binary_searchIS3_S5_PfSB_SC_NS1_16binary_search_opENS8_6detail16wrapped_functionINS0_4lessIvEEbEEEE10hipError_tPvRmT1_T2_T3_mmT4_T5_P12ihipStream_tbEUlRKfE_EESL_SP_SQ_mSR_SU_bEUlT_E_NS1_11comp_targetILNS1_3genE2ELNS1_11target_archE906ELNS1_3gpuE6ELNS1_3repE0EEENS1_30default_config_static_selectorELNS0_4arch9wavefront6targetE0EEEvSO_
; %bb.0:
	.section	.rodata,"a",@progbits
	.p2align	6, 0x0
	.amdhsa_kernel _ZN7rocprim17ROCPRIM_400000_NS6detail17trampoline_kernelINS0_14default_configENS1_29binary_search_config_selectorIfbEEZNS1_14transform_implILb0ES3_S5_N6thrust23THRUST_200600_302600_NS17counting_iteratorIfNS8_11use_defaultESA_SA_EEPbZNS1_13binary_searchIS3_S5_PfSB_SC_NS1_16binary_search_opENS8_6detail16wrapped_functionINS0_4lessIvEEbEEEE10hipError_tPvRmT1_T2_T3_mmT4_T5_P12ihipStream_tbEUlRKfE_EESL_SP_SQ_mSR_SU_bEUlT_E_NS1_11comp_targetILNS1_3genE2ELNS1_11target_archE906ELNS1_3gpuE6ELNS1_3repE0EEENS1_30default_config_static_selectorELNS0_4arch9wavefront6targetE0EEEvSO_
		.amdhsa_group_segment_fixed_size 0
		.amdhsa_private_segment_fixed_size 0
		.amdhsa_kernarg_size 56
		.amdhsa_user_sgpr_count 15
		.amdhsa_user_sgpr_dispatch_ptr 0
		.amdhsa_user_sgpr_queue_ptr 0
		.amdhsa_user_sgpr_kernarg_segment_ptr 1
		.amdhsa_user_sgpr_dispatch_id 0
		.amdhsa_user_sgpr_private_segment_size 0
		.amdhsa_wavefront_size32 1
		.amdhsa_uses_dynamic_stack 0
		.amdhsa_enable_private_segment 0
		.amdhsa_system_sgpr_workgroup_id_x 1
		.amdhsa_system_sgpr_workgroup_id_y 0
		.amdhsa_system_sgpr_workgroup_id_z 0
		.amdhsa_system_sgpr_workgroup_info 0
		.amdhsa_system_vgpr_workitem_id 0
		.amdhsa_next_free_vgpr 1
		.amdhsa_next_free_sgpr 1
		.amdhsa_reserve_vcc 0
		.amdhsa_float_round_mode_32 0
		.amdhsa_float_round_mode_16_64 0
		.amdhsa_float_denorm_mode_32 3
		.amdhsa_float_denorm_mode_16_64 3
		.amdhsa_dx10_clamp 1
		.amdhsa_ieee_mode 1
		.amdhsa_fp16_overflow 0
		.amdhsa_workgroup_processor_mode 1
		.amdhsa_memory_ordered 1
		.amdhsa_forward_progress 0
		.amdhsa_shared_vgpr_count 0
		.amdhsa_exception_fp_ieee_invalid_op 0
		.amdhsa_exception_fp_denorm_src 0
		.amdhsa_exception_fp_ieee_div_zero 0
		.amdhsa_exception_fp_ieee_overflow 0
		.amdhsa_exception_fp_ieee_underflow 0
		.amdhsa_exception_fp_ieee_inexact 0
		.amdhsa_exception_int_div_zero 0
	.end_amdhsa_kernel
	.section	.text._ZN7rocprim17ROCPRIM_400000_NS6detail17trampoline_kernelINS0_14default_configENS1_29binary_search_config_selectorIfbEEZNS1_14transform_implILb0ES3_S5_N6thrust23THRUST_200600_302600_NS17counting_iteratorIfNS8_11use_defaultESA_SA_EEPbZNS1_13binary_searchIS3_S5_PfSB_SC_NS1_16binary_search_opENS8_6detail16wrapped_functionINS0_4lessIvEEbEEEE10hipError_tPvRmT1_T2_T3_mmT4_T5_P12ihipStream_tbEUlRKfE_EESL_SP_SQ_mSR_SU_bEUlT_E_NS1_11comp_targetILNS1_3genE2ELNS1_11target_archE906ELNS1_3gpuE6ELNS1_3repE0EEENS1_30default_config_static_selectorELNS0_4arch9wavefront6targetE0EEEvSO_,"axG",@progbits,_ZN7rocprim17ROCPRIM_400000_NS6detail17trampoline_kernelINS0_14default_configENS1_29binary_search_config_selectorIfbEEZNS1_14transform_implILb0ES3_S5_N6thrust23THRUST_200600_302600_NS17counting_iteratorIfNS8_11use_defaultESA_SA_EEPbZNS1_13binary_searchIS3_S5_PfSB_SC_NS1_16binary_search_opENS8_6detail16wrapped_functionINS0_4lessIvEEbEEEE10hipError_tPvRmT1_T2_T3_mmT4_T5_P12ihipStream_tbEUlRKfE_EESL_SP_SQ_mSR_SU_bEUlT_E_NS1_11comp_targetILNS1_3genE2ELNS1_11target_archE906ELNS1_3gpuE6ELNS1_3repE0EEENS1_30default_config_static_selectorELNS0_4arch9wavefront6targetE0EEEvSO_,comdat
.Lfunc_end184:
	.size	_ZN7rocprim17ROCPRIM_400000_NS6detail17trampoline_kernelINS0_14default_configENS1_29binary_search_config_selectorIfbEEZNS1_14transform_implILb0ES3_S5_N6thrust23THRUST_200600_302600_NS17counting_iteratorIfNS8_11use_defaultESA_SA_EEPbZNS1_13binary_searchIS3_S5_PfSB_SC_NS1_16binary_search_opENS8_6detail16wrapped_functionINS0_4lessIvEEbEEEE10hipError_tPvRmT1_T2_T3_mmT4_T5_P12ihipStream_tbEUlRKfE_EESL_SP_SQ_mSR_SU_bEUlT_E_NS1_11comp_targetILNS1_3genE2ELNS1_11target_archE906ELNS1_3gpuE6ELNS1_3repE0EEENS1_30default_config_static_selectorELNS0_4arch9wavefront6targetE0EEEvSO_, .Lfunc_end184-_ZN7rocprim17ROCPRIM_400000_NS6detail17trampoline_kernelINS0_14default_configENS1_29binary_search_config_selectorIfbEEZNS1_14transform_implILb0ES3_S5_N6thrust23THRUST_200600_302600_NS17counting_iteratorIfNS8_11use_defaultESA_SA_EEPbZNS1_13binary_searchIS3_S5_PfSB_SC_NS1_16binary_search_opENS8_6detail16wrapped_functionINS0_4lessIvEEbEEEE10hipError_tPvRmT1_T2_T3_mmT4_T5_P12ihipStream_tbEUlRKfE_EESL_SP_SQ_mSR_SU_bEUlT_E_NS1_11comp_targetILNS1_3genE2ELNS1_11target_archE906ELNS1_3gpuE6ELNS1_3repE0EEENS1_30default_config_static_selectorELNS0_4arch9wavefront6targetE0EEEvSO_
                                        ; -- End function
	.section	.AMDGPU.csdata,"",@progbits
; Kernel info:
; codeLenInByte = 0
; NumSgprs: 0
; NumVgprs: 0
; ScratchSize: 0
; MemoryBound: 0
; FloatMode: 240
; IeeeMode: 1
; LDSByteSize: 0 bytes/workgroup (compile time only)
; SGPRBlocks: 0
; VGPRBlocks: 0
; NumSGPRsForWavesPerEU: 1
; NumVGPRsForWavesPerEU: 1
; Occupancy: 16
; WaveLimiterHint : 0
; COMPUTE_PGM_RSRC2:SCRATCH_EN: 0
; COMPUTE_PGM_RSRC2:USER_SGPR: 15
; COMPUTE_PGM_RSRC2:TRAP_HANDLER: 0
; COMPUTE_PGM_RSRC2:TGID_X_EN: 1
; COMPUTE_PGM_RSRC2:TGID_Y_EN: 0
; COMPUTE_PGM_RSRC2:TGID_Z_EN: 0
; COMPUTE_PGM_RSRC2:TIDIG_COMP_CNT: 0
	.section	.text._ZN7rocprim17ROCPRIM_400000_NS6detail17trampoline_kernelINS0_14default_configENS1_29binary_search_config_selectorIfbEEZNS1_14transform_implILb0ES3_S5_N6thrust23THRUST_200600_302600_NS17counting_iteratorIfNS8_11use_defaultESA_SA_EEPbZNS1_13binary_searchIS3_S5_PfSB_SC_NS1_16binary_search_opENS8_6detail16wrapped_functionINS0_4lessIvEEbEEEE10hipError_tPvRmT1_T2_T3_mmT4_T5_P12ihipStream_tbEUlRKfE_EESL_SP_SQ_mSR_SU_bEUlT_E_NS1_11comp_targetILNS1_3genE10ELNS1_11target_archE1201ELNS1_3gpuE5ELNS1_3repE0EEENS1_30default_config_static_selectorELNS0_4arch9wavefront6targetE0EEEvSO_,"axG",@progbits,_ZN7rocprim17ROCPRIM_400000_NS6detail17trampoline_kernelINS0_14default_configENS1_29binary_search_config_selectorIfbEEZNS1_14transform_implILb0ES3_S5_N6thrust23THRUST_200600_302600_NS17counting_iteratorIfNS8_11use_defaultESA_SA_EEPbZNS1_13binary_searchIS3_S5_PfSB_SC_NS1_16binary_search_opENS8_6detail16wrapped_functionINS0_4lessIvEEbEEEE10hipError_tPvRmT1_T2_T3_mmT4_T5_P12ihipStream_tbEUlRKfE_EESL_SP_SQ_mSR_SU_bEUlT_E_NS1_11comp_targetILNS1_3genE10ELNS1_11target_archE1201ELNS1_3gpuE5ELNS1_3repE0EEENS1_30default_config_static_selectorELNS0_4arch9wavefront6targetE0EEEvSO_,comdat
	.protected	_ZN7rocprim17ROCPRIM_400000_NS6detail17trampoline_kernelINS0_14default_configENS1_29binary_search_config_selectorIfbEEZNS1_14transform_implILb0ES3_S5_N6thrust23THRUST_200600_302600_NS17counting_iteratorIfNS8_11use_defaultESA_SA_EEPbZNS1_13binary_searchIS3_S5_PfSB_SC_NS1_16binary_search_opENS8_6detail16wrapped_functionINS0_4lessIvEEbEEEE10hipError_tPvRmT1_T2_T3_mmT4_T5_P12ihipStream_tbEUlRKfE_EESL_SP_SQ_mSR_SU_bEUlT_E_NS1_11comp_targetILNS1_3genE10ELNS1_11target_archE1201ELNS1_3gpuE5ELNS1_3repE0EEENS1_30default_config_static_selectorELNS0_4arch9wavefront6targetE0EEEvSO_ ; -- Begin function _ZN7rocprim17ROCPRIM_400000_NS6detail17trampoline_kernelINS0_14default_configENS1_29binary_search_config_selectorIfbEEZNS1_14transform_implILb0ES3_S5_N6thrust23THRUST_200600_302600_NS17counting_iteratorIfNS8_11use_defaultESA_SA_EEPbZNS1_13binary_searchIS3_S5_PfSB_SC_NS1_16binary_search_opENS8_6detail16wrapped_functionINS0_4lessIvEEbEEEE10hipError_tPvRmT1_T2_T3_mmT4_T5_P12ihipStream_tbEUlRKfE_EESL_SP_SQ_mSR_SU_bEUlT_E_NS1_11comp_targetILNS1_3genE10ELNS1_11target_archE1201ELNS1_3gpuE5ELNS1_3repE0EEENS1_30default_config_static_selectorELNS0_4arch9wavefront6targetE0EEEvSO_
	.globl	_ZN7rocprim17ROCPRIM_400000_NS6detail17trampoline_kernelINS0_14default_configENS1_29binary_search_config_selectorIfbEEZNS1_14transform_implILb0ES3_S5_N6thrust23THRUST_200600_302600_NS17counting_iteratorIfNS8_11use_defaultESA_SA_EEPbZNS1_13binary_searchIS3_S5_PfSB_SC_NS1_16binary_search_opENS8_6detail16wrapped_functionINS0_4lessIvEEbEEEE10hipError_tPvRmT1_T2_T3_mmT4_T5_P12ihipStream_tbEUlRKfE_EESL_SP_SQ_mSR_SU_bEUlT_E_NS1_11comp_targetILNS1_3genE10ELNS1_11target_archE1201ELNS1_3gpuE5ELNS1_3repE0EEENS1_30default_config_static_selectorELNS0_4arch9wavefront6targetE0EEEvSO_
	.p2align	8
	.type	_ZN7rocprim17ROCPRIM_400000_NS6detail17trampoline_kernelINS0_14default_configENS1_29binary_search_config_selectorIfbEEZNS1_14transform_implILb0ES3_S5_N6thrust23THRUST_200600_302600_NS17counting_iteratorIfNS8_11use_defaultESA_SA_EEPbZNS1_13binary_searchIS3_S5_PfSB_SC_NS1_16binary_search_opENS8_6detail16wrapped_functionINS0_4lessIvEEbEEEE10hipError_tPvRmT1_T2_T3_mmT4_T5_P12ihipStream_tbEUlRKfE_EESL_SP_SQ_mSR_SU_bEUlT_E_NS1_11comp_targetILNS1_3genE10ELNS1_11target_archE1201ELNS1_3gpuE5ELNS1_3repE0EEENS1_30default_config_static_selectorELNS0_4arch9wavefront6targetE0EEEvSO_,@function
_ZN7rocprim17ROCPRIM_400000_NS6detail17trampoline_kernelINS0_14default_configENS1_29binary_search_config_selectorIfbEEZNS1_14transform_implILb0ES3_S5_N6thrust23THRUST_200600_302600_NS17counting_iteratorIfNS8_11use_defaultESA_SA_EEPbZNS1_13binary_searchIS3_S5_PfSB_SC_NS1_16binary_search_opENS8_6detail16wrapped_functionINS0_4lessIvEEbEEEE10hipError_tPvRmT1_T2_T3_mmT4_T5_P12ihipStream_tbEUlRKfE_EESL_SP_SQ_mSR_SU_bEUlT_E_NS1_11comp_targetILNS1_3genE10ELNS1_11target_archE1201ELNS1_3gpuE5ELNS1_3repE0EEENS1_30default_config_static_selectorELNS0_4arch9wavefront6targetE0EEEvSO_: ; @_ZN7rocprim17ROCPRIM_400000_NS6detail17trampoline_kernelINS0_14default_configENS1_29binary_search_config_selectorIfbEEZNS1_14transform_implILb0ES3_S5_N6thrust23THRUST_200600_302600_NS17counting_iteratorIfNS8_11use_defaultESA_SA_EEPbZNS1_13binary_searchIS3_S5_PfSB_SC_NS1_16binary_search_opENS8_6detail16wrapped_functionINS0_4lessIvEEbEEEE10hipError_tPvRmT1_T2_T3_mmT4_T5_P12ihipStream_tbEUlRKfE_EESL_SP_SQ_mSR_SU_bEUlT_E_NS1_11comp_targetILNS1_3genE10ELNS1_11target_archE1201ELNS1_3gpuE5ELNS1_3repE0EEENS1_30default_config_static_selectorELNS0_4arch9wavefront6targetE0EEEvSO_
; %bb.0:
	.section	.rodata,"a",@progbits
	.p2align	6, 0x0
	.amdhsa_kernel _ZN7rocprim17ROCPRIM_400000_NS6detail17trampoline_kernelINS0_14default_configENS1_29binary_search_config_selectorIfbEEZNS1_14transform_implILb0ES3_S5_N6thrust23THRUST_200600_302600_NS17counting_iteratorIfNS8_11use_defaultESA_SA_EEPbZNS1_13binary_searchIS3_S5_PfSB_SC_NS1_16binary_search_opENS8_6detail16wrapped_functionINS0_4lessIvEEbEEEE10hipError_tPvRmT1_T2_T3_mmT4_T5_P12ihipStream_tbEUlRKfE_EESL_SP_SQ_mSR_SU_bEUlT_E_NS1_11comp_targetILNS1_3genE10ELNS1_11target_archE1201ELNS1_3gpuE5ELNS1_3repE0EEENS1_30default_config_static_selectorELNS0_4arch9wavefront6targetE0EEEvSO_
		.amdhsa_group_segment_fixed_size 0
		.amdhsa_private_segment_fixed_size 0
		.amdhsa_kernarg_size 56
		.amdhsa_user_sgpr_count 15
		.amdhsa_user_sgpr_dispatch_ptr 0
		.amdhsa_user_sgpr_queue_ptr 0
		.amdhsa_user_sgpr_kernarg_segment_ptr 1
		.amdhsa_user_sgpr_dispatch_id 0
		.amdhsa_user_sgpr_private_segment_size 0
		.amdhsa_wavefront_size32 1
		.amdhsa_uses_dynamic_stack 0
		.amdhsa_enable_private_segment 0
		.amdhsa_system_sgpr_workgroup_id_x 1
		.amdhsa_system_sgpr_workgroup_id_y 0
		.amdhsa_system_sgpr_workgroup_id_z 0
		.amdhsa_system_sgpr_workgroup_info 0
		.amdhsa_system_vgpr_workitem_id 0
		.amdhsa_next_free_vgpr 1
		.amdhsa_next_free_sgpr 1
		.amdhsa_reserve_vcc 0
		.amdhsa_float_round_mode_32 0
		.amdhsa_float_round_mode_16_64 0
		.amdhsa_float_denorm_mode_32 3
		.amdhsa_float_denorm_mode_16_64 3
		.amdhsa_dx10_clamp 1
		.amdhsa_ieee_mode 1
		.amdhsa_fp16_overflow 0
		.amdhsa_workgroup_processor_mode 1
		.amdhsa_memory_ordered 1
		.amdhsa_forward_progress 0
		.amdhsa_shared_vgpr_count 0
		.amdhsa_exception_fp_ieee_invalid_op 0
		.amdhsa_exception_fp_denorm_src 0
		.amdhsa_exception_fp_ieee_div_zero 0
		.amdhsa_exception_fp_ieee_overflow 0
		.amdhsa_exception_fp_ieee_underflow 0
		.amdhsa_exception_fp_ieee_inexact 0
		.amdhsa_exception_int_div_zero 0
	.end_amdhsa_kernel
	.section	.text._ZN7rocprim17ROCPRIM_400000_NS6detail17trampoline_kernelINS0_14default_configENS1_29binary_search_config_selectorIfbEEZNS1_14transform_implILb0ES3_S5_N6thrust23THRUST_200600_302600_NS17counting_iteratorIfNS8_11use_defaultESA_SA_EEPbZNS1_13binary_searchIS3_S5_PfSB_SC_NS1_16binary_search_opENS8_6detail16wrapped_functionINS0_4lessIvEEbEEEE10hipError_tPvRmT1_T2_T3_mmT4_T5_P12ihipStream_tbEUlRKfE_EESL_SP_SQ_mSR_SU_bEUlT_E_NS1_11comp_targetILNS1_3genE10ELNS1_11target_archE1201ELNS1_3gpuE5ELNS1_3repE0EEENS1_30default_config_static_selectorELNS0_4arch9wavefront6targetE0EEEvSO_,"axG",@progbits,_ZN7rocprim17ROCPRIM_400000_NS6detail17trampoline_kernelINS0_14default_configENS1_29binary_search_config_selectorIfbEEZNS1_14transform_implILb0ES3_S5_N6thrust23THRUST_200600_302600_NS17counting_iteratorIfNS8_11use_defaultESA_SA_EEPbZNS1_13binary_searchIS3_S5_PfSB_SC_NS1_16binary_search_opENS8_6detail16wrapped_functionINS0_4lessIvEEbEEEE10hipError_tPvRmT1_T2_T3_mmT4_T5_P12ihipStream_tbEUlRKfE_EESL_SP_SQ_mSR_SU_bEUlT_E_NS1_11comp_targetILNS1_3genE10ELNS1_11target_archE1201ELNS1_3gpuE5ELNS1_3repE0EEENS1_30default_config_static_selectorELNS0_4arch9wavefront6targetE0EEEvSO_,comdat
.Lfunc_end185:
	.size	_ZN7rocprim17ROCPRIM_400000_NS6detail17trampoline_kernelINS0_14default_configENS1_29binary_search_config_selectorIfbEEZNS1_14transform_implILb0ES3_S5_N6thrust23THRUST_200600_302600_NS17counting_iteratorIfNS8_11use_defaultESA_SA_EEPbZNS1_13binary_searchIS3_S5_PfSB_SC_NS1_16binary_search_opENS8_6detail16wrapped_functionINS0_4lessIvEEbEEEE10hipError_tPvRmT1_T2_T3_mmT4_T5_P12ihipStream_tbEUlRKfE_EESL_SP_SQ_mSR_SU_bEUlT_E_NS1_11comp_targetILNS1_3genE10ELNS1_11target_archE1201ELNS1_3gpuE5ELNS1_3repE0EEENS1_30default_config_static_selectorELNS0_4arch9wavefront6targetE0EEEvSO_, .Lfunc_end185-_ZN7rocprim17ROCPRIM_400000_NS6detail17trampoline_kernelINS0_14default_configENS1_29binary_search_config_selectorIfbEEZNS1_14transform_implILb0ES3_S5_N6thrust23THRUST_200600_302600_NS17counting_iteratorIfNS8_11use_defaultESA_SA_EEPbZNS1_13binary_searchIS3_S5_PfSB_SC_NS1_16binary_search_opENS8_6detail16wrapped_functionINS0_4lessIvEEbEEEE10hipError_tPvRmT1_T2_T3_mmT4_T5_P12ihipStream_tbEUlRKfE_EESL_SP_SQ_mSR_SU_bEUlT_E_NS1_11comp_targetILNS1_3genE10ELNS1_11target_archE1201ELNS1_3gpuE5ELNS1_3repE0EEENS1_30default_config_static_selectorELNS0_4arch9wavefront6targetE0EEEvSO_
                                        ; -- End function
	.section	.AMDGPU.csdata,"",@progbits
; Kernel info:
; codeLenInByte = 0
; NumSgprs: 0
; NumVgprs: 0
; ScratchSize: 0
; MemoryBound: 0
; FloatMode: 240
; IeeeMode: 1
; LDSByteSize: 0 bytes/workgroup (compile time only)
; SGPRBlocks: 0
; VGPRBlocks: 0
; NumSGPRsForWavesPerEU: 1
; NumVGPRsForWavesPerEU: 1
; Occupancy: 16
; WaveLimiterHint : 0
; COMPUTE_PGM_RSRC2:SCRATCH_EN: 0
; COMPUTE_PGM_RSRC2:USER_SGPR: 15
; COMPUTE_PGM_RSRC2:TRAP_HANDLER: 0
; COMPUTE_PGM_RSRC2:TGID_X_EN: 1
; COMPUTE_PGM_RSRC2:TGID_Y_EN: 0
; COMPUTE_PGM_RSRC2:TGID_Z_EN: 0
; COMPUTE_PGM_RSRC2:TIDIG_COMP_CNT: 0
	.section	.text._ZN7rocprim17ROCPRIM_400000_NS6detail17trampoline_kernelINS0_14default_configENS1_29binary_search_config_selectorIfbEEZNS1_14transform_implILb0ES3_S5_N6thrust23THRUST_200600_302600_NS17counting_iteratorIfNS8_11use_defaultESA_SA_EEPbZNS1_13binary_searchIS3_S5_PfSB_SC_NS1_16binary_search_opENS8_6detail16wrapped_functionINS0_4lessIvEEbEEEE10hipError_tPvRmT1_T2_T3_mmT4_T5_P12ihipStream_tbEUlRKfE_EESL_SP_SQ_mSR_SU_bEUlT_E_NS1_11comp_targetILNS1_3genE10ELNS1_11target_archE1200ELNS1_3gpuE4ELNS1_3repE0EEENS1_30default_config_static_selectorELNS0_4arch9wavefront6targetE0EEEvSO_,"axG",@progbits,_ZN7rocprim17ROCPRIM_400000_NS6detail17trampoline_kernelINS0_14default_configENS1_29binary_search_config_selectorIfbEEZNS1_14transform_implILb0ES3_S5_N6thrust23THRUST_200600_302600_NS17counting_iteratorIfNS8_11use_defaultESA_SA_EEPbZNS1_13binary_searchIS3_S5_PfSB_SC_NS1_16binary_search_opENS8_6detail16wrapped_functionINS0_4lessIvEEbEEEE10hipError_tPvRmT1_T2_T3_mmT4_T5_P12ihipStream_tbEUlRKfE_EESL_SP_SQ_mSR_SU_bEUlT_E_NS1_11comp_targetILNS1_3genE10ELNS1_11target_archE1200ELNS1_3gpuE4ELNS1_3repE0EEENS1_30default_config_static_selectorELNS0_4arch9wavefront6targetE0EEEvSO_,comdat
	.protected	_ZN7rocprim17ROCPRIM_400000_NS6detail17trampoline_kernelINS0_14default_configENS1_29binary_search_config_selectorIfbEEZNS1_14transform_implILb0ES3_S5_N6thrust23THRUST_200600_302600_NS17counting_iteratorIfNS8_11use_defaultESA_SA_EEPbZNS1_13binary_searchIS3_S5_PfSB_SC_NS1_16binary_search_opENS8_6detail16wrapped_functionINS0_4lessIvEEbEEEE10hipError_tPvRmT1_T2_T3_mmT4_T5_P12ihipStream_tbEUlRKfE_EESL_SP_SQ_mSR_SU_bEUlT_E_NS1_11comp_targetILNS1_3genE10ELNS1_11target_archE1200ELNS1_3gpuE4ELNS1_3repE0EEENS1_30default_config_static_selectorELNS0_4arch9wavefront6targetE0EEEvSO_ ; -- Begin function _ZN7rocprim17ROCPRIM_400000_NS6detail17trampoline_kernelINS0_14default_configENS1_29binary_search_config_selectorIfbEEZNS1_14transform_implILb0ES3_S5_N6thrust23THRUST_200600_302600_NS17counting_iteratorIfNS8_11use_defaultESA_SA_EEPbZNS1_13binary_searchIS3_S5_PfSB_SC_NS1_16binary_search_opENS8_6detail16wrapped_functionINS0_4lessIvEEbEEEE10hipError_tPvRmT1_T2_T3_mmT4_T5_P12ihipStream_tbEUlRKfE_EESL_SP_SQ_mSR_SU_bEUlT_E_NS1_11comp_targetILNS1_3genE10ELNS1_11target_archE1200ELNS1_3gpuE4ELNS1_3repE0EEENS1_30default_config_static_selectorELNS0_4arch9wavefront6targetE0EEEvSO_
	.globl	_ZN7rocprim17ROCPRIM_400000_NS6detail17trampoline_kernelINS0_14default_configENS1_29binary_search_config_selectorIfbEEZNS1_14transform_implILb0ES3_S5_N6thrust23THRUST_200600_302600_NS17counting_iteratorIfNS8_11use_defaultESA_SA_EEPbZNS1_13binary_searchIS3_S5_PfSB_SC_NS1_16binary_search_opENS8_6detail16wrapped_functionINS0_4lessIvEEbEEEE10hipError_tPvRmT1_T2_T3_mmT4_T5_P12ihipStream_tbEUlRKfE_EESL_SP_SQ_mSR_SU_bEUlT_E_NS1_11comp_targetILNS1_3genE10ELNS1_11target_archE1200ELNS1_3gpuE4ELNS1_3repE0EEENS1_30default_config_static_selectorELNS0_4arch9wavefront6targetE0EEEvSO_
	.p2align	8
	.type	_ZN7rocprim17ROCPRIM_400000_NS6detail17trampoline_kernelINS0_14default_configENS1_29binary_search_config_selectorIfbEEZNS1_14transform_implILb0ES3_S5_N6thrust23THRUST_200600_302600_NS17counting_iteratorIfNS8_11use_defaultESA_SA_EEPbZNS1_13binary_searchIS3_S5_PfSB_SC_NS1_16binary_search_opENS8_6detail16wrapped_functionINS0_4lessIvEEbEEEE10hipError_tPvRmT1_T2_T3_mmT4_T5_P12ihipStream_tbEUlRKfE_EESL_SP_SQ_mSR_SU_bEUlT_E_NS1_11comp_targetILNS1_3genE10ELNS1_11target_archE1200ELNS1_3gpuE4ELNS1_3repE0EEENS1_30default_config_static_selectorELNS0_4arch9wavefront6targetE0EEEvSO_,@function
_ZN7rocprim17ROCPRIM_400000_NS6detail17trampoline_kernelINS0_14default_configENS1_29binary_search_config_selectorIfbEEZNS1_14transform_implILb0ES3_S5_N6thrust23THRUST_200600_302600_NS17counting_iteratorIfNS8_11use_defaultESA_SA_EEPbZNS1_13binary_searchIS3_S5_PfSB_SC_NS1_16binary_search_opENS8_6detail16wrapped_functionINS0_4lessIvEEbEEEE10hipError_tPvRmT1_T2_T3_mmT4_T5_P12ihipStream_tbEUlRKfE_EESL_SP_SQ_mSR_SU_bEUlT_E_NS1_11comp_targetILNS1_3genE10ELNS1_11target_archE1200ELNS1_3gpuE4ELNS1_3repE0EEENS1_30default_config_static_selectorELNS0_4arch9wavefront6targetE0EEEvSO_: ; @_ZN7rocprim17ROCPRIM_400000_NS6detail17trampoline_kernelINS0_14default_configENS1_29binary_search_config_selectorIfbEEZNS1_14transform_implILb0ES3_S5_N6thrust23THRUST_200600_302600_NS17counting_iteratorIfNS8_11use_defaultESA_SA_EEPbZNS1_13binary_searchIS3_S5_PfSB_SC_NS1_16binary_search_opENS8_6detail16wrapped_functionINS0_4lessIvEEbEEEE10hipError_tPvRmT1_T2_T3_mmT4_T5_P12ihipStream_tbEUlRKfE_EESL_SP_SQ_mSR_SU_bEUlT_E_NS1_11comp_targetILNS1_3genE10ELNS1_11target_archE1200ELNS1_3gpuE4ELNS1_3repE0EEENS1_30default_config_static_selectorELNS0_4arch9wavefront6targetE0EEEvSO_
; %bb.0:
	.section	.rodata,"a",@progbits
	.p2align	6, 0x0
	.amdhsa_kernel _ZN7rocprim17ROCPRIM_400000_NS6detail17trampoline_kernelINS0_14default_configENS1_29binary_search_config_selectorIfbEEZNS1_14transform_implILb0ES3_S5_N6thrust23THRUST_200600_302600_NS17counting_iteratorIfNS8_11use_defaultESA_SA_EEPbZNS1_13binary_searchIS3_S5_PfSB_SC_NS1_16binary_search_opENS8_6detail16wrapped_functionINS0_4lessIvEEbEEEE10hipError_tPvRmT1_T2_T3_mmT4_T5_P12ihipStream_tbEUlRKfE_EESL_SP_SQ_mSR_SU_bEUlT_E_NS1_11comp_targetILNS1_3genE10ELNS1_11target_archE1200ELNS1_3gpuE4ELNS1_3repE0EEENS1_30default_config_static_selectorELNS0_4arch9wavefront6targetE0EEEvSO_
		.amdhsa_group_segment_fixed_size 0
		.amdhsa_private_segment_fixed_size 0
		.amdhsa_kernarg_size 56
		.amdhsa_user_sgpr_count 15
		.amdhsa_user_sgpr_dispatch_ptr 0
		.amdhsa_user_sgpr_queue_ptr 0
		.amdhsa_user_sgpr_kernarg_segment_ptr 1
		.amdhsa_user_sgpr_dispatch_id 0
		.amdhsa_user_sgpr_private_segment_size 0
		.amdhsa_wavefront_size32 1
		.amdhsa_uses_dynamic_stack 0
		.amdhsa_enable_private_segment 0
		.amdhsa_system_sgpr_workgroup_id_x 1
		.amdhsa_system_sgpr_workgroup_id_y 0
		.amdhsa_system_sgpr_workgroup_id_z 0
		.amdhsa_system_sgpr_workgroup_info 0
		.amdhsa_system_vgpr_workitem_id 0
		.amdhsa_next_free_vgpr 1
		.amdhsa_next_free_sgpr 1
		.amdhsa_reserve_vcc 0
		.amdhsa_float_round_mode_32 0
		.amdhsa_float_round_mode_16_64 0
		.amdhsa_float_denorm_mode_32 3
		.amdhsa_float_denorm_mode_16_64 3
		.amdhsa_dx10_clamp 1
		.amdhsa_ieee_mode 1
		.amdhsa_fp16_overflow 0
		.amdhsa_workgroup_processor_mode 1
		.amdhsa_memory_ordered 1
		.amdhsa_forward_progress 0
		.amdhsa_shared_vgpr_count 0
		.amdhsa_exception_fp_ieee_invalid_op 0
		.amdhsa_exception_fp_denorm_src 0
		.amdhsa_exception_fp_ieee_div_zero 0
		.amdhsa_exception_fp_ieee_overflow 0
		.amdhsa_exception_fp_ieee_underflow 0
		.amdhsa_exception_fp_ieee_inexact 0
		.amdhsa_exception_int_div_zero 0
	.end_amdhsa_kernel
	.section	.text._ZN7rocprim17ROCPRIM_400000_NS6detail17trampoline_kernelINS0_14default_configENS1_29binary_search_config_selectorIfbEEZNS1_14transform_implILb0ES3_S5_N6thrust23THRUST_200600_302600_NS17counting_iteratorIfNS8_11use_defaultESA_SA_EEPbZNS1_13binary_searchIS3_S5_PfSB_SC_NS1_16binary_search_opENS8_6detail16wrapped_functionINS0_4lessIvEEbEEEE10hipError_tPvRmT1_T2_T3_mmT4_T5_P12ihipStream_tbEUlRKfE_EESL_SP_SQ_mSR_SU_bEUlT_E_NS1_11comp_targetILNS1_3genE10ELNS1_11target_archE1200ELNS1_3gpuE4ELNS1_3repE0EEENS1_30default_config_static_selectorELNS0_4arch9wavefront6targetE0EEEvSO_,"axG",@progbits,_ZN7rocprim17ROCPRIM_400000_NS6detail17trampoline_kernelINS0_14default_configENS1_29binary_search_config_selectorIfbEEZNS1_14transform_implILb0ES3_S5_N6thrust23THRUST_200600_302600_NS17counting_iteratorIfNS8_11use_defaultESA_SA_EEPbZNS1_13binary_searchIS3_S5_PfSB_SC_NS1_16binary_search_opENS8_6detail16wrapped_functionINS0_4lessIvEEbEEEE10hipError_tPvRmT1_T2_T3_mmT4_T5_P12ihipStream_tbEUlRKfE_EESL_SP_SQ_mSR_SU_bEUlT_E_NS1_11comp_targetILNS1_3genE10ELNS1_11target_archE1200ELNS1_3gpuE4ELNS1_3repE0EEENS1_30default_config_static_selectorELNS0_4arch9wavefront6targetE0EEEvSO_,comdat
.Lfunc_end186:
	.size	_ZN7rocprim17ROCPRIM_400000_NS6detail17trampoline_kernelINS0_14default_configENS1_29binary_search_config_selectorIfbEEZNS1_14transform_implILb0ES3_S5_N6thrust23THRUST_200600_302600_NS17counting_iteratorIfNS8_11use_defaultESA_SA_EEPbZNS1_13binary_searchIS3_S5_PfSB_SC_NS1_16binary_search_opENS8_6detail16wrapped_functionINS0_4lessIvEEbEEEE10hipError_tPvRmT1_T2_T3_mmT4_T5_P12ihipStream_tbEUlRKfE_EESL_SP_SQ_mSR_SU_bEUlT_E_NS1_11comp_targetILNS1_3genE10ELNS1_11target_archE1200ELNS1_3gpuE4ELNS1_3repE0EEENS1_30default_config_static_selectorELNS0_4arch9wavefront6targetE0EEEvSO_, .Lfunc_end186-_ZN7rocprim17ROCPRIM_400000_NS6detail17trampoline_kernelINS0_14default_configENS1_29binary_search_config_selectorIfbEEZNS1_14transform_implILb0ES3_S5_N6thrust23THRUST_200600_302600_NS17counting_iteratorIfNS8_11use_defaultESA_SA_EEPbZNS1_13binary_searchIS3_S5_PfSB_SC_NS1_16binary_search_opENS8_6detail16wrapped_functionINS0_4lessIvEEbEEEE10hipError_tPvRmT1_T2_T3_mmT4_T5_P12ihipStream_tbEUlRKfE_EESL_SP_SQ_mSR_SU_bEUlT_E_NS1_11comp_targetILNS1_3genE10ELNS1_11target_archE1200ELNS1_3gpuE4ELNS1_3repE0EEENS1_30default_config_static_selectorELNS0_4arch9wavefront6targetE0EEEvSO_
                                        ; -- End function
	.section	.AMDGPU.csdata,"",@progbits
; Kernel info:
; codeLenInByte = 0
; NumSgprs: 0
; NumVgprs: 0
; ScratchSize: 0
; MemoryBound: 0
; FloatMode: 240
; IeeeMode: 1
; LDSByteSize: 0 bytes/workgroup (compile time only)
; SGPRBlocks: 0
; VGPRBlocks: 0
; NumSGPRsForWavesPerEU: 1
; NumVGPRsForWavesPerEU: 1
; Occupancy: 16
; WaveLimiterHint : 0
; COMPUTE_PGM_RSRC2:SCRATCH_EN: 0
; COMPUTE_PGM_RSRC2:USER_SGPR: 15
; COMPUTE_PGM_RSRC2:TRAP_HANDLER: 0
; COMPUTE_PGM_RSRC2:TGID_X_EN: 1
; COMPUTE_PGM_RSRC2:TGID_Y_EN: 0
; COMPUTE_PGM_RSRC2:TGID_Z_EN: 0
; COMPUTE_PGM_RSRC2:TIDIG_COMP_CNT: 0
	.section	.text._ZN7rocprim17ROCPRIM_400000_NS6detail17trampoline_kernelINS0_14default_configENS1_29binary_search_config_selectorIfbEEZNS1_14transform_implILb0ES3_S5_N6thrust23THRUST_200600_302600_NS17counting_iteratorIfNS8_11use_defaultESA_SA_EEPbZNS1_13binary_searchIS3_S5_PfSB_SC_NS1_16binary_search_opENS8_6detail16wrapped_functionINS0_4lessIvEEbEEEE10hipError_tPvRmT1_T2_T3_mmT4_T5_P12ihipStream_tbEUlRKfE_EESL_SP_SQ_mSR_SU_bEUlT_E_NS1_11comp_targetILNS1_3genE9ELNS1_11target_archE1100ELNS1_3gpuE3ELNS1_3repE0EEENS1_30default_config_static_selectorELNS0_4arch9wavefront6targetE0EEEvSO_,"axG",@progbits,_ZN7rocprim17ROCPRIM_400000_NS6detail17trampoline_kernelINS0_14default_configENS1_29binary_search_config_selectorIfbEEZNS1_14transform_implILb0ES3_S5_N6thrust23THRUST_200600_302600_NS17counting_iteratorIfNS8_11use_defaultESA_SA_EEPbZNS1_13binary_searchIS3_S5_PfSB_SC_NS1_16binary_search_opENS8_6detail16wrapped_functionINS0_4lessIvEEbEEEE10hipError_tPvRmT1_T2_T3_mmT4_T5_P12ihipStream_tbEUlRKfE_EESL_SP_SQ_mSR_SU_bEUlT_E_NS1_11comp_targetILNS1_3genE9ELNS1_11target_archE1100ELNS1_3gpuE3ELNS1_3repE0EEENS1_30default_config_static_selectorELNS0_4arch9wavefront6targetE0EEEvSO_,comdat
	.protected	_ZN7rocprim17ROCPRIM_400000_NS6detail17trampoline_kernelINS0_14default_configENS1_29binary_search_config_selectorIfbEEZNS1_14transform_implILb0ES3_S5_N6thrust23THRUST_200600_302600_NS17counting_iteratorIfNS8_11use_defaultESA_SA_EEPbZNS1_13binary_searchIS3_S5_PfSB_SC_NS1_16binary_search_opENS8_6detail16wrapped_functionINS0_4lessIvEEbEEEE10hipError_tPvRmT1_T2_T3_mmT4_T5_P12ihipStream_tbEUlRKfE_EESL_SP_SQ_mSR_SU_bEUlT_E_NS1_11comp_targetILNS1_3genE9ELNS1_11target_archE1100ELNS1_3gpuE3ELNS1_3repE0EEENS1_30default_config_static_selectorELNS0_4arch9wavefront6targetE0EEEvSO_ ; -- Begin function _ZN7rocprim17ROCPRIM_400000_NS6detail17trampoline_kernelINS0_14default_configENS1_29binary_search_config_selectorIfbEEZNS1_14transform_implILb0ES3_S5_N6thrust23THRUST_200600_302600_NS17counting_iteratorIfNS8_11use_defaultESA_SA_EEPbZNS1_13binary_searchIS3_S5_PfSB_SC_NS1_16binary_search_opENS8_6detail16wrapped_functionINS0_4lessIvEEbEEEE10hipError_tPvRmT1_T2_T3_mmT4_T5_P12ihipStream_tbEUlRKfE_EESL_SP_SQ_mSR_SU_bEUlT_E_NS1_11comp_targetILNS1_3genE9ELNS1_11target_archE1100ELNS1_3gpuE3ELNS1_3repE0EEENS1_30default_config_static_selectorELNS0_4arch9wavefront6targetE0EEEvSO_
	.globl	_ZN7rocprim17ROCPRIM_400000_NS6detail17trampoline_kernelINS0_14default_configENS1_29binary_search_config_selectorIfbEEZNS1_14transform_implILb0ES3_S5_N6thrust23THRUST_200600_302600_NS17counting_iteratorIfNS8_11use_defaultESA_SA_EEPbZNS1_13binary_searchIS3_S5_PfSB_SC_NS1_16binary_search_opENS8_6detail16wrapped_functionINS0_4lessIvEEbEEEE10hipError_tPvRmT1_T2_T3_mmT4_T5_P12ihipStream_tbEUlRKfE_EESL_SP_SQ_mSR_SU_bEUlT_E_NS1_11comp_targetILNS1_3genE9ELNS1_11target_archE1100ELNS1_3gpuE3ELNS1_3repE0EEENS1_30default_config_static_selectorELNS0_4arch9wavefront6targetE0EEEvSO_
	.p2align	8
	.type	_ZN7rocprim17ROCPRIM_400000_NS6detail17trampoline_kernelINS0_14default_configENS1_29binary_search_config_selectorIfbEEZNS1_14transform_implILb0ES3_S5_N6thrust23THRUST_200600_302600_NS17counting_iteratorIfNS8_11use_defaultESA_SA_EEPbZNS1_13binary_searchIS3_S5_PfSB_SC_NS1_16binary_search_opENS8_6detail16wrapped_functionINS0_4lessIvEEbEEEE10hipError_tPvRmT1_T2_T3_mmT4_T5_P12ihipStream_tbEUlRKfE_EESL_SP_SQ_mSR_SU_bEUlT_E_NS1_11comp_targetILNS1_3genE9ELNS1_11target_archE1100ELNS1_3gpuE3ELNS1_3repE0EEENS1_30default_config_static_selectorELNS0_4arch9wavefront6targetE0EEEvSO_,@function
_ZN7rocprim17ROCPRIM_400000_NS6detail17trampoline_kernelINS0_14default_configENS1_29binary_search_config_selectorIfbEEZNS1_14transform_implILb0ES3_S5_N6thrust23THRUST_200600_302600_NS17counting_iteratorIfNS8_11use_defaultESA_SA_EEPbZNS1_13binary_searchIS3_S5_PfSB_SC_NS1_16binary_search_opENS8_6detail16wrapped_functionINS0_4lessIvEEbEEEE10hipError_tPvRmT1_T2_T3_mmT4_T5_P12ihipStream_tbEUlRKfE_EESL_SP_SQ_mSR_SU_bEUlT_E_NS1_11comp_targetILNS1_3genE9ELNS1_11target_archE1100ELNS1_3gpuE3ELNS1_3repE0EEENS1_30default_config_static_selectorELNS0_4arch9wavefront6targetE0EEEvSO_: ; @_ZN7rocprim17ROCPRIM_400000_NS6detail17trampoline_kernelINS0_14default_configENS1_29binary_search_config_selectorIfbEEZNS1_14transform_implILb0ES3_S5_N6thrust23THRUST_200600_302600_NS17counting_iteratorIfNS8_11use_defaultESA_SA_EEPbZNS1_13binary_searchIS3_S5_PfSB_SC_NS1_16binary_search_opENS8_6detail16wrapped_functionINS0_4lessIvEEbEEEE10hipError_tPvRmT1_T2_T3_mmT4_T5_P12ihipStream_tbEUlRKfE_EESL_SP_SQ_mSR_SU_bEUlT_E_NS1_11comp_targetILNS1_3genE9ELNS1_11target_archE1100ELNS1_3gpuE3ELNS1_3repE0EEENS1_30default_config_static_selectorELNS0_4arch9wavefront6targetE0EEEvSO_
; %bb.0:
	s_clause 0x2
	s_load_b64 s[2:3], s[0:1], 0x8
	s_load_b32 s13, s[0:1], 0x0
	s_load_b32 s14, s[0:1], 0x38
	s_waitcnt lgkmcnt(0)
	s_xor_b32 s4, s2, s3
	s_cls_i32 s5, s3
	s_ashr_i32 s4, s4, 31
	s_add_i32 s5, s5, -1
	s_add_i32 s4, s4, 32
	s_add_i32 s14, s14, -1
	s_min_u32 s12, s5, s4
	s_clause 0x1
	s_load_b128 s[4:7], s[0:1], 0x18
	s_load_b64 s[8:9], s[0:1], 0x28
	s_lshl_b64 s[10:11], s[2:3], s12
	s_delay_alu instid0(SALU_CYCLE_1) | instskip(NEXT) | instid1(SALU_CYCLE_1)
	s_min_u32 s10, s10, 1
	s_or_b32 s10, s11, s10
	s_mov_b32 s11, 0
	v_cvt_f32_i32_e32 v1, s10
	s_sub_i32 s10, 32, s12
	s_mov_b32 s12, -1
	s_delay_alu instid0(VALU_DEP_1) | instskip(SKIP_2) | instid1(VALU_DEP_1)
	v_ldexp_f32 v1, v1, s10
	s_lshl_b32 s10, s15, 8
	s_cmp_lg_u32 s15, s14
	v_add_f32_e32 v5, s13, v1
	s_cbranch_scc0 .LBB187_8
; %bb.1:
	v_cvt_f32_u32_e32 v1, s10
	v_cvt_f32_ubyte0_e32 v4, v0
	s_waitcnt lgkmcnt(0)
	s_cmp_eq_u64 s[8:9], 0
	s_delay_alu instid0(VALU_DEP_2) | instskip(SKIP_2) | instid1(VALU_DEP_3)
	v_add_f32_e32 v3, v5, v1
	v_mov_b32_e32 v1, 0
	v_mov_b32_e32 v2, 0
	v_add_f32_e32 v6, v3, v4
	s_cbranch_scc1 .LBB187_5
; %bb.2:
	v_mov_b32_e32 v1, 0
	v_dual_mov_b32 v2, 0 :: v_dual_mov_b32 v3, s8
	v_mov_b32_e32 v4, s9
	.p2align	6
.LBB187_3:                              ; =>This Inner Loop Header: Depth=1
	s_delay_alu instid0(VALU_DEP_2) | instskip(NEXT) | instid1(VALU_DEP_2)
	v_sub_co_u32 v7, vcc_lo, v3, v1
	v_sub_co_ci_u32_e32 v8, vcc_lo, v4, v2, vcc_lo
	s_delay_alu instid0(VALU_DEP_1) | instskip(SKIP_1) | instid1(VALU_DEP_2)
	v_lshrrev_b64 v[9:10], 1, v[7:8]
	v_lshrrev_b64 v[7:8], 6, v[7:8]
	v_add_co_u32 v9, vcc_lo, v9, v1
	s_delay_alu instid0(VALU_DEP_3) | instskip(NEXT) | instid1(VALU_DEP_2)
	v_add_co_ci_u32_e32 v10, vcc_lo, v10, v2, vcc_lo
	v_add_co_u32 v7, vcc_lo, v9, v7
	s_delay_alu instid0(VALU_DEP_2) | instskip(NEXT) | instid1(VALU_DEP_1)
	v_add_co_ci_u32_e32 v8, vcc_lo, v10, v8, vcc_lo
	v_lshlrev_b64 v[9:10], 2, v[7:8]
	s_delay_alu instid0(VALU_DEP_1) | instskip(NEXT) | instid1(VALU_DEP_2)
	v_add_co_u32 v9, vcc_lo, s6, v9
	v_add_co_ci_u32_e32 v10, vcc_lo, s7, v10, vcc_lo
	global_load_b32 v9, v[9:10], off
	v_add_co_u32 v10, vcc_lo, v7, 1
	v_add_co_ci_u32_e32 v11, vcc_lo, 0, v8, vcc_lo
	s_waitcnt vmcnt(0)
	v_cmp_lt_f32_e32 vcc_lo, v9, v6
	v_dual_cndmask_b32 v4, v8, v4 :: v_dual_cndmask_b32 v3, v7, v3
	s_delay_alu instid0(VALU_DEP_3) | instskip(NEXT) | instid1(VALU_DEP_1)
	v_dual_cndmask_b32 v2, v2, v11 :: v_dual_cndmask_b32 v1, v1, v10
	v_cmp_ge_u64_e32 vcc_lo, v[1:2], v[3:4]
	s_or_b32 s11, vcc_lo, s11
	s_delay_alu instid0(SALU_CYCLE_1)
	s_and_not1_b32 exec_lo, exec_lo, s11
	s_cbranch_execnz .LBB187_3
; %bb.4:
	s_or_b32 exec_lo, exec_lo, s11
.LBB187_5:
	s_mov_b32 s12, 0
	s_mov_b32 s13, 0
	s_mov_b32 s11, exec_lo
	v_cmpx_ne_u64_e64 s[8:9], v[1:2]
	s_cbranch_execz .LBB187_7
; %bb.6:
	v_lshlrev_b64 v[1:2], 2, v[1:2]
	s_delay_alu instid0(VALU_DEP_1) | instskip(NEXT) | instid1(VALU_DEP_2)
	v_add_co_u32 v1, vcc_lo, s6, v1
	v_add_co_ci_u32_e32 v2, vcc_lo, s7, v2, vcc_lo
	global_load_b32 v1, v[1:2], off
	s_waitcnt vmcnt(0)
	v_cmp_ngt_f32_e32 vcc_lo, v1, v6
	s_and_b32 s13, vcc_lo, exec_lo
.LBB187_7:
	s_or_b32 exec_lo, exec_lo, s11
	v_cndmask_b32_e64 v1, 0, 1, s13
	s_mov_b32 s11, -1
	s_and_b32 vcc_lo, exec_lo, s12
	s_cbranch_vccnz .LBB187_9
	s_branch .LBB187_18
.LBB187_8:
                                        ; implicit-def: $vgpr1
	s_and_b32 vcc_lo, exec_lo, s12
	s_cbranch_vccz .LBB187_18
.LBB187_9:
	s_load_b32 s0, s[0:1], 0x10
                                        ; implicit-def: $vgpr1
	s_waitcnt lgkmcnt(0)
	s_sub_i32 s0, s0, s10
	s_delay_alu instid0(SALU_CYCLE_1) | instskip(NEXT) | instid1(VALU_DEP_1)
	v_cmp_gt_u32_e64 s11, s0, v0
	s_and_saveexec_b32 s0, s11
	s_cbranch_execz .LBB187_17
; %bb.10:
	v_cvt_f32_u32_e32 v1, s10
	v_cvt_f32_ubyte0_e32 v4, v0
	s_cmp_eq_u64 s[8:9], 0
	s_delay_alu instid0(VALU_DEP_2) | instskip(SKIP_1) | instid1(VALU_DEP_2)
	v_add_f32_e32 v3, v5, v1
	v_mov_b32_e32 v1, 0
	v_dual_mov_b32 v2, 0 :: v_dual_add_f32 v5, v3, v4
	s_cbranch_scc1 .LBB187_14
; %bb.11:
	v_mov_b32_e32 v1, 0
	v_dual_mov_b32 v2, 0 :: v_dual_mov_b32 v3, s8
	v_mov_b32_e32 v4, s9
	s_mov_b32 s1, 0
	.p2align	6
.LBB187_12:                             ; =>This Inner Loop Header: Depth=1
	s_delay_alu instid0(VALU_DEP_2) | instskip(NEXT) | instid1(VALU_DEP_2)
	v_sub_co_u32 v6, vcc_lo, v3, v1
	v_sub_co_ci_u32_e32 v7, vcc_lo, v4, v2, vcc_lo
	s_delay_alu instid0(VALU_DEP_1) | instskip(SKIP_1) | instid1(VALU_DEP_2)
	v_lshrrev_b64 v[8:9], 1, v[6:7]
	v_lshrrev_b64 v[6:7], 6, v[6:7]
	v_add_co_u32 v8, vcc_lo, v8, v1
	s_delay_alu instid0(VALU_DEP_3) | instskip(NEXT) | instid1(VALU_DEP_2)
	v_add_co_ci_u32_e32 v9, vcc_lo, v9, v2, vcc_lo
	v_add_co_u32 v6, vcc_lo, v8, v6
	s_delay_alu instid0(VALU_DEP_2) | instskip(NEXT) | instid1(VALU_DEP_1)
	v_add_co_ci_u32_e32 v7, vcc_lo, v9, v7, vcc_lo
	v_lshlrev_b64 v[8:9], 2, v[6:7]
	s_delay_alu instid0(VALU_DEP_1) | instskip(NEXT) | instid1(VALU_DEP_2)
	v_add_co_u32 v8, vcc_lo, s6, v8
	v_add_co_ci_u32_e32 v9, vcc_lo, s7, v9, vcc_lo
	global_load_b32 v8, v[8:9], off
	v_add_co_u32 v9, vcc_lo, v6, 1
	v_add_co_ci_u32_e32 v10, vcc_lo, 0, v7, vcc_lo
	s_waitcnt vmcnt(0)
	v_cmp_lt_f32_e32 vcc_lo, v8, v5
	v_dual_cndmask_b32 v4, v7, v4 :: v_dual_cndmask_b32 v3, v6, v3
	s_delay_alu instid0(VALU_DEP_3) | instskip(NEXT) | instid1(VALU_DEP_1)
	v_dual_cndmask_b32 v2, v2, v10 :: v_dual_cndmask_b32 v1, v1, v9
	v_cmp_ge_u64_e32 vcc_lo, v[1:2], v[3:4]
	s_or_b32 s1, vcc_lo, s1
	s_delay_alu instid0(SALU_CYCLE_1)
	s_and_not1_b32 exec_lo, exec_lo, s1
	s_cbranch_execnz .LBB187_12
; %bb.13:
	s_or_b32 exec_lo, exec_lo, s1
.LBB187_14:
	s_delay_alu instid0(VALU_DEP_1)
	v_cmp_ne_u64_e32 vcc_lo, s[8:9], v[1:2]
	s_mov_b32 s8, 0
	s_and_saveexec_b32 s1, vcc_lo
	s_cbranch_execz .LBB187_16
; %bb.15:
	v_lshlrev_b64 v[1:2], 2, v[1:2]
	s_delay_alu instid0(VALU_DEP_1) | instskip(NEXT) | instid1(VALU_DEP_2)
	v_add_co_u32 v1, vcc_lo, s6, v1
	v_add_co_ci_u32_e32 v2, vcc_lo, s7, v2, vcc_lo
	global_load_b32 v1, v[1:2], off
	s_waitcnt vmcnt(0)
	v_cmp_ngt_f32_e32 vcc_lo, v1, v5
	s_and_b32 s8, vcc_lo, exec_lo
.LBB187_16:
	s_or_b32 exec_lo, exec_lo, s1
	v_cndmask_b32_e64 v1, 0, 1, s8
.LBB187_17:
	s_or_b32 exec_lo, exec_lo, s0
.LBB187_18:
	s_and_saveexec_b32 s0, s11
	s_cbranch_execz .LBB187_20
; %bb.19:
	s_waitcnt lgkmcnt(0)
	s_add_u32 s0, s4, s2
	s_addc_u32 s1, s5, s3
	s_add_u32 s0, s0, s10
	s_addc_u32 s1, s1, 0
	global_store_b8 v0, v1, s[0:1]
.LBB187_20:
	s_nop 0
	s_sendmsg sendmsg(MSG_DEALLOC_VGPRS)
	s_endpgm
	.section	.rodata,"a",@progbits
	.p2align	6, 0x0
	.amdhsa_kernel _ZN7rocprim17ROCPRIM_400000_NS6detail17trampoline_kernelINS0_14default_configENS1_29binary_search_config_selectorIfbEEZNS1_14transform_implILb0ES3_S5_N6thrust23THRUST_200600_302600_NS17counting_iteratorIfNS8_11use_defaultESA_SA_EEPbZNS1_13binary_searchIS3_S5_PfSB_SC_NS1_16binary_search_opENS8_6detail16wrapped_functionINS0_4lessIvEEbEEEE10hipError_tPvRmT1_T2_T3_mmT4_T5_P12ihipStream_tbEUlRKfE_EESL_SP_SQ_mSR_SU_bEUlT_E_NS1_11comp_targetILNS1_3genE9ELNS1_11target_archE1100ELNS1_3gpuE3ELNS1_3repE0EEENS1_30default_config_static_selectorELNS0_4arch9wavefront6targetE0EEEvSO_
		.amdhsa_group_segment_fixed_size 0
		.amdhsa_private_segment_fixed_size 0
		.amdhsa_kernarg_size 312
		.amdhsa_user_sgpr_count 15
		.amdhsa_user_sgpr_dispatch_ptr 0
		.amdhsa_user_sgpr_queue_ptr 0
		.amdhsa_user_sgpr_kernarg_segment_ptr 1
		.amdhsa_user_sgpr_dispatch_id 0
		.amdhsa_user_sgpr_private_segment_size 0
		.amdhsa_wavefront_size32 1
		.amdhsa_uses_dynamic_stack 0
		.amdhsa_enable_private_segment 0
		.amdhsa_system_sgpr_workgroup_id_x 1
		.amdhsa_system_sgpr_workgroup_id_y 0
		.amdhsa_system_sgpr_workgroup_id_z 0
		.amdhsa_system_sgpr_workgroup_info 0
		.amdhsa_system_vgpr_workitem_id 0
		.amdhsa_next_free_vgpr 12
		.amdhsa_next_free_sgpr 16
		.amdhsa_reserve_vcc 1
		.amdhsa_float_round_mode_32 0
		.amdhsa_float_round_mode_16_64 0
		.amdhsa_float_denorm_mode_32 3
		.amdhsa_float_denorm_mode_16_64 3
		.amdhsa_dx10_clamp 1
		.amdhsa_ieee_mode 1
		.amdhsa_fp16_overflow 0
		.amdhsa_workgroup_processor_mode 1
		.amdhsa_memory_ordered 1
		.amdhsa_forward_progress 0
		.amdhsa_shared_vgpr_count 0
		.amdhsa_exception_fp_ieee_invalid_op 0
		.amdhsa_exception_fp_denorm_src 0
		.amdhsa_exception_fp_ieee_div_zero 0
		.amdhsa_exception_fp_ieee_overflow 0
		.amdhsa_exception_fp_ieee_underflow 0
		.amdhsa_exception_fp_ieee_inexact 0
		.amdhsa_exception_int_div_zero 0
	.end_amdhsa_kernel
	.section	.text._ZN7rocprim17ROCPRIM_400000_NS6detail17trampoline_kernelINS0_14default_configENS1_29binary_search_config_selectorIfbEEZNS1_14transform_implILb0ES3_S5_N6thrust23THRUST_200600_302600_NS17counting_iteratorIfNS8_11use_defaultESA_SA_EEPbZNS1_13binary_searchIS3_S5_PfSB_SC_NS1_16binary_search_opENS8_6detail16wrapped_functionINS0_4lessIvEEbEEEE10hipError_tPvRmT1_T2_T3_mmT4_T5_P12ihipStream_tbEUlRKfE_EESL_SP_SQ_mSR_SU_bEUlT_E_NS1_11comp_targetILNS1_3genE9ELNS1_11target_archE1100ELNS1_3gpuE3ELNS1_3repE0EEENS1_30default_config_static_selectorELNS0_4arch9wavefront6targetE0EEEvSO_,"axG",@progbits,_ZN7rocprim17ROCPRIM_400000_NS6detail17trampoline_kernelINS0_14default_configENS1_29binary_search_config_selectorIfbEEZNS1_14transform_implILb0ES3_S5_N6thrust23THRUST_200600_302600_NS17counting_iteratorIfNS8_11use_defaultESA_SA_EEPbZNS1_13binary_searchIS3_S5_PfSB_SC_NS1_16binary_search_opENS8_6detail16wrapped_functionINS0_4lessIvEEbEEEE10hipError_tPvRmT1_T2_T3_mmT4_T5_P12ihipStream_tbEUlRKfE_EESL_SP_SQ_mSR_SU_bEUlT_E_NS1_11comp_targetILNS1_3genE9ELNS1_11target_archE1100ELNS1_3gpuE3ELNS1_3repE0EEENS1_30default_config_static_selectorELNS0_4arch9wavefront6targetE0EEEvSO_,comdat
.Lfunc_end187:
	.size	_ZN7rocprim17ROCPRIM_400000_NS6detail17trampoline_kernelINS0_14default_configENS1_29binary_search_config_selectorIfbEEZNS1_14transform_implILb0ES3_S5_N6thrust23THRUST_200600_302600_NS17counting_iteratorIfNS8_11use_defaultESA_SA_EEPbZNS1_13binary_searchIS3_S5_PfSB_SC_NS1_16binary_search_opENS8_6detail16wrapped_functionINS0_4lessIvEEbEEEE10hipError_tPvRmT1_T2_T3_mmT4_T5_P12ihipStream_tbEUlRKfE_EESL_SP_SQ_mSR_SU_bEUlT_E_NS1_11comp_targetILNS1_3genE9ELNS1_11target_archE1100ELNS1_3gpuE3ELNS1_3repE0EEENS1_30default_config_static_selectorELNS0_4arch9wavefront6targetE0EEEvSO_, .Lfunc_end187-_ZN7rocprim17ROCPRIM_400000_NS6detail17trampoline_kernelINS0_14default_configENS1_29binary_search_config_selectorIfbEEZNS1_14transform_implILb0ES3_S5_N6thrust23THRUST_200600_302600_NS17counting_iteratorIfNS8_11use_defaultESA_SA_EEPbZNS1_13binary_searchIS3_S5_PfSB_SC_NS1_16binary_search_opENS8_6detail16wrapped_functionINS0_4lessIvEEbEEEE10hipError_tPvRmT1_T2_T3_mmT4_T5_P12ihipStream_tbEUlRKfE_EESL_SP_SQ_mSR_SU_bEUlT_E_NS1_11comp_targetILNS1_3genE9ELNS1_11target_archE1100ELNS1_3gpuE3ELNS1_3repE0EEENS1_30default_config_static_selectorELNS0_4arch9wavefront6targetE0EEEvSO_
                                        ; -- End function
	.section	.AMDGPU.csdata,"",@progbits
; Kernel info:
; codeLenInByte = 848
; NumSgprs: 18
; NumVgprs: 12
; ScratchSize: 0
; MemoryBound: 0
; FloatMode: 240
; IeeeMode: 1
; LDSByteSize: 0 bytes/workgroup (compile time only)
; SGPRBlocks: 2
; VGPRBlocks: 1
; NumSGPRsForWavesPerEU: 18
; NumVGPRsForWavesPerEU: 12
; Occupancy: 16
; WaveLimiterHint : 0
; COMPUTE_PGM_RSRC2:SCRATCH_EN: 0
; COMPUTE_PGM_RSRC2:USER_SGPR: 15
; COMPUTE_PGM_RSRC2:TRAP_HANDLER: 0
; COMPUTE_PGM_RSRC2:TGID_X_EN: 1
; COMPUTE_PGM_RSRC2:TGID_Y_EN: 0
; COMPUTE_PGM_RSRC2:TGID_Z_EN: 0
; COMPUTE_PGM_RSRC2:TIDIG_COMP_CNT: 0
	.section	.text._ZN7rocprim17ROCPRIM_400000_NS6detail17trampoline_kernelINS0_14default_configENS1_29binary_search_config_selectorIfbEEZNS1_14transform_implILb0ES3_S5_N6thrust23THRUST_200600_302600_NS17counting_iteratorIfNS8_11use_defaultESA_SA_EEPbZNS1_13binary_searchIS3_S5_PfSB_SC_NS1_16binary_search_opENS8_6detail16wrapped_functionINS0_4lessIvEEbEEEE10hipError_tPvRmT1_T2_T3_mmT4_T5_P12ihipStream_tbEUlRKfE_EESL_SP_SQ_mSR_SU_bEUlT_E_NS1_11comp_targetILNS1_3genE8ELNS1_11target_archE1030ELNS1_3gpuE2ELNS1_3repE0EEENS1_30default_config_static_selectorELNS0_4arch9wavefront6targetE0EEEvSO_,"axG",@progbits,_ZN7rocprim17ROCPRIM_400000_NS6detail17trampoline_kernelINS0_14default_configENS1_29binary_search_config_selectorIfbEEZNS1_14transform_implILb0ES3_S5_N6thrust23THRUST_200600_302600_NS17counting_iteratorIfNS8_11use_defaultESA_SA_EEPbZNS1_13binary_searchIS3_S5_PfSB_SC_NS1_16binary_search_opENS8_6detail16wrapped_functionINS0_4lessIvEEbEEEE10hipError_tPvRmT1_T2_T3_mmT4_T5_P12ihipStream_tbEUlRKfE_EESL_SP_SQ_mSR_SU_bEUlT_E_NS1_11comp_targetILNS1_3genE8ELNS1_11target_archE1030ELNS1_3gpuE2ELNS1_3repE0EEENS1_30default_config_static_selectorELNS0_4arch9wavefront6targetE0EEEvSO_,comdat
	.protected	_ZN7rocprim17ROCPRIM_400000_NS6detail17trampoline_kernelINS0_14default_configENS1_29binary_search_config_selectorIfbEEZNS1_14transform_implILb0ES3_S5_N6thrust23THRUST_200600_302600_NS17counting_iteratorIfNS8_11use_defaultESA_SA_EEPbZNS1_13binary_searchIS3_S5_PfSB_SC_NS1_16binary_search_opENS8_6detail16wrapped_functionINS0_4lessIvEEbEEEE10hipError_tPvRmT1_T2_T3_mmT4_T5_P12ihipStream_tbEUlRKfE_EESL_SP_SQ_mSR_SU_bEUlT_E_NS1_11comp_targetILNS1_3genE8ELNS1_11target_archE1030ELNS1_3gpuE2ELNS1_3repE0EEENS1_30default_config_static_selectorELNS0_4arch9wavefront6targetE0EEEvSO_ ; -- Begin function _ZN7rocprim17ROCPRIM_400000_NS6detail17trampoline_kernelINS0_14default_configENS1_29binary_search_config_selectorIfbEEZNS1_14transform_implILb0ES3_S5_N6thrust23THRUST_200600_302600_NS17counting_iteratorIfNS8_11use_defaultESA_SA_EEPbZNS1_13binary_searchIS3_S5_PfSB_SC_NS1_16binary_search_opENS8_6detail16wrapped_functionINS0_4lessIvEEbEEEE10hipError_tPvRmT1_T2_T3_mmT4_T5_P12ihipStream_tbEUlRKfE_EESL_SP_SQ_mSR_SU_bEUlT_E_NS1_11comp_targetILNS1_3genE8ELNS1_11target_archE1030ELNS1_3gpuE2ELNS1_3repE0EEENS1_30default_config_static_selectorELNS0_4arch9wavefront6targetE0EEEvSO_
	.globl	_ZN7rocprim17ROCPRIM_400000_NS6detail17trampoline_kernelINS0_14default_configENS1_29binary_search_config_selectorIfbEEZNS1_14transform_implILb0ES3_S5_N6thrust23THRUST_200600_302600_NS17counting_iteratorIfNS8_11use_defaultESA_SA_EEPbZNS1_13binary_searchIS3_S5_PfSB_SC_NS1_16binary_search_opENS8_6detail16wrapped_functionINS0_4lessIvEEbEEEE10hipError_tPvRmT1_T2_T3_mmT4_T5_P12ihipStream_tbEUlRKfE_EESL_SP_SQ_mSR_SU_bEUlT_E_NS1_11comp_targetILNS1_3genE8ELNS1_11target_archE1030ELNS1_3gpuE2ELNS1_3repE0EEENS1_30default_config_static_selectorELNS0_4arch9wavefront6targetE0EEEvSO_
	.p2align	8
	.type	_ZN7rocprim17ROCPRIM_400000_NS6detail17trampoline_kernelINS0_14default_configENS1_29binary_search_config_selectorIfbEEZNS1_14transform_implILb0ES3_S5_N6thrust23THRUST_200600_302600_NS17counting_iteratorIfNS8_11use_defaultESA_SA_EEPbZNS1_13binary_searchIS3_S5_PfSB_SC_NS1_16binary_search_opENS8_6detail16wrapped_functionINS0_4lessIvEEbEEEE10hipError_tPvRmT1_T2_T3_mmT4_T5_P12ihipStream_tbEUlRKfE_EESL_SP_SQ_mSR_SU_bEUlT_E_NS1_11comp_targetILNS1_3genE8ELNS1_11target_archE1030ELNS1_3gpuE2ELNS1_3repE0EEENS1_30default_config_static_selectorELNS0_4arch9wavefront6targetE0EEEvSO_,@function
_ZN7rocprim17ROCPRIM_400000_NS6detail17trampoline_kernelINS0_14default_configENS1_29binary_search_config_selectorIfbEEZNS1_14transform_implILb0ES3_S5_N6thrust23THRUST_200600_302600_NS17counting_iteratorIfNS8_11use_defaultESA_SA_EEPbZNS1_13binary_searchIS3_S5_PfSB_SC_NS1_16binary_search_opENS8_6detail16wrapped_functionINS0_4lessIvEEbEEEE10hipError_tPvRmT1_T2_T3_mmT4_T5_P12ihipStream_tbEUlRKfE_EESL_SP_SQ_mSR_SU_bEUlT_E_NS1_11comp_targetILNS1_3genE8ELNS1_11target_archE1030ELNS1_3gpuE2ELNS1_3repE0EEENS1_30default_config_static_selectorELNS0_4arch9wavefront6targetE0EEEvSO_: ; @_ZN7rocprim17ROCPRIM_400000_NS6detail17trampoline_kernelINS0_14default_configENS1_29binary_search_config_selectorIfbEEZNS1_14transform_implILb0ES3_S5_N6thrust23THRUST_200600_302600_NS17counting_iteratorIfNS8_11use_defaultESA_SA_EEPbZNS1_13binary_searchIS3_S5_PfSB_SC_NS1_16binary_search_opENS8_6detail16wrapped_functionINS0_4lessIvEEbEEEE10hipError_tPvRmT1_T2_T3_mmT4_T5_P12ihipStream_tbEUlRKfE_EESL_SP_SQ_mSR_SU_bEUlT_E_NS1_11comp_targetILNS1_3genE8ELNS1_11target_archE1030ELNS1_3gpuE2ELNS1_3repE0EEENS1_30default_config_static_selectorELNS0_4arch9wavefront6targetE0EEEvSO_
; %bb.0:
	.section	.rodata,"a",@progbits
	.p2align	6, 0x0
	.amdhsa_kernel _ZN7rocprim17ROCPRIM_400000_NS6detail17trampoline_kernelINS0_14default_configENS1_29binary_search_config_selectorIfbEEZNS1_14transform_implILb0ES3_S5_N6thrust23THRUST_200600_302600_NS17counting_iteratorIfNS8_11use_defaultESA_SA_EEPbZNS1_13binary_searchIS3_S5_PfSB_SC_NS1_16binary_search_opENS8_6detail16wrapped_functionINS0_4lessIvEEbEEEE10hipError_tPvRmT1_T2_T3_mmT4_T5_P12ihipStream_tbEUlRKfE_EESL_SP_SQ_mSR_SU_bEUlT_E_NS1_11comp_targetILNS1_3genE8ELNS1_11target_archE1030ELNS1_3gpuE2ELNS1_3repE0EEENS1_30default_config_static_selectorELNS0_4arch9wavefront6targetE0EEEvSO_
		.amdhsa_group_segment_fixed_size 0
		.amdhsa_private_segment_fixed_size 0
		.amdhsa_kernarg_size 56
		.amdhsa_user_sgpr_count 15
		.amdhsa_user_sgpr_dispatch_ptr 0
		.amdhsa_user_sgpr_queue_ptr 0
		.amdhsa_user_sgpr_kernarg_segment_ptr 1
		.amdhsa_user_sgpr_dispatch_id 0
		.amdhsa_user_sgpr_private_segment_size 0
		.amdhsa_wavefront_size32 1
		.amdhsa_uses_dynamic_stack 0
		.amdhsa_enable_private_segment 0
		.amdhsa_system_sgpr_workgroup_id_x 1
		.amdhsa_system_sgpr_workgroup_id_y 0
		.amdhsa_system_sgpr_workgroup_id_z 0
		.amdhsa_system_sgpr_workgroup_info 0
		.amdhsa_system_vgpr_workitem_id 0
		.amdhsa_next_free_vgpr 1
		.amdhsa_next_free_sgpr 1
		.amdhsa_reserve_vcc 0
		.amdhsa_float_round_mode_32 0
		.amdhsa_float_round_mode_16_64 0
		.amdhsa_float_denorm_mode_32 3
		.amdhsa_float_denorm_mode_16_64 3
		.amdhsa_dx10_clamp 1
		.amdhsa_ieee_mode 1
		.amdhsa_fp16_overflow 0
		.amdhsa_workgroup_processor_mode 1
		.amdhsa_memory_ordered 1
		.amdhsa_forward_progress 0
		.amdhsa_shared_vgpr_count 0
		.amdhsa_exception_fp_ieee_invalid_op 0
		.amdhsa_exception_fp_denorm_src 0
		.amdhsa_exception_fp_ieee_div_zero 0
		.amdhsa_exception_fp_ieee_overflow 0
		.amdhsa_exception_fp_ieee_underflow 0
		.amdhsa_exception_fp_ieee_inexact 0
		.amdhsa_exception_int_div_zero 0
	.end_amdhsa_kernel
	.section	.text._ZN7rocprim17ROCPRIM_400000_NS6detail17trampoline_kernelINS0_14default_configENS1_29binary_search_config_selectorIfbEEZNS1_14transform_implILb0ES3_S5_N6thrust23THRUST_200600_302600_NS17counting_iteratorIfNS8_11use_defaultESA_SA_EEPbZNS1_13binary_searchIS3_S5_PfSB_SC_NS1_16binary_search_opENS8_6detail16wrapped_functionINS0_4lessIvEEbEEEE10hipError_tPvRmT1_T2_T3_mmT4_T5_P12ihipStream_tbEUlRKfE_EESL_SP_SQ_mSR_SU_bEUlT_E_NS1_11comp_targetILNS1_3genE8ELNS1_11target_archE1030ELNS1_3gpuE2ELNS1_3repE0EEENS1_30default_config_static_selectorELNS0_4arch9wavefront6targetE0EEEvSO_,"axG",@progbits,_ZN7rocprim17ROCPRIM_400000_NS6detail17trampoline_kernelINS0_14default_configENS1_29binary_search_config_selectorIfbEEZNS1_14transform_implILb0ES3_S5_N6thrust23THRUST_200600_302600_NS17counting_iteratorIfNS8_11use_defaultESA_SA_EEPbZNS1_13binary_searchIS3_S5_PfSB_SC_NS1_16binary_search_opENS8_6detail16wrapped_functionINS0_4lessIvEEbEEEE10hipError_tPvRmT1_T2_T3_mmT4_T5_P12ihipStream_tbEUlRKfE_EESL_SP_SQ_mSR_SU_bEUlT_E_NS1_11comp_targetILNS1_3genE8ELNS1_11target_archE1030ELNS1_3gpuE2ELNS1_3repE0EEENS1_30default_config_static_selectorELNS0_4arch9wavefront6targetE0EEEvSO_,comdat
.Lfunc_end188:
	.size	_ZN7rocprim17ROCPRIM_400000_NS6detail17trampoline_kernelINS0_14default_configENS1_29binary_search_config_selectorIfbEEZNS1_14transform_implILb0ES3_S5_N6thrust23THRUST_200600_302600_NS17counting_iteratorIfNS8_11use_defaultESA_SA_EEPbZNS1_13binary_searchIS3_S5_PfSB_SC_NS1_16binary_search_opENS8_6detail16wrapped_functionINS0_4lessIvEEbEEEE10hipError_tPvRmT1_T2_T3_mmT4_T5_P12ihipStream_tbEUlRKfE_EESL_SP_SQ_mSR_SU_bEUlT_E_NS1_11comp_targetILNS1_3genE8ELNS1_11target_archE1030ELNS1_3gpuE2ELNS1_3repE0EEENS1_30default_config_static_selectorELNS0_4arch9wavefront6targetE0EEEvSO_, .Lfunc_end188-_ZN7rocprim17ROCPRIM_400000_NS6detail17trampoline_kernelINS0_14default_configENS1_29binary_search_config_selectorIfbEEZNS1_14transform_implILb0ES3_S5_N6thrust23THRUST_200600_302600_NS17counting_iteratorIfNS8_11use_defaultESA_SA_EEPbZNS1_13binary_searchIS3_S5_PfSB_SC_NS1_16binary_search_opENS8_6detail16wrapped_functionINS0_4lessIvEEbEEEE10hipError_tPvRmT1_T2_T3_mmT4_T5_P12ihipStream_tbEUlRKfE_EESL_SP_SQ_mSR_SU_bEUlT_E_NS1_11comp_targetILNS1_3genE8ELNS1_11target_archE1030ELNS1_3gpuE2ELNS1_3repE0EEENS1_30default_config_static_selectorELNS0_4arch9wavefront6targetE0EEEvSO_
                                        ; -- End function
	.section	.AMDGPU.csdata,"",@progbits
; Kernel info:
; codeLenInByte = 0
; NumSgprs: 0
; NumVgprs: 0
; ScratchSize: 0
; MemoryBound: 0
; FloatMode: 240
; IeeeMode: 1
; LDSByteSize: 0 bytes/workgroup (compile time only)
; SGPRBlocks: 0
; VGPRBlocks: 0
; NumSGPRsForWavesPerEU: 1
; NumVGPRsForWavesPerEU: 1
; Occupancy: 16
; WaveLimiterHint : 0
; COMPUTE_PGM_RSRC2:SCRATCH_EN: 0
; COMPUTE_PGM_RSRC2:USER_SGPR: 15
; COMPUTE_PGM_RSRC2:TRAP_HANDLER: 0
; COMPUTE_PGM_RSRC2:TGID_X_EN: 1
; COMPUTE_PGM_RSRC2:TGID_Y_EN: 0
; COMPUTE_PGM_RSRC2:TGID_Z_EN: 0
; COMPUTE_PGM_RSRC2:TIDIG_COMP_CNT: 0
	.section	.text._Z20binary_search_kernelIyEvmPT_Pb,"axG",@progbits,_Z20binary_search_kernelIyEvmPT_Pb,comdat
	.protected	_Z20binary_search_kernelIyEvmPT_Pb ; -- Begin function _Z20binary_search_kernelIyEvmPT_Pb
	.globl	_Z20binary_search_kernelIyEvmPT_Pb
	.p2align	8
	.type	_Z20binary_search_kernelIyEvmPT_Pb,@function
_Z20binary_search_kernelIyEvmPT_Pb:     ; @_Z20binary_search_kernelIyEvmPT_Pb
; %bb.0:
	s_clause 0x1
	s_load_b128 s[4:7], s[0:1], 0x0
	s_load_b64 s[2:3], s[0:1], 0x10
	s_mov_b64 s[0:1], 0
	s_waitcnt lgkmcnt(0)
	s_cmp_eq_u64 s[4:5], 0
	s_cbranch_scc1 .LBB189_2
; %bb.1:
	s_load_b64 s[8:9], s[6:7], 0x0
	s_waitcnt lgkmcnt(0)
	s_cmp_eq_u64 s[8:9], 0
	s_cselect_b32 s10, -1, 0
	s_branch .LBB189_3
.LBB189_2:
	s_mov_b32 s10, 0
.LBB189_3:
	s_lshl_b64 s[8:9], s[4:5], 3
	v_mov_b32_e32 v0, 0
	s_ashr_i64 s[8:9], s[8:9], 3
	v_cndmask_b32_e64 v1, 0, 1, s10
	v_cmp_lt_i64_e64 s11, s[8:9], 1
	global_store_b8 v0, v1, s[2:3]
	s_and_b32 vcc_lo, exec_lo, s11
	s_cbranch_vccnz .LBB189_6
; %bb.4:
	s_mov_b64 s[10:11], s[8:9]
	.p2align	6
.LBB189_5:                              ; =>This Inner Loop Header: Depth=1
	s_delay_alu instid0(SALU_CYCLE_1) | instskip(SKIP_1) | instid1(SALU_CYCLE_1)
	s_sub_u32 s12, s10, s0
	s_subb_u32 s13, s11, s1
	s_lshr_b32 s14, s13, 31
	s_delay_alu instid0(SALU_CYCLE_1) | instskip(SKIP_1) | instid1(SALU_CYCLE_1)
	s_add_u32 s12, s12, s14
	s_addc_u32 s13, s13, 0
	s_ashr_i64 s[12:13], s[12:13], 1
	s_delay_alu instid0(SALU_CYCLE_1) | instskip(SKIP_1) | instid1(SALU_CYCLE_1)
	s_add_u32 s12, s12, s0
	s_addc_u32 s13, s13, s1
	s_lshl_b64 s[14:15], s[12:13], 3
	s_delay_alu instid0(SALU_CYCLE_1)
	s_add_u32 s14, s6, s14
	s_addc_u32 s15, s7, s15
	s_add_u32 s16, s12, 1
	s_load_b64 s[14:15], s[14:15], 0x0
	s_addc_u32 s17, s13, 0
	s_waitcnt lgkmcnt(0)
	s_cmp_eq_u64 s[14:15], 0
	s_cselect_b32 s1, s17, s1
	s_cselect_b32 s0, s16, s0
	;; [unrolled: 1-line block ×4, first 2 shown]
	s_delay_alu instid0(SALU_CYCLE_1) | instskip(NEXT) | instid1(VALU_DEP_1)
	v_cmp_lt_i64_e64 s12, s[0:1], s[10:11]
	s_and_b32 vcc_lo, exec_lo, s12
	s_cbranch_vccnz .LBB189_5
.LBB189_6:
	v_cmp_gt_i64_e64 s10, s[8:9], 0
	s_cmp_eq_u64 s[0:1], s[4:5]
	s_mov_b32 s11, 0
	s_cbranch_scc1 .LBB189_8
; %bb.7:
	s_lshl_b64 s[0:1], s[0:1], 3
	s_delay_alu instid0(SALU_CYCLE_1)
	s_add_u32 s0, s6, s0
	s_addc_u32 s1, s7, s1
	s_load_b64 s[0:1], s[0:1], 0x0
	s_waitcnt lgkmcnt(0)
	v_cmp_lt_u64_e64 s11, s[0:1], 2
.LBB189_8:
	s_delay_alu instid0(VALU_DEP_1) | instskip(SKIP_2) | instid1(VALU_DEP_2)
	v_cndmask_b32_e64 v0, 0, 1, s10
	v_mov_b32_e32 v1, 0
	s_and_not1_b32 vcc_lo, exec_lo, s10
	v_cmp_ne_u32_e64 s0, 1, v0
	s_delay_alu instid0(VALU_DEP_4)
	v_cndmask_b32_e64 v0, 0, 1, s11
	s_mov_b64 s[10:11], 0
	global_store_b8 v1, v0, s[2:3] offset:1
	s_cbranch_vccnz .LBB189_11
; %bb.9:
	s_mov_b64 s[12:13], s[8:9]
	.p2align	6
.LBB189_10:                             ; =>This Inner Loop Header: Depth=1
	s_delay_alu instid0(SALU_CYCLE_1) | instskip(SKIP_1) | instid1(SALU_CYCLE_1)
	s_sub_u32 s1, s12, s10
	s_subb_u32 s15, s13, s11
	s_lshr_b32 s14, s15, 31
	s_delay_alu instid0(SALU_CYCLE_1) | instskip(SKIP_1) | instid1(SALU_CYCLE_1)
	s_add_u32 s14, s1, s14
	s_addc_u32 s15, s15, 0
	s_ashr_i64 s[14:15], s[14:15], 1
	s_delay_alu instid0(SALU_CYCLE_1) | instskip(SKIP_1) | instid1(SALU_CYCLE_1)
	s_add_u32 s14, s14, s10
	s_addc_u32 s15, s15, s11
	s_lshl_b64 s[16:17], s[14:15], 3
	s_delay_alu instid0(SALU_CYCLE_1)
	s_add_u32 s16, s6, s16
	s_addc_u32 s17, s7, s17
	s_load_b64 s[16:17], s[16:17], 0x0
	s_waitcnt lgkmcnt(0)
	v_cmp_lt_u64_e64 s1, s[16:17], 2
	s_add_u32 s16, s14, 1
	s_addc_u32 s17, s15, 0
	s_delay_alu instid0(VALU_DEP_1) | instskip(SKIP_4) | instid1(SALU_CYCLE_1)
	s_and_b32 s1, s1, exec_lo
	s_cselect_b32 s11, s17, s11
	s_cselect_b32 s10, s16, s10
	;; [unrolled: 1-line block ×4, first 2 shown]
	v_cmp_lt_i64_e64 s1, s[10:11], s[12:13]
	s_delay_alu instid0(VALU_DEP_1)
	s_and_b32 vcc_lo, exec_lo, s1
	s_cbranch_vccnz .LBB189_10
.LBB189_11:
	s_cmp_eq_u64 s[10:11], s[4:5]
	s_mov_b32 s1, 0
	s_cbranch_scc1 .LBB189_13
; %bb.12:
	s_lshl_b64 s[10:11], s[10:11], 3
	s_delay_alu instid0(SALU_CYCLE_1)
	s_add_u32 s10, s6, s10
	s_addc_u32 s11, s7, s11
	s_load_b64 s[10:11], s[10:11], 0x0
	s_waitcnt lgkmcnt(0)
	v_cmp_lt_u64_e64 s1, s[10:11], 3
.LBB189_13:
	s_delay_alu instid0(VALU_DEP_1)
	v_cndmask_b32_e64 v0, 0, 1, s1
	v_mov_b32_e32 v1, 0
	s_and_b32 vcc_lo, exec_lo, s0
	s_mov_b64 s[10:11], 0
	global_store_b8 v1, v0, s[2:3] offset:2
	s_cbranch_vccnz .LBB189_16
; %bb.14:
	s_mov_b64 s[12:13], s[8:9]
	.p2align	6
.LBB189_15:                             ; =>This Inner Loop Header: Depth=1
	s_delay_alu instid0(SALU_CYCLE_1) | instskip(SKIP_1) | instid1(SALU_CYCLE_1)
	s_sub_u32 s1, s12, s10
	s_subb_u32 s15, s13, s11
	s_lshr_b32 s14, s15, 31
	s_delay_alu instid0(SALU_CYCLE_1) | instskip(SKIP_1) | instid1(SALU_CYCLE_1)
	s_add_u32 s14, s1, s14
	s_addc_u32 s15, s15, 0
	s_ashr_i64 s[14:15], s[14:15], 1
	s_delay_alu instid0(SALU_CYCLE_1) | instskip(SKIP_1) | instid1(SALU_CYCLE_1)
	s_add_u32 s14, s14, s10
	s_addc_u32 s15, s15, s11
	s_lshl_b64 s[16:17], s[14:15], 3
	s_delay_alu instid0(SALU_CYCLE_1)
	s_add_u32 s16, s6, s16
	s_addc_u32 s17, s7, s17
	s_load_b64 s[16:17], s[16:17], 0x0
	s_waitcnt lgkmcnt(0)
	v_cmp_lt_u64_e64 s1, s[16:17], 3
	s_add_u32 s16, s14, 1
	s_addc_u32 s17, s15, 0
	s_delay_alu instid0(VALU_DEP_1) | instskip(SKIP_4) | instid1(SALU_CYCLE_1)
	s_and_b32 s1, s1, exec_lo
	s_cselect_b32 s11, s17, s11
	s_cselect_b32 s10, s16, s10
	s_cselect_b32 s13, s13, s15
	s_cselect_b32 s12, s12, s14
	v_cmp_lt_i64_e64 s1, s[10:11], s[12:13]
	s_delay_alu instid0(VALU_DEP_1)
	s_and_b32 vcc_lo, exec_lo, s1
	s_cbranch_vccnz .LBB189_15
.LBB189_16:
	s_cmp_eq_u64 s[10:11], s[4:5]
	s_mov_b32 s1, 0
	s_cbranch_scc1 .LBB189_18
; %bb.17:
	s_lshl_b64 s[10:11], s[10:11], 3
	s_delay_alu instid0(SALU_CYCLE_1)
	s_add_u32 s10, s6, s10
	s_addc_u32 s11, s7, s11
	s_load_b64 s[10:11], s[10:11], 0x0
	s_waitcnt lgkmcnt(0)
	v_cmp_lt_u64_e64 s1, s[10:11], 4
.LBB189_18:
	s_delay_alu instid0(VALU_DEP_1)
	v_cndmask_b32_e64 v0, 0, 1, s1
	v_mov_b32_e32 v1, 0
	s_and_b32 vcc_lo, exec_lo, s0
	s_mov_b64 s[10:11], 0
	global_store_b8 v1, v0, s[2:3] offset:3
	s_cbranch_vccnz .LBB189_21
; %bb.19:
	s_mov_b64 s[12:13], s[8:9]
	.p2align	6
.LBB189_20:                             ; =>This Inner Loop Header: Depth=1
	s_delay_alu instid0(SALU_CYCLE_1) | instskip(SKIP_1) | instid1(SALU_CYCLE_1)
	s_sub_u32 s1, s12, s10
	s_subb_u32 s15, s13, s11
	s_lshr_b32 s14, s15, 31
	s_delay_alu instid0(SALU_CYCLE_1) | instskip(SKIP_1) | instid1(SALU_CYCLE_1)
	s_add_u32 s14, s1, s14
	s_addc_u32 s15, s15, 0
	s_ashr_i64 s[14:15], s[14:15], 1
	s_delay_alu instid0(SALU_CYCLE_1) | instskip(SKIP_1) | instid1(SALU_CYCLE_1)
	s_add_u32 s14, s14, s10
	s_addc_u32 s15, s15, s11
	s_lshl_b64 s[16:17], s[14:15], 3
	s_delay_alu instid0(SALU_CYCLE_1)
	s_add_u32 s16, s6, s16
	s_addc_u32 s17, s7, s17
	s_load_b64 s[16:17], s[16:17], 0x0
	s_waitcnt lgkmcnt(0)
	v_cmp_lt_u64_e64 s1, s[16:17], 4
	s_add_u32 s16, s14, 1
	s_addc_u32 s17, s15, 0
	s_delay_alu instid0(VALU_DEP_1) | instskip(SKIP_4) | instid1(SALU_CYCLE_1)
	s_and_b32 s1, s1, exec_lo
	s_cselect_b32 s11, s17, s11
	s_cselect_b32 s10, s16, s10
	;; [unrolled: 1-line block ×4, first 2 shown]
	v_cmp_lt_i64_e64 s1, s[10:11], s[12:13]
	s_delay_alu instid0(VALU_DEP_1)
	s_and_b32 vcc_lo, exec_lo, s1
	s_cbranch_vccnz .LBB189_20
.LBB189_21:
	s_cmp_eq_u64 s[10:11], s[4:5]
	s_mov_b32 s1, 0
	s_cbranch_scc1 .LBB189_23
; %bb.22:
	s_lshl_b64 s[10:11], s[10:11], 3
	s_delay_alu instid0(SALU_CYCLE_1)
	s_add_u32 s10, s6, s10
	s_addc_u32 s11, s7, s11
	s_load_b64 s[10:11], s[10:11], 0x0
	s_waitcnt lgkmcnt(0)
	v_cmp_lt_u64_e64 s1, s[10:11], 5
.LBB189_23:
	s_delay_alu instid0(VALU_DEP_1)
	v_cndmask_b32_e64 v0, 0, 1, s1
	v_mov_b32_e32 v1, 0
	s_and_b32 vcc_lo, exec_lo, s0
	s_mov_b64 s[10:11], 0
	global_store_b8 v1, v0, s[2:3] offset:4
	s_cbranch_vccnz .LBB189_26
; %bb.24:
	s_mov_b64 s[12:13], s[8:9]
	.p2align	6
.LBB189_25:                             ; =>This Inner Loop Header: Depth=1
	s_delay_alu instid0(SALU_CYCLE_1) | instskip(SKIP_1) | instid1(SALU_CYCLE_1)
	s_sub_u32 s1, s12, s10
	s_subb_u32 s15, s13, s11
	s_lshr_b32 s14, s15, 31
	s_delay_alu instid0(SALU_CYCLE_1) | instskip(SKIP_1) | instid1(SALU_CYCLE_1)
	s_add_u32 s14, s1, s14
	s_addc_u32 s15, s15, 0
	s_ashr_i64 s[14:15], s[14:15], 1
	s_delay_alu instid0(SALU_CYCLE_1) | instskip(SKIP_1) | instid1(SALU_CYCLE_1)
	s_add_u32 s14, s14, s10
	s_addc_u32 s15, s15, s11
	s_lshl_b64 s[16:17], s[14:15], 3
	s_delay_alu instid0(SALU_CYCLE_1)
	s_add_u32 s16, s6, s16
	s_addc_u32 s17, s7, s17
	s_load_b64 s[16:17], s[16:17], 0x0
	s_waitcnt lgkmcnt(0)
	v_cmp_lt_u64_e64 s1, s[16:17], 5
	s_add_u32 s16, s14, 1
	s_addc_u32 s17, s15, 0
	s_delay_alu instid0(VALU_DEP_1) | instskip(SKIP_4) | instid1(SALU_CYCLE_1)
	s_and_b32 s1, s1, exec_lo
	s_cselect_b32 s11, s17, s11
	s_cselect_b32 s10, s16, s10
	;; [unrolled: 1-line block ×4, first 2 shown]
	v_cmp_lt_i64_e64 s1, s[10:11], s[12:13]
	s_delay_alu instid0(VALU_DEP_1)
	s_and_b32 vcc_lo, exec_lo, s1
	s_cbranch_vccnz .LBB189_25
.LBB189_26:
	s_cmp_eq_u64 s[10:11], s[4:5]
	s_mov_b32 s1, 0
	s_cbranch_scc1 .LBB189_28
; %bb.27:
	s_lshl_b64 s[10:11], s[10:11], 3
	s_delay_alu instid0(SALU_CYCLE_1)
	s_add_u32 s10, s6, s10
	s_addc_u32 s11, s7, s11
	s_load_b64 s[10:11], s[10:11], 0x0
	s_waitcnt lgkmcnt(0)
	v_cmp_lt_u64_e64 s1, s[10:11], 6
.LBB189_28:
	s_delay_alu instid0(VALU_DEP_1)
	v_cndmask_b32_e64 v0, 0, 1, s1
	v_mov_b32_e32 v1, 0
	s_and_b32 vcc_lo, exec_lo, s0
	s_mov_b64 s[10:11], 0
	global_store_b8 v1, v0, s[2:3] offset:5
	s_cbranch_vccnz .LBB189_31
; %bb.29:
	s_mov_b64 s[12:13], s[8:9]
	.p2align	6
.LBB189_30:                             ; =>This Inner Loop Header: Depth=1
	s_delay_alu instid0(SALU_CYCLE_1) | instskip(SKIP_1) | instid1(SALU_CYCLE_1)
	s_sub_u32 s1, s12, s10
	s_subb_u32 s15, s13, s11
	s_lshr_b32 s14, s15, 31
	s_delay_alu instid0(SALU_CYCLE_1) | instskip(SKIP_1) | instid1(SALU_CYCLE_1)
	s_add_u32 s14, s1, s14
	s_addc_u32 s15, s15, 0
	s_ashr_i64 s[14:15], s[14:15], 1
	s_delay_alu instid0(SALU_CYCLE_1) | instskip(SKIP_1) | instid1(SALU_CYCLE_1)
	s_add_u32 s14, s14, s10
	s_addc_u32 s15, s15, s11
	s_lshl_b64 s[16:17], s[14:15], 3
	s_delay_alu instid0(SALU_CYCLE_1)
	s_add_u32 s16, s6, s16
	s_addc_u32 s17, s7, s17
	s_load_b64 s[16:17], s[16:17], 0x0
	s_waitcnt lgkmcnt(0)
	v_cmp_lt_u64_e64 s1, s[16:17], 6
	s_add_u32 s16, s14, 1
	s_addc_u32 s17, s15, 0
	s_delay_alu instid0(VALU_DEP_1) | instskip(SKIP_4) | instid1(SALU_CYCLE_1)
	s_and_b32 s1, s1, exec_lo
	s_cselect_b32 s11, s17, s11
	s_cselect_b32 s10, s16, s10
	;; [unrolled: 1-line block ×4, first 2 shown]
	v_cmp_lt_i64_e64 s1, s[10:11], s[12:13]
	s_delay_alu instid0(VALU_DEP_1)
	s_and_b32 vcc_lo, exec_lo, s1
	s_cbranch_vccnz .LBB189_30
.LBB189_31:
	s_cmp_eq_u64 s[10:11], s[4:5]
	s_mov_b32 s1, 0
	s_cbranch_scc1 .LBB189_33
; %bb.32:
	s_lshl_b64 s[10:11], s[10:11], 3
	s_delay_alu instid0(SALU_CYCLE_1)
	s_add_u32 s10, s6, s10
	s_addc_u32 s11, s7, s11
	s_load_b64 s[10:11], s[10:11], 0x0
	s_waitcnt lgkmcnt(0)
	v_cmp_lt_u64_e64 s1, s[10:11], 7
.LBB189_33:
	s_delay_alu instid0(VALU_DEP_1)
	v_cndmask_b32_e64 v0, 0, 1, s1
	v_mov_b32_e32 v1, 0
	s_and_b32 vcc_lo, exec_lo, s0
	s_mov_b64 s[10:11], 0
	global_store_b8 v1, v0, s[2:3] offset:6
	s_cbranch_vccnz .LBB189_36
; %bb.34:
	s_mov_b64 s[12:13], s[8:9]
	.p2align	6
.LBB189_35:                             ; =>This Inner Loop Header: Depth=1
	s_delay_alu instid0(SALU_CYCLE_1) | instskip(SKIP_1) | instid1(SALU_CYCLE_1)
	s_sub_u32 s1, s12, s10
	s_subb_u32 s15, s13, s11
	s_lshr_b32 s14, s15, 31
	s_delay_alu instid0(SALU_CYCLE_1) | instskip(SKIP_1) | instid1(SALU_CYCLE_1)
	s_add_u32 s14, s1, s14
	s_addc_u32 s15, s15, 0
	s_ashr_i64 s[14:15], s[14:15], 1
	s_delay_alu instid0(SALU_CYCLE_1) | instskip(SKIP_1) | instid1(SALU_CYCLE_1)
	s_add_u32 s14, s14, s10
	s_addc_u32 s15, s15, s11
	s_lshl_b64 s[16:17], s[14:15], 3
	s_delay_alu instid0(SALU_CYCLE_1)
	s_add_u32 s16, s6, s16
	s_addc_u32 s17, s7, s17
	s_load_b64 s[16:17], s[16:17], 0x0
	s_waitcnt lgkmcnt(0)
	v_cmp_lt_u64_e64 s1, s[16:17], 7
	s_add_u32 s16, s14, 1
	s_addc_u32 s17, s15, 0
	s_delay_alu instid0(VALU_DEP_1) | instskip(SKIP_4) | instid1(SALU_CYCLE_1)
	s_and_b32 s1, s1, exec_lo
	s_cselect_b32 s11, s17, s11
	s_cselect_b32 s10, s16, s10
	;; [unrolled: 1-line block ×4, first 2 shown]
	v_cmp_lt_i64_e64 s1, s[10:11], s[12:13]
	s_delay_alu instid0(VALU_DEP_1)
	s_and_b32 vcc_lo, exec_lo, s1
	s_cbranch_vccnz .LBB189_35
.LBB189_36:
	s_cmp_eq_u64 s[10:11], s[4:5]
	s_mov_b32 s1, 0
	s_cbranch_scc1 .LBB189_38
; %bb.37:
	s_lshl_b64 s[10:11], s[10:11], 3
	s_delay_alu instid0(SALU_CYCLE_1)
	s_add_u32 s10, s6, s10
	s_addc_u32 s11, s7, s11
	s_load_b64 s[10:11], s[10:11], 0x0
	s_waitcnt lgkmcnt(0)
	v_cmp_lt_u64_e64 s1, s[10:11], 8
.LBB189_38:
	s_delay_alu instid0(VALU_DEP_1)
	v_cndmask_b32_e64 v0, 0, 1, s1
	v_mov_b32_e32 v1, 0
	s_and_b32 vcc_lo, exec_lo, s0
	s_mov_b64 s[10:11], 0
	global_store_b8 v1, v0, s[2:3] offset:7
	s_cbranch_vccnz .LBB189_41
; %bb.39:
	s_mov_b64 s[12:13], s[8:9]
	.p2align	6
.LBB189_40:                             ; =>This Inner Loop Header: Depth=1
	s_delay_alu instid0(SALU_CYCLE_1) | instskip(SKIP_1) | instid1(SALU_CYCLE_1)
	s_sub_u32 s1, s12, s10
	s_subb_u32 s15, s13, s11
	s_lshr_b32 s14, s15, 31
	s_delay_alu instid0(SALU_CYCLE_1) | instskip(SKIP_1) | instid1(SALU_CYCLE_1)
	s_add_u32 s14, s1, s14
	s_addc_u32 s15, s15, 0
	s_ashr_i64 s[14:15], s[14:15], 1
	s_delay_alu instid0(SALU_CYCLE_1) | instskip(SKIP_1) | instid1(SALU_CYCLE_1)
	s_add_u32 s14, s14, s10
	s_addc_u32 s15, s15, s11
	s_lshl_b64 s[16:17], s[14:15], 3
	s_delay_alu instid0(SALU_CYCLE_1)
	s_add_u32 s16, s6, s16
	s_addc_u32 s17, s7, s17
	s_load_b64 s[16:17], s[16:17], 0x0
	s_waitcnt lgkmcnt(0)
	v_cmp_lt_u64_e64 s1, s[16:17], 8
	s_add_u32 s16, s14, 1
	s_addc_u32 s17, s15, 0
	s_delay_alu instid0(VALU_DEP_1) | instskip(SKIP_4) | instid1(SALU_CYCLE_1)
	s_and_b32 s1, s1, exec_lo
	s_cselect_b32 s11, s17, s11
	s_cselect_b32 s10, s16, s10
	;; [unrolled: 1-line block ×4, first 2 shown]
	v_cmp_lt_i64_e64 s1, s[10:11], s[12:13]
	s_delay_alu instid0(VALU_DEP_1)
	s_and_b32 vcc_lo, exec_lo, s1
	s_cbranch_vccnz .LBB189_40
.LBB189_41:
	s_cmp_eq_u64 s[10:11], s[4:5]
	s_mov_b32 s1, 0
	s_cbranch_scc1 .LBB189_43
; %bb.42:
	s_lshl_b64 s[10:11], s[10:11], 3
	s_delay_alu instid0(SALU_CYCLE_1)
	s_add_u32 s10, s6, s10
	s_addc_u32 s11, s7, s11
	s_load_b64 s[10:11], s[10:11], 0x0
	s_waitcnt lgkmcnt(0)
	v_cmp_lt_u64_e64 s1, s[10:11], 9
.LBB189_43:
	s_delay_alu instid0(VALU_DEP_1)
	v_cndmask_b32_e64 v0, 0, 1, s1
	v_mov_b32_e32 v1, 0
	s_and_b32 vcc_lo, exec_lo, s0
	s_mov_b64 s[0:1], 0
	global_store_b8 v1, v0, s[2:3] offset:8
	s_cbranch_vccnz .LBB189_45
	.p2align	6
.LBB189_44:                             ; =>This Inner Loop Header: Depth=1
	s_sub_u32 s10, s8, s0
	s_subb_u32 s11, s9, s1
	s_delay_alu instid0(SALU_CYCLE_1) | instskip(NEXT) | instid1(SALU_CYCLE_1)
	s_lshr_b32 s12, s11, 31
	s_add_u32 s10, s10, s12
	s_addc_u32 s11, s11, 0
	s_delay_alu instid0(SALU_CYCLE_1) | instskip(NEXT) | instid1(SALU_CYCLE_1)
	s_ashr_i64 s[10:11], s[10:11], 1
	s_add_u32 s10, s10, s0
	s_addc_u32 s11, s11, s1
	s_delay_alu instid0(SALU_CYCLE_1) | instskip(NEXT) | instid1(SALU_CYCLE_1)
	s_lshl_b64 s[12:13], s[10:11], 3
	s_add_u32 s12, s6, s12
	s_addc_u32 s13, s7, s13
	s_load_b64 s[12:13], s[12:13], 0x0
	s_waitcnt lgkmcnt(0)
	v_cmp_lt_u64_e64 s12, s[12:13], 9
	s_add_u32 s13, s10, 1
	s_addc_u32 s14, s11, 0
	s_delay_alu instid0(VALU_DEP_1) | instskip(SKIP_4) | instid1(SALU_CYCLE_1)
	s_and_b32 s12, s12, exec_lo
	s_cselect_b32 s1, s14, s1
	s_cselect_b32 s0, s13, s0
	;; [unrolled: 1-line block ×4, first 2 shown]
	v_cmp_lt_i64_e64 s10, s[0:1], s[8:9]
	s_delay_alu instid0(VALU_DEP_1)
	s_and_b32 vcc_lo, exec_lo, s10
	s_cbranch_vccnz .LBB189_44
.LBB189_45:
	s_cmp_eq_u64 s[0:1], s[4:5]
	s_mov_b32 s4, 0
	s_cbranch_scc1 .LBB189_47
; %bb.46:
	s_lshl_b64 s[0:1], s[0:1], 3
	s_delay_alu instid0(SALU_CYCLE_1)
	s_add_u32 s0, s6, s0
	s_addc_u32 s1, s7, s1
	s_load_b64 s[0:1], s[0:1], 0x0
	s_waitcnt lgkmcnt(0)
	v_cmp_lt_u64_e64 s4, s[0:1], 10
.LBB189_47:
	v_mov_b32_e32 v0, 0
	s_delay_alu instid0(VALU_DEP_2)
	v_cndmask_b32_e64 v1, 0, 1, s4
	global_store_b8 v0, v1, s[2:3] offset:9
	s_nop 0
	s_sendmsg sendmsg(MSG_DEALLOC_VGPRS)
	s_endpgm
	.section	.rodata,"a",@progbits
	.p2align	6, 0x0
	.amdhsa_kernel _Z20binary_search_kernelIyEvmPT_Pb
		.amdhsa_group_segment_fixed_size 0
		.amdhsa_private_segment_fixed_size 0
		.amdhsa_kernarg_size 24
		.amdhsa_user_sgpr_count 15
		.amdhsa_user_sgpr_dispatch_ptr 0
		.amdhsa_user_sgpr_queue_ptr 0
		.amdhsa_user_sgpr_kernarg_segment_ptr 1
		.amdhsa_user_sgpr_dispatch_id 0
		.amdhsa_user_sgpr_private_segment_size 0
		.amdhsa_wavefront_size32 1
		.amdhsa_uses_dynamic_stack 0
		.amdhsa_enable_private_segment 0
		.amdhsa_system_sgpr_workgroup_id_x 1
		.amdhsa_system_sgpr_workgroup_id_y 0
		.amdhsa_system_sgpr_workgroup_id_z 0
		.amdhsa_system_sgpr_workgroup_info 0
		.amdhsa_system_vgpr_workitem_id 0
		.amdhsa_next_free_vgpr 2
		.amdhsa_next_free_sgpr 18
		.amdhsa_reserve_vcc 1
		.amdhsa_float_round_mode_32 0
		.amdhsa_float_round_mode_16_64 0
		.amdhsa_float_denorm_mode_32 3
		.amdhsa_float_denorm_mode_16_64 3
		.amdhsa_dx10_clamp 1
		.amdhsa_ieee_mode 1
		.amdhsa_fp16_overflow 0
		.amdhsa_workgroup_processor_mode 1
		.amdhsa_memory_ordered 1
		.amdhsa_forward_progress 0
		.amdhsa_shared_vgpr_count 0
		.amdhsa_exception_fp_ieee_invalid_op 0
		.amdhsa_exception_fp_denorm_src 0
		.amdhsa_exception_fp_ieee_div_zero 0
		.amdhsa_exception_fp_ieee_overflow 0
		.amdhsa_exception_fp_ieee_underflow 0
		.amdhsa_exception_fp_ieee_inexact 0
		.amdhsa_exception_int_div_zero 0
	.end_amdhsa_kernel
	.section	.text._Z20binary_search_kernelIyEvmPT_Pb,"axG",@progbits,_Z20binary_search_kernelIyEvmPT_Pb,comdat
.Lfunc_end189:
	.size	_Z20binary_search_kernelIyEvmPT_Pb, .Lfunc_end189-_Z20binary_search_kernelIyEvmPT_Pb
                                        ; -- End function
	.section	.AMDGPU.csdata,"",@progbits
; Kernel info:
; codeLenInByte = 2096
; NumSgprs: 20
; NumVgprs: 2
; ScratchSize: 0
; MemoryBound: 1
; FloatMode: 240
; IeeeMode: 1
; LDSByteSize: 0 bytes/workgroup (compile time only)
; SGPRBlocks: 2
; VGPRBlocks: 0
; NumSGPRsForWavesPerEU: 20
; NumVGPRsForWavesPerEU: 2
; Occupancy: 16
; WaveLimiterHint : 0
; COMPUTE_PGM_RSRC2:SCRATCH_EN: 0
; COMPUTE_PGM_RSRC2:USER_SGPR: 15
; COMPUTE_PGM_RSRC2:TRAP_HANDLER: 0
; COMPUTE_PGM_RSRC2:TGID_X_EN: 1
; COMPUTE_PGM_RSRC2:TGID_Y_EN: 0
; COMPUTE_PGM_RSRC2:TGID_Z_EN: 0
; COMPUTE_PGM_RSRC2:TIDIG_COMP_CNT: 0
	.section	.text._ZN7rocprim17ROCPRIM_400000_NS6detail17trampoline_kernelINS0_14default_configENS1_29binary_search_config_selectorIybEEZNS1_14transform_implILb0ES3_S5_N6thrust23THRUST_200600_302600_NS17counting_iteratorIyNS8_11use_defaultESA_SA_EEPbZNS1_13binary_searchIS3_S5_PySB_SC_NS1_16binary_search_opENS8_6detail16wrapped_functionINS0_4lessIvEEbEEEE10hipError_tPvRmT1_T2_T3_mmT4_T5_P12ihipStream_tbEUlRKyE_EESL_SP_SQ_mSR_SU_bEUlT_E_NS1_11comp_targetILNS1_3genE0ELNS1_11target_archE4294967295ELNS1_3gpuE0ELNS1_3repE0EEENS1_30default_config_static_selectorELNS0_4arch9wavefront6targetE0EEEvSO_,"axG",@progbits,_ZN7rocprim17ROCPRIM_400000_NS6detail17trampoline_kernelINS0_14default_configENS1_29binary_search_config_selectorIybEEZNS1_14transform_implILb0ES3_S5_N6thrust23THRUST_200600_302600_NS17counting_iteratorIyNS8_11use_defaultESA_SA_EEPbZNS1_13binary_searchIS3_S5_PySB_SC_NS1_16binary_search_opENS8_6detail16wrapped_functionINS0_4lessIvEEbEEEE10hipError_tPvRmT1_T2_T3_mmT4_T5_P12ihipStream_tbEUlRKyE_EESL_SP_SQ_mSR_SU_bEUlT_E_NS1_11comp_targetILNS1_3genE0ELNS1_11target_archE4294967295ELNS1_3gpuE0ELNS1_3repE0EEENS1_30default_config_static_selectorELNS0_4arch9wavefront6targetE0EEEvSO_,comdat
	.protected	_ZN7rocprim17ROCPRIM_400000_NS6detail17trampoline_kernelINS0_14default_configENS1_29binary_search_config_selectorIybEEZNS1_14transform_implILb0ES3_S5_N6thrust23THRUST_200600_302600_NS17counting_iteratorIyNS8_11use_defaultESA_SA_EEPbZNS1_13binary_searchIS3_S5_PySB_SC_NS1_16binary_search_opENS8_6detail16wrapped_functionINS0_4lessIvEEbEEEE10hipError_tPvRmT1_T2_T3_mmT4_T5_P12ihipStream_tbEUlRKyE_EESL_SP_SQ_mSR_SU_bEUlT_E_NS1_11comp_targetILNS1_3genE0ELNS1_11target_archE4294967295ELNS1_3gpuE0ELNS1_3repE0EEENS1_30default_config_static_selectorELNS0_4arch9wavefront6targetE0EEEvSO_ ; -- Begin function _ZN7rocprim17ROCPRIM_400000_NS6detail17trampoline_kernelINS0_14default_configENS1_29binary_search_config_selectorIybEEZNS1_14transform_implILb0ES3_S5_N6thrust23THRUST_200600_302600_NS17counting_iteratorIyNS8_11use_defaultESA_SA_EEPbZNS1_13binary_searchIS3_S5_PySB_SC_NS1_16binary_search_opENS8_6detail16wrapped_functionINS0_4lessIvEEbEEEE10hipError_tPvRmT1_T2_T3_mmT4_T5_P12ihipStream_tbEUlRKyE_EESL_SP_SQ_mSR_SU_bEUlT_E_NS1_11comp_targetILNS1_3genE0ELNS1_11target_archE4294967295ELNS1_3gpuE0ELNS1_3repE0EEENS1_30default_config_static_selectorELNS0_4arch9wavefront6targetE0EEEvSO_
	.globl	_ZN7rocprim17ROCPRIM_400000_NS6detail17trampoline_kernelINS0_14default_configENS1_29binary_search_config_selectorIybEEZNS1_14transform_implILb0ES3_S5_N6thrust23THRUST_200600_302600_NS17counting_iteratorIyNS8_11use_defaultESA_SA_EEPbZNS1_13binary_searchIS3_S5_PySB_SC_NS1_16binary_search_opENS8_6detail16wrapped_functionINS0_4lessIvEEbEEEE10hipError_tPvRmT1_T2_T3_mmT4_T5_P12ihipStream_tbEUlRKyE_EESL_SP_SQ_mSR_SU_bEUlT_E_NS1_11comp_targetILNS1_3genE0ELNS1_11target_archE4294967295ELNS1_3gpuE0ELNS1_3repE0EEENS1_30default_config_static_selectorELNS0_4arch9wavefront6targetE0EEEvSO_
	.p2align	8
	.type	_ZN7rocprim17ROCPRIM_400000_NS6detail17trampoline_kernelINS0_14default_configENS1_29binary_search_config_selectorIybEEZNS1_14transform_implILb0ES3_S5_N6thrust23THRUST_200600_302600_NS17counting_iteratorIyNS8_11use_defaultESA_SA_EEPbZNS1_13binary_searchIS3_S5_PySB_SC_NS1_16binary_search_opENS8_6detail16wrapped_functionINS0_4lessIvEEbEEEE10hipError_tPvRmT1_T2_T3_mmT4_T5_P12ihipStream_tbEUlRKyE_EESL_SP_SQ_mSR_SU_bEUlT_E_NS1_11comp_targetILNS1_3genE0ELNS1_11target_archE4294967295ELNS1_3gpuE0ELNS1_3repE0EEENS1_30default_config_static_selectorELNS0_4arch9wavefront6targetE0EEEvSO_,@function
_ZN7rocprim17ROCPRIM_400000_NS6detail17trampoline_kernelINS0_14default_configENS1_29binary_search_config_selectorIybEEZNS1_14transform_implILb0ES3_S5_N6thrust23THRUST_200600_302600_NS17counting_iteratorIyNS8_11use_defaultESA_SA_EEPbZNS1_13binary_searchIS3_S5_PySB_SC_NS1_16binary_search_opENS8_6detail16wrapped_functionINS0_4lessIvEEbEEEE10hipError_tPvRmT1_T2_T3_mmT4_T5_P12ihipStream_tbEUlRKyE_EESL_SP_SQ_mSR_SU_bEUlT_E_NS1_11comp_targetILNS1_3genE0ELNS1_11target_archE4294967295ELNS1_3gpuE0ELNS1_3repE0EEENS1_30default_config_static_selectorELNS0_4arch9wavefront6targetE0EEEvSO_: ; @_ZN7rocprim17ROCPRIM_400000_NS6detail17trampoline_kernelINS0_14default_configENS1_29binary_search_config_selectorIybEEZNS1_14transform_implILb0ES3_S5_N6thrust23THRUST_200600_302600_NS17counting_iteratorIyNS8_11use_defaultESA_SA_EEPbZNS1_13binary_searchIS3_S5_PySB_SC_NS1_16binary_search_opENS8_6detail16wrapped_functionINS0_4lessIvEEbEEEE10hipError_tPvRmT1_T2_T3_mmT4_T5_P12ihipStream_tbEUlRKyE_EESL_SP_SQ_mSR_SU_bEUlT_E_NS1_11comp_targetILNS1_3genE0ELNS1_11target_archE4294967295ELNS1_3gpuE0ELNS1_3repE0EEENS1_30default_config_static_selectorELNS0_4arch9wavefront6targetE0EEEvSO_
; %bb.0:
	.section	.rodata,"a",@progbits
	.p2align	6, 0x0
	.amdhsa_kernel _ZN7rocprim17ROCPRIM_400000_NS6detail17trampoline_kernelINS0_14default_configENS1_29binary_search_config_selectorIybEEZNS1_14transform_implILb0ES3_S5_N6thrust23THRUST_200600_302600_NS17counting_iteratorIyNS8_11use_defaultESA_SA_EEPbZNS1_13binary_searchIS3_S5_PySB_SC_NS1_16binary_search_opENS8_6detail16wrapped_functionINS0_4lessIvEEbEEEE10hipError_tPvRmT1_T2_T3_mmT4_T5_P12ihipStream_tbEUlRKyE_EESL_SP_SQ_mSR_SU_bEUlT_E_NS1_11comp_targetILNS1_3genE0ELNS1_11target_archE4294967295ELNS1_3gpuE0ELNS1_3repE0EEENS1_30default_config_static_selectorELNS0_4arch9wavefront6targetE0EEEvSO_
		.amdhsa_group_segment_fixed_size 0
		.amdhsa_private_segment_fixed_size 0
		.amdhsa_kernarg_size 56
		.amdhsa_user_sgpr_count 15
		.amdhsa_user_sgpr_dispatch_ptr 0
		.amdhsa_user_sgpr_queue_ptr 0
		.amdhsa_user_sgpr_kernarg_segment_ptr 1
		.amdhsa_user_sgpr_dispatch_id 0
		.amdhsa_user_sgpr_private_segment_size 0
		.amdhsa_wavefront_size32 1
		.amdhsa_uses_dynamic_stack 0
		.amdhsa_enable_private_segment 0
		.amdhsa_system_sgpr_workgroup_id_x 1
		.amdhsa_system_sgpr_workgroup_id_y 0
		.amdhsa_system_sgpr_workgroup_id_z 0
		.amdhsa_system_sgpr_workgroup_info 0
		.amdhsa_system_vgpr_workitem_id 0
		.amdhsa_next_free_vgpr 1
		.amdhsa_next_free_sgpr 1
		.amdhsa_reserve_vcc 0
		.amdhsa_float_round_mode_32 0
		.amdhsa_float_round_mode_16_64 0
		.amdhsa_float_denorm_mode_32 3
		.amdhsa_float_denorm_mode_16_64 3
		.amdhsa_dx10_clamp 1
		.amdhsa_ieee_mode 1
		.amdhsa_fp16_overflow 0
		.amdhsa_workgroup_processor_mode 1
		.amdhsa_memory_ordered 1
		.amdhsa_forward_progress 0
		.amdhsa_shared_vgpr_count 0
		.amdhsa_exception_fp_ieee_invalid_op 0
		.amdhsa_exception_fp_denorm_src 0
		.amdhsa_exception_fp_ieee_div_zero 0
		.amdhsa_exception_fp_ieee_overflow 0
		.amdhsa_exception_fp_ieee_underflow 0
		.amdhsa_exception_fp_ieee_inexact 0
		.amdhsa_exception_int_div_zero 0
	.end_amdhsa_kernel
	.section	.text._ZN7rocprim17ROCPRIM_400000_NS6detail17trampoline_kernelINS0_14default_configENS1_29binary_search_config_selectorIybEEZNS1_14transform_implILb0ES3_S5_N6thrust23THRUST_200600_302600_NS17counting_iteratorIyNS8_11use_defaultESA_SA_EEPbZNS1_13binary_searchIS3_S5_PySB_SC_NS1_16binary_search_opENS8_6detail16wrapped_functionINS0_4lessIvEEbEEEE10hipError_tPvRmT1_T2_T3_mmT4_T5_P12ihipStream_tbEUlRKyE_EESL_SP_SQ_mSR_SU_bEUlT_E_NS1_11comp_targetILNS1_3genE0ELNS1_11target_archE4294967295ELNS1_3gpuE0ELNS1_3repE0EEENS1_30default_config_static_selectorELNS0_4arch9wavefront6targetE0EEEvSO_,"axG",@progbits,_ZN7rocprim17ROCPRIM_400000_NS6detail17trampoline_kernelINS0_14default_configENS1_29binary_search_config_selectorIybEEZNS1_14transform_implILb0ES3_S5_N6thrust23THRUST_200600_302600_NS17counting_iteratorIyNS8_11use_defaultESA_SA_EEPbZNS1_13binary_searchIS3_S5_PySB_SC_NS1_16binary_search_opENS8_6detail16wrapped_functionINS0_4lessIvEEbEEEE10hipError_tPvRmT1_T2_T3_mmT4_T5_P12ihipStream_tbEUlRKyE_EESL_SP_SQ_mSR_SU_bEUlT_E_NS1_11comp_targetILNS1_3genE0ELNS1_11target_archE4294967295ELNS1_3gpuE0ELNS1_3repE0EEENS1_30default_config_static_selectorELNS0_4arch9wavefront6targetE0EEEvSO_,comdat
.Lfunc_end190:
	.size	_ZN7rocprim17ROCPRIM_400000_NS6detail17trampoline_kernelINS0_14default_configENS1_29binary_search_config_selectorIybEEZNS1_14transform_implILb0ES3_S5_N6thrust23THRUST_200600_302600_NS17counting_iteratorIyNS8_11use_defaultESA_SA_EEPbZNS1_13binary_searchIS3_S5_PySB_SC_NS1_16binary_search_opENS8_6detail16wrapped_functionINS0_4lessIvEEbEEEE10hipError_tPvRmT1_T2_T3_mmT4_T5_P12ihipStream_tbEUlRKyE_EESL_SP_SQ_mSR_SU_bEUlT_E_NS1_11comp_targetILNS1_3genE0ELNS1_11target_archE4294967295ELNS1_3gpuE0ELNS1_3repE0EEENS1_30default_config_static_selectorELNS0_4arch9wavefront6targetE0EEEvSO_, .Lfunc_end190-_ZN7rocprim17ROCPRIM_400000_NS6detail17trampoline_kernelINS0_14default_configENS1_29binary_search_config_selectorIybEEZNS1_14transform_implILb0ES3_S5_N6thrust23THRUST_200600_302600_NS17counting_iteratorIyNS8_11use_defaultESA_SA_EEPbZNS1_13binary_searchIS3_S5_PySB_SC_NS1_16binary_search_opENS8_6detail16wrapped_functionINS0_4lessIvEEbEEEE10hipError_tPvRmT1_T2_T3_mmT4_T5_P12ihipStream_tbEUlRKyE_EESL_SP_SQ_mSR_SU_bEUlT_E_NS1_11comp_targetILNS1_3genE0ELNS1_11target_archE4294967295ELNS1_3gpuE0ELNS1_3repE0EEENS1_30default_config_static_selectorELNS0_4arch9wavefront6targetE0EEEvSO_
                                        ; -- End function
	.section	.AMDGPU.csdata,"",@progbits
; Kernel info:
; codeLenInByte = 0
; NumSgprs: 0
; NumVgprs: 0
; ScratchSize: 0
; MemoryBound: 0
; FloatMode: 240
; IeeeMode: 1
; LDSByteSize: 0 bytes/workgroup (compile time only)
; SGPRBlocks: 0
; VGPRBlocks: 0
; NumSGPRsForWavesPerEU: 1
; NumVGPRsForWavesPerEU: 1
; Occupancy: 16
; WaveLimiterHint : 0
; COMPUTE_PGM_RSRC2:SCRATCH_EN: 0
; COMPUTE_PGM_RSRC2:USER_SGPR: 15
; COMPUTE_PGM_RSRC2:TRAP_HANDLER: 0
; COMPUTE_PGM_RSRC2:TGID_X_EN: 1
; COMPUTE_PGM_RSRC2:TGID_Y_EN: 0
; COMPUTE_PGM_RSRC2:TGID_Z_EN: 0
; COMPUTE_PGM_RSRC2:TIDIG_COMP_CNT: 0
	.section	.text._ZN7rocprim17ROCPRIM_400000_NS6detail17trampoline_kernelINS0_14default_configENS1_29binary_search_config_selectorIybEEZNS1_14transform_implILb0ES3_S5_N6thrust23THRUST_200600_302600_NS17counting_iteratorIyNS8_11use_defaultESA_SA_EEPbZNS1_13binary_searchIS3_S5_PySB_SC_NS1_16binary_search_opENS8_6detail16wrapped_functionINS0_4lessIvEEbEEEE10hipError_tPvRmT1_T2_T3_mmT4_T5_P12ihipStream_tbEUlRKyE_EESL_SP_SQ_mSR_SU_bEUlT_E_NS1_11comp_targetILNS1_3genE5ELNS1_11target_archE942ELNS1_3gpuE9ELNS1_3repE0EEENS1_30default_config_static_selectorELNS0_4arch9wavefront6targetE0EEEvSO_,"axG",@progbits,_ZN7rocprim17ROCPRIM_400000_NS6detail17trampoline_kernelINS0_14default_configENS1_29binary_search_config_selectorIybEEZNS1_14transform_implILb0ES3_S5_N6thrust23THRUST_200600_302600_NS17counting_iteratorIyNS8_11use_defaultESA_SA_EEPbZNS1_13binary_searchIS3_S5_PySB_SC_NS1_16binary_search_opENS8_6detail16wrapped_functionINS0_4lessIvEEbEEEE10hipError_tPvRmT1_T2_T3_mmT4_T5_P12ihipStream_tbEUlRKyE_EESL_SP_SQ_mSR_SU_bEUlT_E_NS1_11comp_targetILNS1_3genE5ELNS1_11target_archE942ELNS1_3gpuE9ELNS1_3repE0EEENS1_30default_config_static_selectorELNS0_4arch9wavefront6targetE0EEEvSO_,comdat
	.protected	_ZN7rocprim17ROCPRIM_400000_NS6detail17trampoline_kernelINS0_14default_configENS1_29binary_search_config_selectorIybEEZNS1_14transform_implILb0ES3_S5_N6thrust23THRUST_200600_302600_NS17counting_iteratorIyNS8_11use_defaultESA_SA_EEPbZNS1_13binary_searchIS3_S5_PySB_SC_NS1_16binary_search_opENS8_6detail16wrapped_functionINS0_4lessIvEEbEEEE10hipError_tPvRmT1_T2_T3_mmT4_T5_P12ihipStream_tbEUlRKyE_EESL_SP_SQ_mSR_SU_bEUlT_E_NS1_11comp_targetILNS1_3genE5ELNS1_11target_archE942ELNS1_3gpuE9ELNS1_3repE0EEENS1_30default_config_static_selectorELNS0_4arch9wavefront6targetE0EEEvSO_ ; -- Begin function _ZN7rocprim17ROCPRIM_400000_NS6detail17trampoline_kernelINS0_14default_configENS1_29binary_search_config_selectorIybEEZNS1_14transform_implILb0ES3_S5_N6thrust23THRUST_200600_302600_NS17counting_iteratorIyNS8_11use_defaultESA_SA_EEPbZNS1_13binary_searchIS3_S5_PySB_SC_NS1_16binary_search_opENS8_6detail16wrapped_functionINS0_4lessIvEEbEEEE10hipError_tPvRmT1_T2_T3_mmT4_T5_P12ihipStream_tbEUlRKyE_EESL_SP_SQ_mSR_SU_bEUlT_E_NS1_11comp_targetILNS1_3genE5ELNS1_11target_archE942ELNS1_3gpuE9ELNS1_3repE0EEENS1_30default_config_static_selectorELNS0_4arch9wavefront6targetE0EEEvSO_
	.globl	_ZN7rocprim17ROCPRIM_400000_NS6detail17trampoline_kernelINS0_14default_configENS1_29binary_search_config_selectorIybEEZNS1_14transform_implILb0ES3_S5_N6thrust23THRUST_200600_302600_NS17counting_iteratorIyNS8_11use_defaultESA_SA_EEPbZNS1_13binary_searchIS3_S5_PySB_SC_NS1_16binary_search_opENS8_6detail16wrapped_functionINS0_4lessIvEEbEEEE10hipError_tPvRmT1_T2_T3_mmT4_T5_P12ihipStream_tbEUlRKyE_EESL_SP_SQ_mSR_SU_bEUlT_E_NS1_11comp_targetILNS1_3genE5ELNS1_11target_archE942ELNS1_3gpuE9ELNS1_3repE0EEENS1_30default_config_static_selectorELNS0_4arch9wavefront6targetE0EEEvSO_
	.p2align	8
	.type	_ZN7rocprim17ROCPRIM_400000_NS6detail17trampoline_kernelINS0_14default_configENS1_29binary_search_config_selectorIybEEZNS1_14transform_implILb0ES3_S5_N6thrust23THRUST_200600_302600_NS17counting_iteratorIyNS8_11use_defaultESA_SA_EEPbZNS1_13binary_searchIS3_S5_PySB_SC_NS1_16binary_search_opENS8_6detail16wrapped_functionINS0_4lessIvEEbEEEE10hipError_tPvRmT1_T2_T3_mmT4_T5_P12ihipStream_tbEUlRKyE_EESL_SP_SQ_mSR_SU_bEUlT_E_NS1_11comp_targetILNS1_3genE5ELNS1_11target_archE942ELNS1_3gpuE9ELNS1_3repE0EEENS1_30default_config_static_selectorELNS0_4arch9wavefront6targetE0EEEvSO_,@function
_ZN7rocprim17ROCPRIM_400000_NS6detail17trampoline_kernelINS0_14default_configENS1_29binary_search_config_selectorIybEEZNS1_14transform_implILb0ES3_S5_N6thrust23THRUST_200600_302600_NS17counting_iteratorIyNS8_11use_defaultESA_SA_EEPbZNS1_13binary_searchIS3_S5_PySB_SC_NS1_16binary_search_opENS8_6detail16wrapped_functionINS0_4lessIvEEbEEEE10hipError_tPvRmT1_T2_T3_mmT4_T5_P12ihipStream_tbEUlRKyE_EESL_SP_SQ_mSR_SU_bEUlT_E_NS1_11comp_targetILNS1_3genE5ELNS1_11target_archE942ELNS1_3gpuE9ELNS1_3repE0EEENS1_30default_config_static_selectorELNS0_4arch9wavefront6targetE0EEEvSO_: ; @_ZN7rocprim17ROCPRIM_400000_NS6detail17trampoline_kernelINS0_14default_configENS1_29binary_search_config_selectorIybEEZNS1_14transform_implILb0ES3_S5_N6thrust23THRUST_200600_302600_NS17counting_iteratorIyNS8_11use_defaultESA_SA_EEPbZNS1_13binary_searchIS3_S5_PySB_SC_NS1_16binary_search_opENS8_6detail16wrapped_functionINS0_4lessIvEEbEEEE10hipError_tPvRmT1_T2_T3_mmT4_T5_P12ihipStream_tbEUlRKyE_EESL_SP_SQ_mSR_SU_bEUlT_E_NS1_11comp_targetILNS1_3genE5ELNS1_11target_archE942ELNS1_3gpuE9ELNS1_3repE0EEENS1_30default_config_static_selectorELNS0_4arch9wavefront6targetE0EEEvSO_
; %bb.0:
	.section	.rodata,"a",@progbits
	.p2align	6, 0x0
	.amdhsa_kernel _ZN7rocprim17ROCPRIM_400000_NS6detail17trampoline_kernelINS0_14default_configENS1_29binary_search_config_selectorIybEEZNS1_14transform_implILb0ES3_S5_N6thrust23THRUST_200600_302600_NS17counting_iteratorIyNS8_11use_defaultESA_SA_EEPbZNS1_13binary_searchIS3_S5_PySB_SC_NS1_16binary_search_opENS8_6detail16wrapped_functionINS0_4lessIvEEbEEEE10hipError_tPvRmT1_T2_T3_mmT4_T5_P12ihipStream_tbEUlRKyE_EESL_SP_SQ_mSR_SU_bEUlT_E_NS1_11comp_targetILNS1_3genE5ELNS1_11target_archE942ELNS1_3gpuE9ELNS1_3repE0EEENS1_30default_config_static_selectorELNS0_4arch9wavefront6targetE0EEEvSO_
		.amdhsa_group_segment_fixed_size 0
		.amdhsa_private_segment_fixed_size 0
		.amdhsa_kernarg_size 56
		.amdhsa_user_sgpr_count 15
		.amdhsa_user_sgpr_dispatch_ptr 0
		.amdhsa_user_sgpr_queue_ptr 0
		.amdhsa_user_sgpr_kernarg_segment_ptr 1
		.amdhsa_user_sgpr_dispatch_id 0
		.amdhsa_user_sgpr_private_segment_size 0
		.amdhsa_wavefront_size32 1
		.amdhsa_uses_dynamic_stack 0
		.amdhsa_enable_private_segment 0
		.amdhsa_system_sgpr_workgroup_id_x 1
		.amdhsa_system_sgpr_workgroup_id_y 0
		.amdhsa_system_sgpr_workgroup_id_z 0
		.amdhsa_system_sgpr_workgroup_info 0
		.amdhsa_system_vgpr_workitem_id 0
		.amdhsa_next_free_vgpr 1
		.amdhsa_next_free_sgpr 1
		.amdhsa_reserve_vcc 0
		.amdhsa_float_round_mode_32 0
		.amdhsa_float_round_mode_16_64 0
		.amdhsa_float_denorm_mode_32 3
		.amdhsa_float_denorm_mode_16_64 3
		.amdhsa_dx10_clamp 1
		.amdhsa_ieee_mode 1
		.amdhsa_fp16_overflow 0
		.amdhsa_workgroup_processor_mode 1
		.amdhsa_memory_ordered 1
		.amdhsa_forward_progress 0
		.amdhsa_shared_vgpr_count 0
		.amdhsa_exception_fp_ieee_invalid_op 0
		.amdhsa_exception_fp_denorm_src 0
		.amdhsa_exception_fp_ieee_div_zero 0
		.amdhsa_exception_fp_ieee_overflow 0
		.amdhsa_exception_fp_ieee_underflow 0
		.amdhsa_exception_fp_ieee_inexact 0
		.amdhsa_exception_int_div_zero 0
	.end_amdhsa_kernel
	.section	.text._ZN7rocprim17ROCPRIM_400000_NS6detail17trampoline_kernelINS0_14default_configENS1_29binary_search_config_selectorIybEEZNS1_14transform_implILb0ES3_S5_N6thrust23THRUST_200600_302600_NS17counting_iteratorIyNS8_11use_defaultESA_SA_EEPbZNS1_13binary_searchIS3_S5_PySB_SC_NS1_16binary_search_opENS8_6detail16wrapped_functionINS0_4lessIvEEbEEEE10hipError_tPvRmT1_T2_T3_mmT4_T5_P12ihipStream_tbEUlRKyE_EESL_SP_SQ_mSR_SU_bEUlT_E_NS1_11comp_targetILNS1_3genE5ELNS1_11target_archE942ELNS1_3gpuE9ELNS1_3repE0EEENS1_30default_config_static_selectorELNS0_4arch9wavefront6targetE0EEEvSO_,"axG",@progbits,_ZN7rocprim17ROCPRIM_400000_NS6detail17trampoline_kernelINS0_14default_configENS1_29binary_search_config_selectorIybEEZNS1_14transform_implILb0ES3_S5_N6thrust23THRUST_200600_302600_NS17counting_iteratorIyNS8_11use_defaultESA_SA_EEPbZNS1_13binary_searchIS3_S5_PySB_SC_NS1_16binary_search_opENS8_6detail16wrapped_functionINS0_4lessIvEEbEEEE10hipError_tPvRmT1_T2_T3_mmT4_T5_P12ihipStream_tbEUlRKyE_EESL_SP_SQ_mSR_SU_bEUlT_E_NS1_11comp_targetILNS1_3genE5ELNS1_11target_archE942ELNS1_3gpuE9ELNS1_3repE0EEENS1_30default_config_static_selectorELNS0_4arch9wavefront6targetE0EEEvSO_,comdat
.Lfunc_end191:
	.size	_ZN7rocprim17ROCPRIM_400000_NS6detail17trampoline_kernelINS0_14default_configENS1_29binary_search_config_selectorIybEEZNS1_14transform_implILb0ES3_S5_N6thrust23THRUST_200600_302600_NS17counting_iteratorIyNS8_11use_defaultESA_SA_EEPbZNS1_13binary_searchIS3_S5_PySB_SC_NS1_16binary_search_opENS8_6detail16wrapped_functionINS0_4lessIvEEbEEEE10hipError_tPvRmT1_T2_T3_mmT4_T5_P12ihipStream_tbEUlRKyE_EESL_SP_SQ_mSR_SU_bEUlT_E_NS1_11comp_targetILNS1_3genE5ELNS1_11target_archE942ELNS1_3gpuE9ELNS1_3repE0EEENS1_30default_config_static_selectorELNS0_4arch9wavefront6targetE0EEEvSO_, .Lfunc_end191-_ZN7rocprim17ROCPRIM_400000_NS6detail17trampoline_kernelINS0_14default_configENS1_29binary_search_config_selectorIybEEZNS1_14transform_implILb0ES3_S5_N6thrust23THRUST_200600_302600_NS17counting_iteratorIyNS8_11use_defaultESA_SA_EEPbZNS1_13binary_searchIS3_S5_PySB_SC_NS1_16binary_search_opENS8_6detail16wrapped_functionINS0_4lessIvEEbEEEE10hipError_tPvRmT1_T2_T3_mmT4_T5_P12ihipStream_tbEUlRKyE_EESL_SP_SQ_mSR_SU_bEUlT_E_NS1_11comp_targetILNS1_3genE5ELNS1_11target_archE942ELNS1_3gpuE9ELNS1_3repE0EEENS1_30default_config_static_selectorELNS0_4arch9wavefront6targetE0EEEvSO_
                                        ; -- End function
	.section	.AMDGPU.csdata,"",@progbits
; Kernel info:
; codeLenInByte = 0
; NumSgprs: 0
; NumVgprs: 0
; ScratchSize: 0
; MemoryBound: 0
; FloatMode: 240
; IeeeMode: 1
; LDSByteSize: 0 bytes/workgroup (compile time only)
; SGPRBlocks: 0
; VGPRBlocks: 0
; NumSGPRsForWavesPerEU: 1
; NumVGPRsForWavesPerEU: 1
; Occupancy: 16
; WaveLimiterHint : 0
; COMPUTE_PGM_RSRC2:SCRATCH_EN: 0
; COMPUTE_PGM_RSRC2:USER_SGPR: 15
; COMPUTE_PGM_RSRC2:TRAP_HANDLER: 0
; COMPUTE_PGM_RSRC2:TGID_X_EN: 1
; COMPUTE_PGM_RSRC2:TGID_Y_EN: 0
; COMPUTE_PGM_RSRC2:TGID_Z_EN: 0
; COMPUTE_PGM_RSRC2:TIDIG_COMP_CNT: 0
	.section	.text._ZN7rocprim17ROCPRIM_400000_NS6detail17trampoline_kernelINS0_14default_configENS1_29binary_search_config_selectorIybEEZNS1_14transform_implILb0ES3_S5_N6thrust23THRUST_200600_302600_NS17counting_iteratorIyNS8_11use_defaultESA_SA_EEPbZNS1_13binary_searchIS3_S5_PySB_SC_NS1_16binary_search_opENS8_6detail16wrapped_functionINS0_4lessIvEEbEEEE10hipError_tPvRmT1_T2_T3_mmT4_T5_P12ihipStream_tbEUlRKyE_EESL_SP_SQ_mSR_SU_bEUlT_E_NS1_11comp_targetILNS1_3genE4ELNS1_11target_archE910ELNS1_3gpuE8ELNS1_3repE0EEENS1_30default_config_static_selectorELNS0_4arch9wavefront6targetE0EEEvSO_,"axG",@progbits,_ZN7rocprim17ROCPRIM_400000_NS6detail17trampoline_kernelINS0_14default_configENS1_29binary_search_config_selectorIybEEZNS1_14transform_implILb0ES3_S5_N6thrust23THRUST_200600_302600_NS17counting_iteratorIyNS8_11use_defaultESA_SA_EEPbZNS1_13binary_searchIS3_S5_PySB_SC_NS1_16binary_search_opENS8_6detail16wrapped_functionINS0_4lessIvEEbEEEE10hipError_tPvRmT1_T2_T3_mmT4_T5_P12ihipStream_tbEUlRKyE_EESL_SP_SQ_mSR_SU_bEUlT_E_NS1_11comp_targetILNS1_3genE4ELNS1_11target_archE910ELNS1_3gpuE8ELNS1_3repE0EEENS1_30default_config_static_selectorELNS0_4arch9wavefront6targetE0EEEvSO_,comdat
	.protected	_ZN7rocprim17ROCPRIM_400000_NS6detail17trampoline_kernelINS0_14default_configENS1_29binary_search_config_selectorIybEEZNS1_14transform_implILb0ES3_S5_N6thrust23THRUST_200600_302600_NS17counting_iteratorIyNS8_11use_defaultESA_SA_EEPbZNS1_13binary_searchIS3_S5_PySB_SC_NS1_16binary_search_opENS8_6detail16wrapped_functionINS0_4lessIvEEbEEEE10hipError_tPvRmT1_T2_T3_mmT4_T5_P12ihipStream_tbEUlRKyE_EESL_SP_SQ_mSR_SU_bEUlT_E_NS1_11comp_targetILNS1_3genE4ELNS1_11target_archE910ELNS1_3gpuE8ELNS1_3repE0EEENS1_30default_config_static_selectorELNS0_4arch9wavefront6targetE0EEEvSO_ ; -- Begin function _ZN7rocprim17ROCPRIM_400000_NS6detail17trampoline_kernelINS0_14default_configENS1_29binary_search_config_selectorIybEEZNS1_14transform_implILb0ES3_S5_N6thrust23THRUST_200600_302600_NS17counting_iteratorIyNS8_11use_defaultESA_SA_EEPbZNS1_13binary_searchIS3_S5_PySB_SC_NS1_16binary_search_opENS8_6detail16wrapped_functionINS0_4lessIvEEbEEEE10hipError_tPvRmT1_T2_T3_mmT4_T5_P12ihipStream_tbEUlRKyE_EESL_SP_SQ_mSR_SU_bEUlT_E_NS1_11comp_targetILNS1_3genE4ELNS1_11target_archE910ELNS1_3gpuE8ELNS1_3repE0EEENS1_30default_config_static_selectorELNS0_4arch9wavefront6targetE0EEEvSO_
	.globl	_ZN7rocprim17ROCPRIM_400000_NS6detail17trampoline_kernelINS0_14default_configENS1_29binary_search_config_selectorIybEEZNS1_14transform_implILb0ES3_S5_N6thrust23THRUST_200600_302600_NS17counting_iteratorIyNS8_11use_defaultESA_SA_EEPbZNS1_13binary_searchIS3_S5_PySB_SC_NS1_16binary_search_opENS8_6detail16wrapped_functionINS0_4lessIvEEbEEEE10hipError_tPvRmT1_T2_T3_mmT4_T5_P12ihipStream_tbEUlRKyE_EESL_SP_SQ_mSR_SU_bEUlT_E_NS1_11comp_targetILNS1_3genE4ELNS1_11target_archE910ELNS1_3gpuE8ELNS1_3repE0EEENS1_30default_config_static_selectorELNS0_4arch9wavefront6targetE0EEEvSO_
	.p2align	8
	.type	_ZN7rocprim17ROCPRIM_400000_NS6detail17trampoline_kernelINS0_14default_configENS1_29binary_search_config_selectorIybEEZNS1_14transform_implILb0ES3_S5_N6thrust23THRUST_200600_302600_NS17counting_iteratorIyNS8_11use_defaultESA_SA_EEPbZNS1_13binary_searchIS3_S5_PySB_SC_NS1_16binary_search_opENS8_6detail16wrapped_functionINS0_4lessIvEEbEEEE10hipError_tPvRmT1_T2_T3_mmT4_T5_P12ihipStream_tbEUlRKyE_EESL_SP_SQ_mSR_SU_bEUlT_E_NS1_11comp_targetILNS1_3genE4ELNS1_11target_archE910ELNS1_3gpuE8ELNS1_3repE0EEENS1_30default_config_static_selectorELNS0_4arch9wavefront6targetE0EEEvSO_,@function
_ZN7rocprim17ROCPRIM_400000_NS6detail17trampoline_kernelINS0_14default_configENS1_29binary_search_config_selectorIybEEZNS1_14transform_implILb0ES3_S5_N6thrust23THRUST_200600_302600_NS17counting_iteratorIyNS8_11use_defaultESA_SA_EEPbZNS1_13binary_searchIS3_S5_PySB_SC_NS1_16binary_search_opENS8_6detail16wrapped_functionINS0_4lessIvEEbEEEE10hipError_tPvRmT1_T2_T3_mmT4_T5_P12ihipStream_tbEUlRKyE_EESL_SP_SQ_mSR_SU_bEUlT_E_NS1_11comp_targetILNS1_3genE4ELNS1_11target_archE910ELNS1_3gpuE8ELNS1_3repE0EEENS1_30default_config_static_selectorELNS0_4arch9wavefront6targetE0EEEvSO_: ; @_ZN7rocprim17ROCPRIM_400000_NS6detail17trampoline_kernelINS0_14default_configENS1_29binary_search_config_selectorIybEEZNS1_14transform_implILb0ES3_S5_N6thrust23THRUST_200600_302600_NS17counting_iteratorIyNS8_11use_defaultESA_SA_EEPbZNS1_13binary_searchIS3_S5_PySB_SC_NS1_16binary_search_opENS8_6detail16wrapped_functionINS0_4lessIvEEbEEEE10hipError_tPvRmT1_T2_T3_mmT4_T5_P12ihipStream_tbEUlRKyE_EESL_SP_SQ_mSR_SU_bEUlT_E_NS1_11comp_targetILNS1_3genE4ELNS1_11target_archE910ELNS1_3gpuE8ELNS1_3repE0EEENS1_30default_config_static_selectorELNS0_4arch9wavefront6targetE0EEEvSO_
; %bb.0:
	.section	.rodata,"a",@progbits
	.p2align	6, 0x0
	.amdhsa_kernel _ZN7rocprim17ROCPRIM_400000_NS6detail17trampoline_kernelINS0_14default_configENS1_29binary_search_config_selectorIybEEZNS1_14transform_implILb0ES3_S5_N6thrust23THRUST_200600_302600_NS17counting_iteratorIyNS8_11use_defaultESA_SA_EEPbZNS1_13binary_searchIS3_S5_PySB_SC_NS1_16binary_search_opENS8_6detail16wrapped_functionINS0_4lessIvEEbEEEE10hipError_tPvRmT1_T2_T3_mmT4_T5_P12ihipStream_tbEUlRKyE_EESL_SP_SQ_mSR_SU_bEUlT_E_NS1_11comp_targetILNS1_3genE4ELNS1_11target_archE910ELNS1_3gpuE8ELNS1_3repE0EEENS1_30default_config_static_selectorELNS0_4arch9wavefront6targetE0EEEvSO_
		.amdhsa_group_segment_fixed_size 0
		.amdhsa_private_segment_fixed_size 0
		.amdhsa_kernarg_size 56
		.amdhsa_user_sgpr_count 15
		.amdhsa_user_sgpr_dispatch_ptr 0
		.amdhsa_user_sgpr_queue_ptr 0
		.amdhsa_user_sgpr_kernarg_segment_ptr 1
		.amdhsa_user_sgpr_dispatch_id 0
		.amdhsa_user_sgpr_private_segment_size 0
		.amdhsa_wavefront_size32 1
		.amdhsa_uses_dynamic_stack 0
		.amdhsa_enable_private_segment 0
		.amdhsa_system_sgpr_workgroup_id_x 1
		.amdhsa_system_sgpr_workgroup_id_y 0
		.amdhsa_system_sgpr_workgroup_id_z 0
		.amdhsa_system_sgpr_workgroup_info 0
		.amdhsa_system_vgpr_workitem_id 0
		.amdhsa_next_free_vgpr 1
		.amdhsa_next_free_sgpr 1
		.amdhsa_reserve_vcc 0
		.amdhsa_float_round_mode_32 0
		.amdhsa_float_round_mode_16_64 0
		.amdhsa_float_denorm_mode_32 3
		.amdhsa_float_denorm_mode_16_64 3
		.amdhsa_dx10_clamp 1
		.amdhsa_ieee_mode 1
		.amdhsa_fp16_overflow 0
		.amdhsa_workgroup_processor_mode 1
		.amdhsa_memory_ordered 1
		.amdhsa_forward_progress 0
		.amdhsa_shared_vgpr_count 0
		.amdhsa_exception_fp_ieee_invalid_op 0
		.amdhsa_exception_fp_denorm_src 0
		.amdhsa_exception_fp_ieee_div_zero 0
		.amdhsa_exception_fp_ieee_overflow 0
		.amdhsa_exception_fp_ieee_underflow 0
		.amdhsa_exception_fp_ieee_inexact 0
		.amdhsa_exception_int_div_zero 0
	.end_amdhsa_kernel
	.section	.text._ZN7rocprim17ROCPRIM_400000_NS6detail17trampoline_kernelINS0_14default_configENS1_29binary_search_config_selectorIybEEZNS1_14transform_implILb0ES3_S5_N6thrust23THRUST_200600_302600_NS17counting_iteratorIyNS8_11use_defaultESA_SA_EEPbZNS1_13binary_searchIS3_S5_PySB_SC_NS1_16binary_search_opENS8_6detail16wrapped_functionINS0_4lessIvEEbEEEE10hipError_tPvRmT1_T2_T3_mmT4_T5_P12ihipStream_tbEUlRKyE_EESL_SP_SQ_mSR_SU_bEUlT_E_NS1_11comp_targetILNS1_3genE4ELNS1_11target_archE910ELNS1_3gpuE8ELNS1_3repE0EEENS1_30default_config_static_selectorELNS0_4arch9wavefront6targetE0EEEvSO_,"axG",@progbits,_ZN7rocprim17ROCPRIM_400000_NS6detail17trampoline_kernelINS0_14default_configENS1_29binary_search_config_selectorIybEEZNS1_14transform_implILb0ES3_S5_N6thrust23THRUST_200600_302600_NS17counting_iteratorIyNS8_11use_defaultESA_SA_EEPbZNS1_13binary_searchIS3_S5_PySB_SC_NS1_16binary_search_opENS8_6detail16wrapped_functionINS0_4lessIvEEbEEEE10hipError_tPvRmT1_T2_T3_mmT4_T5_P12ihipStream_tbEUlRKyE_EESL_SP_SQ_mSR_SU_bEUlT_E_NS1_11comp_targetILNS1_3genE4ELNS1_11target_archE910ELNS1_3gpuE8ELNS1_3repE0EEENS1_30default_config_static_selectorELNS0_4arch9wavefront6targetE0EEEvSO_,comdat
.Lfunc_end192:
	.size	_ZN7rocprim17ROCPRIM_400000_NS6detail17trampoline_kernelINS0_14default_configENS1_29binary_search_config_selectorIybEEZNS1_14transform_implILb0ES3_S5_N6thrust23THRUST_200600_302600_NS17counting_iteratorIyNS8_11use_defaultESA_SA_EEPbZNS1_13binary_searchIS3_S5_PySB_SC_NS1_16binary_search_opENS8_6detail16wrapped_functionINS0_4lessIvEEbEEEE10hipError_tPvRmT1_T2_T3_mmT4_T5_P12ihipStream_tbEUlRKyE_EESL_SP_SQ_mSR_SU_bEUlT_E_NS1_11comp_targetILNS1_3genE4ELNS1_11target_archE910ELNS1_3gpuE8ELNS1_3repE0EEENS1_30default_config_static_selectorELNS0_4arch9wavefront6targetE0EEEvSO_, .Lfunc_end192-_ZN7rocprim17ROCPRIM_400000_NS6detail17trampoline_kernelINS0_14default_configENS1_29binary_search_config_selectorIybEEZNS1_14transform_implILb0ES3_S5_N6thrust23THRUST_200600_302600_NS17counting_iteratorIyNS8_11use_defaultESA_SA_EEPbZNS1_13binary_searchIS3_S5_PySB_SC_NS1_16binary_search_opENS8_6detail16wrapped_functionINS0_4lessIvEEbEEEE10hipError_tPvRmT1_T2_T3_mmT4_T5_P12ihipStream_tbEUlRKyE_EESL_SP_SQ_mSR_SU_bEUlT_E_NS1_11comp_targetILNS1_3genE4ELNS1_11target_archE910ELNS1_3gpuE8ELNS1_3repE0EEENS1_30default_config_static_selectorELNS0_4arch9wavefront6targetE0EEEvSO_
                                        ; -- End function
	.section	.AMDGPU.csdata,"",@progbits
; Kernel info:
; codeLenInByte = 0
; NumSgprs: 0
; NumVgprs: 0
; ScratchSize: 0
; MemoryBound: 0
; FloatMode: 240
; IeeeMode: 1
; LDSByteSize: 0 bytes/workgroup (compile time only)
; SGPRBlocks: 0
; VGPRBlocks: 0
; NumSGPRsForWavesPerEU: 1
; NumVGPRsForWavesPerEU: 1
; Occupancy: 16
; WaveLimiterHint : 0
; COMPUTE_PGM_RSRC2:SCRATCH_EN: 0
; COMPUTE_PGM_RSRC2:USER_SGPR: 15
; COMPUTE_PGM_RSRC2:TRAP_HANDLER: 0
; COMPUTE_PGM_RSRC2:TGID_X_EN: 1
; COMPUTE_PGM_RSRC2:TGID_Y_EN: 0
; COMPUTE_PGM_RSRC2:TGID_Z_EN: 0
; COMPUTE_PGM_RSRC2:TIDIG_COMP_CNT: 0
	.section	.text._ZN7rocprim17ROCPRIM_400000_NS6detail17trampoline_kernelINS0_14default_configENS1_29binary_search_config_selectorIybEEZNS1_14transform_implILb0ES3_S5_N6thrust23THRUST_200600_302600_NS17counting_iteratorIyNS8_11use_defaultESA_SA_EEPbZNS1_13binary_searchIS3_S5_PySB_SC_NS1_16binary_search_opENS8_6detail16wrapped_functionINS0_4lessIvEEbEEEE10hipError_tPvRmT1_T2_T3_mmT4_T5_P12ihipStream_tbEUlRKyE_EESL_SP_SQ_mSR_SU_bEUlT_E_NS1_11comp_targetILNS1_3genE3ELNS1_11target_archE908ELNS1_3gpuE7ELNS1_3repE0EEENS1_30default_config_static_selectorELNS0_4arch9wavefront6targetE0EEEvSO_,"axG",@progbits,_ZN7rocprim17ROCPRIM_400000_NS6detail17trampoline_kernelINS0_14default_configENS1_29binary_search_config_selectorIybEEZNS1_14transform_implILb0ES3_S5_N6thrust23THRUST_200600_302600_NS17counting_iteratorIyNS8_11use_defaultESA_SA_EEPbZNS1_13binary_searchIS3_S5_PySB_SC_NS1_16binary_search_opENS8_6detail16wrapped_functionINS0_4lessIvEEbEEEE10hipError_tPvRmT1_T2_T3_mmT4_T5_P12ihipStream_tbEUlRKyE_EESL_SP_SQ_mSR_SU_bEUlT_E_NS1_11comp_targetILNS1_3genE3ELNS1_11target_archE908ELNS1_3gpuE7ELNS1_3repE0EEENS1_30default_config_static_selectorELNS0_4arch9wavefront6targetE0EEEvSO_,comdat
	.protected	_ZN7rocprim17ROCPRIM_400000_NS6detail17trampoline_kernelINS0_14default_configENS1_29binary_search_config_selectorIybEEZNS1_14transform_implILb0ES3_S5_N6thrust23THRUST_200600_302600_NS17counting_iteratorIyNS8_11use_defaultESA_SA_EEPbZNS1_13binary_searchIS3_S5_PySB_SC_NS1_16binary_search_opENS8_6detail16wrapped_functionINS0_4lessIvEEbEEEE10hipError_tPvRmT1_T2_T3_mmT4_T5_P12ihipStream_tbEUlRKyE_EESL_SP_SQ_mSR_SU_bEUlT_E_NS1_11comp_targetILNS1_3genE3ELNS1_11target_archE908ELNS1_3gpuE7ELNS1_3repE0EEENS1_30default_config_static_selectorELNS0_4arch9wavefront6targetE0EEEvSO_ ; -- Begin function _ZN7rocprim17ROCPRIM_400000_NS6detail17trampoline_kernelINS0_14default_configENS1_29binary_search_config_selectorIybEEZNS1_14transform_implILb0ES3_S5_N6thrust23THRUST_200600_302600_NS17counting_iteratorIyNS8_11use_defaultESA_SA_EEPbZNS1_13binary_searchIS3_S5_PySB_SC_NS1_16binary_search_opENS8_6detail16wrapped_functionINS0_4lessIvEEbEEEE10hipError_tPvRmT1_T2_T3_mmT4_T5_P12ihipStream_tbEUlRKyE_EESL_SP_SQ_mSR_SU_bEUlT_E_NS1_11comp_targetILNS1_3genE3ELNS1_11target_archE908ELNS1_3gpuE7ELNS1_3repE0EEENS1_30default_config_static_selectorELNS0_4arch9wavefront6targetE0EEEvSO_
	.globl	_ZN7rocprim17ROCPRIM_400000_NS6detail17trampoline_kernelINS0_14default_configENS1_29binary_search_config_selectorIybEEZNS1_14transform_implILb0ES3_S5_N6thrust23THRUST_200600_302600_NS17counting_iteratorIyNS8_11use_defaultESA_SA_EEPbZNS1_13binary_searchIS3_S5_PySB_SC_NS1_16binary_search_opENS8_6detail16wrapped_functionINS0_4lessIvEEbEEEE10hipError_tPvRmT1_T2_T3_mmT4_T5_P12ihipStream_tbEUlRKyE_EESL_SP_SQ_mSR_SU_bEUlT_E_NS1_11comp_targetILNS1_3genE3ELNS1_11target_archE908ELNS1_3gpuE7ELNS1_3repE0EEENS1_30default_config_static_selectorELNS0_4arch9wavefront6targetE0EEEvSO_
	.p2align	8
	.type	_ZN7rocprim17ROCPRIM_400000_NS6detail17trampoline_kernelINS0_14default_configENS1_29binary_search_config_selectorIybEEZNS1_14transform_implILb0ES3_S5_N6thrust23THRUST_200600_302600_NS17counting_iteratorIyNS8_11use_defaultESA_SA_EEPbZNS1_13binary_searchIS3_S5_PySB_SC_NS1_16binary_search_opENS8_6detail16wrapped_functionINS0_4lessIvEEbEEEE10hipError_tPvRmT1_T2_T3_mmT4_T5_P12ihipStream_tbEUlRKyE_EESL_SP_SQ_mSR_SU_bEUlT_E_NS1_11comp_targetILNS1_3genE3ELNS1_11target_archE908ELNS1_3gpuE7ELNS1_3repE0EEENS1_30default_config_static_selectorELNS0_4arch9wavefront6targetE0EEEvSO_,@function
_ZN7rocprim17ROCPRIM_400000_NS6detail17trampoline_kernelINS0_14default_configENS1_29binary_search_config_selectorIybEEZNS1_14transform_implILb0ES3_S5_N6thrust23THRUST_200600_302600_NS17counting_iteratorIyNS8_11use_defaultESA_SA_EEPbZNS1_13binary_searchIS3_S5_PySB_SC_NS1_16binary_search_opENS8_6detail16wrapped_functionINS0_4lessIvEEbEEEE10hipError_tPvRmT1_T2_T3_mmT4_T5_P12ihipStream_tbEUlRKyE_EESL_SP_SQ_mSR_SU_bEUlT_E_NS1_11comp_targetILNS1_3genE3ELNS1_11target_archE908ELNS1_3gpuE7ELNS1_3repE0EEENS1_30default_config_static_selectorELNS0_4arch9wavefront6targetE0EEEvSO_: ; @_ZN7rocprim17ROCPRIM_400000_NS6detail17trampoline_kernelINS0_14default_configENS1_29binary_search_config_selectorIybEEZNS1_14transform_implILb0ES3_S5_N6thrust23THRUST_200600_302600_NS17counting_iteratorIyNS8_11use_defaultESA_SA_EEPbZNS1_13binary_searchIS3_S5_PySB_SC_NS1_16binary_search_opENS8_6detail16wrapped_functionINS0_4lessIvEEbEEEE10hipError_tPvRmT1_T2_T3_mmT4_T5_P12ihipStream_tbEUlRKyE_EESL_SP_SQ_mSR_SU_bEUlT_E_NS1_11comp_targetILNS1_3genE3ELNS1_11target_archE908ELNS1_3gpuE7ELNS1_3repE0EEENS1_30default_config_static_selectorELNS0_4arch9wavefront6targetE0EEEvSO_
; %bb.0:
	.section	.rodata,"a",@progbits
	.p2align	6, 0x0
	.amdhsa_kernel _ZN7rocprim17ROCPRIM_400000_NS6detail17trampoline_kernelINS0_14default_configENS1_29binary_search_config_selectorIybEEZNS1_14transform_implILb0ES3_S5_N6thrust23THRUST_200600_302600_NS17counting_iteratorIyNS8_11use_defaultESA_SA_EEPbZNS1_13binary_searchIS3_S5_PySB_SC_NS1_16binary_search_opENS8_6detail16wrapped_functionINS0_4lessIvEEbEEEE10hipError_tPvRmT1_T2_T3_mmT4_T5_P12ihipStream_tbEUlRKyE_EESL_SP_SQ_mSR_SU_bEUlT_E_NS1_11comp_targetILNS1_3genE3ELNS1_11target_archE908ELNS1_3gpuE7ELNS1_3repE0EEENS1_30default_config_static_selectorELNS0_4arch9wavefront6targetE0EEEvSO_
		.amdhsa_group_segment_fixed_size 0
		.amdhsa_private_segment_fixed_size 0
		.amdhsa_kernarg_size 56
		.amdhsa_user_sgpr_count 15
		.amdhsa_user_sgpr_dispatch_ptr 0
		.amdhsa_user_sgpr_queue_ptr 0
		.amdhsa_user_sgpr_kernarg_segment_ptr 1
		.amdhsa_user_sgpr_dispatch_id 0
		.amdhsa_user_sgpr_private_segment_size 0
		.amdhsa_wavefront_size32 1
		.amdhsa_uses_dynamic_stack 0
		.amdhsa_enable_private_segment 0
		.amdhsa_system_sgpr_workgroup_id_x 1
		.amdhsa_system_sgpr_workgroup_id_y 0
		.amdhsa_system_sgpr_workgroup_id_z 0
		.amdhsa_system_sgpr_workgroup_info 0
		.amdhsa_system_vgpr_workitem_id 0
		.amdhsa_next_free_vgpr 1
		.amdhsa_next_free_sgpr 1
		.amdhsa_reserve_vcc 0
		.amdhsa_float_round_mode_32 0
		.amdhsa_float_round_mode_16_64 0
		.amdhsa_float_denorm_mode_32 3
		.amdhsa_float_denorm_mode_16_64 3
		.amdhsa_dx10_clamp 1
		.amdhsa_ieee_mode 1
		.amdhsa_fp16_overflow 0
		.amdhsa_workgroup_processor_mode 1
		.amdhsa_memory_ordered 1
		.amdhsa_forward_progress 0
		.amdhsa_shared_vgpr_count 0
		.amdhsa_exception_fp_ieee_invalid_op 0
		.amdhsa_exception_fp_denorm_src 0
		.amdhsa_exception_fp_ieee_div_zero 0
		.amdhsa_exception_fp_ieee_overflow 0
		.amdhsa_exception_fp_ieee_underflow 0
		.amdhsa_exception_fp_ieee_inexact 0
		.amdhsa_exception_int_div_zero 0
	.end_amdhsa_kernel
	.section	.text._ZN7rocprim17ROCPRIM_400000_NS6detail17trampoline_kernelINS0_14default_configENS1_29binary_search_config_selectorIybEEZNS1_14transform_implILb0ES3_S5_N6thrust23THRUST_200600_302600_NS17counting_iteratorIyNS8_11use_defaultESA_SA_EEPbZNS1_13binary_searchIS3_S5_PySB_SC_NS1_16binary_search_opENS8_6detail16wrapped_functionINS0_4lessIvEEbEEEE10hipError_tPvRmT1_T2_T3_mmT4_T5_P12ihipStream_tbEUlRKyE_EESL_SP_SQ_mSR_SU_bEUlT_E_NS1_11comp_targetILNS1_3genE3ELNS1_11target_archE908ELNS1_3gpuE7ELNS1_3repE0EEENS1_30default_config_static_selectorELNS0_4arch9wavefront6targetE0EEEvSO_,"axG",@progbits,_ZN7rocprim17ROCPRIM_400000_NS6detail17trampoline_kernelINS0_14default_configENS1_29binary_search_config_selectorIybEEZNS1_14transform_implILb0ES3_S5_N6thrust23THRUST_200600_302600_NS17counting_iteratorIyNS8_11use_defaultESA_SA_EEPbZNS1_13binary_searchIS3_S5_PySB_SC_NS1_16binary_search_opENS8_6detail16wrapped_functionINS0_4lessIvEEbEEEE10hipError_tPvRmT1_T2_T3_mmT4_T5_P12ihipStream_tbEUlRKyE_EESL_SP_SQ_mSR_SU_bEUlT_E_NS1_11comp_targetILNS1_3genE3ELNS1_11target_archE908ELNS1_3gpuE7ELNS1_3repE0EEENS1_30default_config_static_selectorELNS0_4arch9wavefront6targetE0EEEvSO_,comdat
.Lfunc_end193:
	.size	_ZN7rocprim17ROCPRIM_400000_NS6detail17trampoline_kernelINS0_14default_configENS1_29binary_search_config_selectorIybEEZNS1_14transform_implILb0ES3_S5_N6thrust23THRUST_200600_302600_NS17counting_iteratorIyNS8_11use_defaultESA_SA_EEPbZNS1_13binary_searchIS3_S5_PySB_SC_NS1_16binary_search_opENS8_6detail16wrapped_functionINS0_4lessIvEEbEEEE10hipError_tPvRmT1_T2_T3_mmT4_T5_P12ihipStream_tbEUlRKyE_EESL_SP_SQ_mSR_SU_bEUlT_E_NS1_11comp_targetILNS1_3genE3ELNS1_11target_archE908ELNS1_3gpuE7ELNS1_3repE0EEENS1_30default_config_static_selectorELNS0_4arch9wavefront6targetE0EEEvSO_, .Lfunc_end193-_ZN7rocprim17ROCPRIM_400000_NS6detail17trampoline_kernelINS0_14default_configENS1_29binary_search_config_selectorIybEEZNS1_14transform_implILb0ES3_S5_N6thrust23THRUST_200600_302600_NS17counting_iteratorIyNS8_11use_defaultESA_SA_EEPbZNS1_13binary_searchIS3_S5_PySB_SC_NS1_16binary_search_opENS8_6detail16wrapped_functionINS0_4lessIvEEbEEEE10hipError_tPvRmT1_T2_T3_mmT4_T5_P12ihipStream_tbEUlRKyE_EESL_SP_SQ_mSR_SU_bEUlT_E_NS1_11comp_targetILNS1_3genE3ELNS1_11target_archE908ELNS1_3gpuE7ELNS1_3repE0EEENS1_30default_config_static_selectorELNS0_4arch9wavefront6targetE0EEEvSO_
                                        ; -- End function
	.section	.AMDGPU.csdata,"",@progbits
; Kernel info:
; codeLenInByte = 0
; NumSgprs: 0
; NumVgprs: 0
; ScratchSize: 0
; MemoryBound: 0
; FloatMode: 240
; IeeeMode: 1
; LDSByteSize: 0 bytes/workgroup (compile time only)
; SGPRBlocks: 0
; VGPRBlocks: 0
; NumSGPRsForWavesPerEU: 1
; NumVGPRsForWavesPerEU: 1
; Occupancy: 16
; WaveLimiterHint : 0
; COMPUTE_PGM_RSRC2:SCRATCH_EN: 0
; COMPUTE_PGM_RSRC2:USER_SGPR: 15
; COMPUTE_PGM_RSRC2:TRAP_HANDLER: 0
; COMPUTE_PGM_RSRC2:TGID_X_EN: 1
; COMPUTE_PGM_RSRC2:TGID_Y_EN: 0
; COMPUTE_PGM_RSRC2:TGID_Z_EN: 0
; COMPUTE_PGM_RSRC2:TIDIG_COMP_CNT: 0
	.section	.text._ZN7rocprim17ROCPRIM_400000_NS6detail17trampoline_kernelINS0_14default_configENS1_29binary_search_config_selectorIybEEZNS1_14transform_implILb0ES3_S5_N6thrust23THRUST_200600_302600_NS17counting_iteratorIyNS8_11use_defaultESA_SA_EEPbZNS1_13binary_searchIS3_S5_PySB_SC_NS1_16binary_search_opENS8_6detail16wrapped_functionINS0_4lessIvEEbEEEE10hipError_tPvRmT1_T2_T3_mmT4_T5_P12ihipStream_tbEUlRKyE_EESL_SP_SQ_mSR_SU_bEUlT_E_NS1_11comp_targetILNS1_3genE2ELNS1_11target_archE906ELNS1_3gpuE6ELNS1_3repE0EEENS1_30default_config_static_selectorELNS0_4arch9wavefront6targetE0EEEvSO_,"axG",@progbits,_ZN7rocprim17ROCPRIM_400000_NS6detail17trampoline_kernelINS0_14default_configENS1_29binary_search_config_selectorIybEEZNS1_14transform_implILb0ES3_S5_N6thrust23THRUST_200600_302600_NS17counting_iteratorIyNS8_11use_defaultESA_SA_EEPbZNS1_13binary_searchIS3_S5_PySB_SC_NS1_16binary_search_opENS8_6detail16wrapped_functionINS0_4lessIvEEbEEEE10hipError_tPvRmT1_T2_T3_mmT4_T5_P12ihipStream_tbEUlRKyE_EESL_SP_SQ_mSR_SU_bEUlT_E_NS1_11comp_targetILNS1_3genE2ELNS1_11target_archE906ELNS1_3gpuE6ELNS1_3repE0EEENS1_30default_config_static_selectorELNS0_4arch9wavefront6targetE0EEEvSO_,comdat
	.protected	_ZN7rocprim17ROCPRIM_400000_NS6detail17trampoline_kernelINS0_14default_configENS1_29binary_search_config_selectorIybEEZNS1_14transform_implILb0ES3_S5_N6thrust23THRUST_200600_302600_NS17counting_iteratorIyNS8_11use_defaultESA_SA_EEPbZNS1_13binary_searchIS3_S5_PySB_SC_NS1_16binary_search_opENS8_6detail16wrapped_functionINS0_4lessIvEEbEEEE10hipError_tPvRmT1_T2_T3_mmT4_T5_P12ihipStream_tbEUlRKyE_EESL_SP_SQ_mSR_SU_bEUlT_E_NS1_11comp_targetILNS1_3genE2ELNS1_11target_archE906ELNS1_3gpuE6ELNS1_3repE0EEENS1_30default_config_static_selectorELNS0_4arch9wavefront6targetE0EEEvSO_ ; -- Begin function _ZN7rocprim17ROCPRIM_400000_NS6detail17trampoline_kernelINS0_14default_configENS1_29binary_search_config_selectorIybEEZNS1_14transform_implILb0ES3_S5_N6thrust23THRUST_200600_302600_NS17counting_iteratorIyNS8_11use_defaultESA_SA_EEPbZNS1_13binary_searchIS3_S5_PySB_SC_NS1_16binary_search_opENS8_6detail16wrapped_functionINS0_4lessIvEEbEEEE10hipError_tPvRmT1_T2_T3_mmT4_T5_P12ihipStream_tbEUlRKyE_EESL_SP_SQ_mSR_SU_bEUlT_E_NS1_11comp_targetILNS1_3genE2ELNS1_11target_archE906ELNS1_3gpuE6ELNS1_3repE0EEENS1_30default_config_static_selectorELNS0_4arch9wavefront6targetE0EEEvSO_
	.globl	_ZN7rocprim17ROCPRIM_400000_NS6detail17trampoline_kernelINS0_14default_configENS1_29binary_search_config_selectorIybEEZNS1_14transform_implILb0ES3_S5_N6thrust23THRUST_200600_302600_NS17counting_iteratorIyNS8_11use_defaultESA_SA_EEPbZNS1_13binary_searchIS3_S5_PySB_SC_NS1_16binary_search_opENS8_6detail16wrapped_functionINS0_4lessIvEEbEEEE10hipError_tPvRmT1_T2_T3_mmT4_T5_P12ihipStream_tbEUlRKyE_EESL_SP_SQ_mSR_SU_bEUlT_E_NS1_11comp_targetILNS1_3genE2ELNS1_11target_archE906ELNS1_3gpuE6ELNS1_3repE0EEENS1_30default_config_static_selectorELNS0_4arch9wavefront6targetE0EEEvSO_
	.p2align	8
	.type	_ZN7rocprim17ROCPRIM_400000_NS6detail17trampoline_kernelINS0_14default_configENS1_29binary_search_config_selectorIybEEZNS1_14transform_implILb0ES3_S5_N6thrust23THRUST_200600_302600_NS17counting_iteratorIyNS8_11use_defaultESA_SA_EEPbZNS1_13binary_searchIS3_S5_PySB_SC_NS1_16binary_search_opENS8_6detail16wrapped_functionINS0_4lessIvEEbEEEE10hipError_tPvRmT1_T2_T3_mmT4_T5_P12ihipStream_tbEUlRKyE_EESL_SP_SQ_mSR_SU_bEUlT_E_NS1_11comp_targetILNS1_3genE2ELNS1_11target_archE906ELNS1_3gpuE6ELNS1_3repE0EEENS1_30default_config_static_selectorELNS0_4arch9wavefront6targetE0EEEvSO_,@function
_ZN7rocprim17ROCPRIM_400000_NS6detail17trampoline_kernelINS0_14default_configENS1_29binary_search_config_selectorIybEEZNS1_14transform_implILb0ES3_S5_N6thrust23THRUST_200600_302600_NS17counting_iteratorIyNS8_11use_defaultESA_SA_EEPbZNS1_13binary_searchIS3_S5_PySB_SC_NS1_16binary_search_opENS8_6detail16wrapped_functionINS0_4lessIvEEbEEEE10hipError_tPvRmT1_T2_T3_mmT4_T5_P12ihipStream_tbEUlRKyE_EESL_SP_SQ_mSR_SU_bEUlT_E_NS1_11comp_targetILNS1_3genE2ELNS1_11target_archE906ELNS1_3gpuE6ELNS1_3repE0EEENS1_30default_config_static_selectorELNS0_4arch9wavefront6targetE0EEEvSO_: ; @_ZN7rocprim17ROCPRIM_400000_NS6detail17trampoline_kernelINS0_14default_configENS1_29binary_search_config_selectorIybEEZNS1_14transform_implILb0ES3_S5_N6thrust23THRUST_200600_302600_NS17counting_iteratorIyNS8_11use_defaultESA_SA_EEPbZNS1_13binary_searchIS3_S5_PySB_SC_NS1_16binary_search_opENS8_6detail16wrapped_functionINS0_4lessIvEEbEEEE10hipError_tPvRmT1_T2_T3_mmT4_T5_P12ihipStream_tbEUlRKyE_EESL_SP_SQ_mSR_SU_bEUlT_E_NS1_11comp_targetILNS1_3genE2ELNS1_11target_archE906ELNS1_3gpuE6ELNS1_3repE0EEENS1_30default_config_static_selectorELNS0_4arch9wavefront6targetE0EEEvSO_
; %bb.0:
	.section	.rodata,"a",@progbits
	.p2align	6, 0x0
	.amdhsa_kernel _ZN7rocprim17ROCPRIM_400000_NS6detail17trampoline_kernelINS0_14default_configENS1_29binary_search_config_selectorIybEEZNS1_14transform_implILb0ES3_S5_N6thrust23THRUST_200600_302600_NS17counting_iteratorIyNS8_11use_defaultESA_SA_EEPbZNS1_13binary_searchIS3_S5_PySB_SC_NS1_16binary_search_opENS8_6detail16wrapped_functionINS0_4lessIvEEbEEEE10hipError_tPvRmT1_T2_T3_mmT4_T5_P12ihipStream_tbEUlRKyE_EESL_SP_SQ_mSR_SU_bEUlT_E_NS1_11comp_targetILNS1_3genE2ELNS1_11target_archE906ELNS1_3gpuE6ELNS1_3repE0EEENS1_30default_config_static_selectorELNS0_4arch9wavefront6targetE0EEEvSO_
		.amdhsa_group_segment_fixed_size 0
		.amdhsa_private_segment_fixed_size 0
		.amdhsa_kernarg_size 56
		.amdhsa_user_sgpr_count 15
		.amdhsa_user_sgpr_dispatch_ptr 0
		.amdhsa_user_sgpr_queue_ptr 0
		.amdhsa_user_sgpr_kernarg_segment_ptr 1
		.amdhsa_user_sgpr_dispatch_id 0
		.amdhsa_user_sgpr_private_segment_size 0
		.amdhsa_wavefront_size32 1
		.amdhsa_uses_dynamic_stack 0
		.amdhsa_enable_private_segment 0
		.amdhsa_system_sgpr_workgroup_id_x 1
		.amdhsa_system_sgpr_workgroup_id_y 0
		.amdhsa_system_sgpr_workgroup_id_z 0
		.amdhsa_system_sgpr_workgroup_info 0
		.amdhsa_system_vgpr_workitem_id 0
		.amdhsa_next_free_vgpr 1
		.amdhsa_next_free_sgpr 1
		.amdhsa_reserve_vcc 0
		.amdhsa_float_round_mode_32 0
		.amdhsa_float_round_mode_16_64 0
		.amdhsa_float_denorm_mode_32 3
		.amdhsa_float_denorm_mode_16_64 3
		.amdhsa_dx10_clamp 1
		.amdhsa_ieee_mode 1
		.amdhsa_fp16_overflow 0
		.amdhsa_workgroup_processor_mode 1
		.amdhsa_memory_ordered 1
		.amdhsa_forward_progress 0
		.amdhsa_shared_vgpr_count 0
		.amdhsa_exception_fp_ieee_invalid_op 0
		.amdhsa_exception_fp_denorm_src 0
		.amdhsa_exception_fp_ieee_div_zero 0
		.amdhsa_exception_fp_ieee_overflow 0
		.amdhsa_exception_fp_ieee_underflow 0
		.amdhsa_exception_fp_ieee_inexact 0
		.amdhsa_exception_int_div_zero 0
	.end_amdhsa_kernel
	.section	.text._ZN7rocprim17ROCPRIM_400000_NS6detail17trampoline_kernelINS0_14default_configENS1_29binary_search_config_selectorIybEEZNS1_14transform_implILb0ES3_S5_N6thrust23THRUST_200600_302600_NS17counting_iteratorIyNS8_11use_defaultESA_SA_EEPbZNS1_13binary_searchIS3_S5_PySB_SC_NS1_16binary_search_opENS8_6detail16wrapped_functionINS0_4lessIvEEbEEEE10hipError_tPvRmT1_T2_T3_mmT4_T5_P12ihipStream_tbEUlRKyE_EESL_SP_SQ_mSR_SU_bEUlT_E_NS1_11comp_targetILNS1_3genE2ELNS1_11target_archE906ELNS1_3gpuE6ELNS1_3repE0EEENS1_30default_config_static_selectorELNS0_4arch9wavefront6targetE0EEEvSO_,"axG",@progbits,_ZN7rocprim17ROCPRIM_400000_NS6detail17trampoline_kernelINS0_14default_configENS1_29binary_search_config_selectorIybEEZNS1_14transform_implILb0ES3_S5_N6thrust23THRUST_200600_302600_NS17counting_iteratorIyNS8_11use_defaultESA_SA_EEPbZNS1_13binary_searchIS3_S5_PySB_SC_NS1_16binary_search_opENS8_6detail16wrapped_functionINS0_4lessIvEEbEEEE10hipError_tPvRmT1_T2_T3_mmT4_T5_P12ihipStream_tbEUlRKyE_EESL_SP_SQ_mSR_SU_bEUlT_E_NS1_11comp_targetILNS1_3genE2ELNS1_11target_archE906ELNS1_3gpuE6ELNS1_3repE0EEENS1_30default_config_static_selectorELNS0_4arch9wavefront6targetE0EEEvSO_,comdat
.Lfunc_end194:
	.size	_ZN7rocprim17ROCPRIM_400000_NS6detail17trampoline_kernelINS0_14default_configENS1_29binary_search_config_selectorIybEEZNS1_14transform_implILb0ES3_S5_N6thrust23THRUST_200600_302600_NS17counting_iteratorIyNS8_11use_defaultESA_SA_EEPbZNS1_13binary_searchIS3_S5_PySB_SC_NS1_16binary_search_opENS8_6detail16wrapped_functionINS0_4lessIvEEbEEEE10hipError_tPvRmT1_T2_T3_mmT4_T5_P12ihipStream_tbEUlRKyE_EESL_SP_SQ_mSR_SU_bEUlT_E_NS1_11comp_targetILNS1_3genE2ELNS1_11target_archE906ELNS1_3gpuE6ELNS1_3repE0EEENS1_30default_config_static_selectorELNS0_4arch9wavefront6targetE0EEEvSO_, .Lfunc_end194-_ZN7rocprim17ROCPRIM_400000_NS6detail17trampoline_kernelINS0_14default_configENS1_29binary_search_config_selectorIybEEZNS1_14transform_implILb0ES3_S5_N6thrust23THRUST_200600_302600_NS17counting_iteratorIyNS8_11use_defaultESA_SA_EEPbZNS1_13binary_searchIS3_S5_PySB_SC_NS1_16binary_search_opENS8_6detail16wrapped_functionINS0_4lessIvEEbEEEE10hipError_tPvRmT1_T2_T3_mmT4_T5_P12ihipStream_tbEUlRKyE_EESL_SP_SQ_mSR_SU_bEUlT_E_NS1_11comp_targetILNS1_3genE2ELNS1_11target_archE906ELNS1_3gpuE6ELNS1_3repE0EEENS1_30default_config_static_selectorELNS0_4arch9wavefront6targetE0EEEvSO_
                                        ; -- End function
	.section	.AMDGPU.csdata,"",@progbits
; Kernel info:
; codeLenInByte = 0
; NumSgprs: 0
; NumVgprs: 0
; ScratchSize: 0
; MemoryBound: 0
; FloatMode: 240
; IeeeMode: 1
; LDSByteSize: 0 bytes/workgroup (compile time only)
; SGPRBlocks: 0
; VGPRBlocks: 0
; NumSGPRsForWavesPerEU: 1
; NumVGPRsForWavesPerEU: 1
; Occupancy: 16
; WaveLimiterHint : 0
; COMPUTE_PGM_RSRC2:SCRATCH_EN: 0
; COMPUTE_PGM_RSRC2:USER_SGPR: 15
; COMPUTE_PGM_RSRC2:TRAP_HANDLER: 0
; COMPUTE_PGM_RSRC2:TGID_X_EN: 1
; COMPUTE_PGM_RSRC2:TGID_Y_EN: 0
; COMPUTE_PGM_RSRC2:TGID_Z_EN: 0
; COMPUTE_PGM_RSRC2:TIDIG_COMP_CNT: 0
	.section	.text._ZN7rocprim17ROCPRIM_400000_NS6detail17trampoline_kernelINS0_14default_configENS1_29binary_search_config_selectorIybEEZNS1_14transform_implILb0ES3_S5_N6thrust23THRUST_200600_302600_NS17counting_iteratorIyNS8_11use_defaultESA_SA_EEPbZNS1_13binary_searchIS3_S5_PySB_SC_NS1_16binary_search_opENS8_6detail16wrapped_functionINS0_4lessIvEEbEEEE10hipError_tPvRmT1_T2_T3_mmT4_T5_P12ihipStream_tbEUlRKyE_EESL_SP_SQ_mSR_SU_bEUlT_E_NS1_11comp_targetILNS1_3genE10ELNS1_11target_archE1201ELNS1_3gpuE5ELNS1_3repE0EEENS1_30default_config_static_selectorELNS0_4arch9wavefront6targetE0EEEvSO_,"axG",@progbits,_ZN7rocprim17ROCPRIM_400000_NS6detail17trampoline_kernelINS0_14default_configENS1_29binary_search_config_selectorIybEEZNS1_14transform_implILb0ES3_S5_N6thrust23THRUST_200600_302600_NS17counting_iteratorIyNS8_11use_defaultESA_SA_EEPbZNS1_13binary_searchIS3_S5_PySB_SC_NS1_16binary_search_opENS8_6detail16wrapped_functionINS0_4lessIvEEbEEEE10hipError_tPvRmT1_T2_T3_mmT4_T5_P12ihipStream_tbEUlRKyE_EESL_SP_SQ_mSR_SU_bEUlT_E_NS1_11comp_targetILNS1_3genE10ELNS1_11target_archE1201ELNS1_3gpuE5ELNS1_3repE0EEENS1_30default_config_static_selectorELNS0_4arch9wavefront6targetE0EEEvSO_,comdat
	.protected	_ZN7rocprim17ROCPRIM_400000_NS6detail17trampoline_kernelINS0_14default_configENS1_29binary_search_config_selectorIybEEZNS1_14transform_implILb0ES3_S5_N6thrust23THRUST_200600_302600_NS17counting_iteratorIyNS8_11use_defaultESA_SA_EEPbZNS1_13binary_searchIS3_S5_PySB_SC_NS1_16binary_search_opENS8_6detail16wrapped_functionINS0_4lessIvEEbEEEE10hipError_tPvRmT1_T2_T3_mmT4_T5_P12ihipStream_tbEUlRKyE_EESL_SP_SQ_mSR_SU_bEUlT_E_NS1_11comp_targetILNS1_3genE10ELNS1_11target_archE1201ELNS1_3gpuE5ELNS1_3repE0EEENS1_30default_config_static_selectorELNS0_4arch9wavefront6targetE0EEEvSO_ ; -- Begin function _ZN7rocprim17ROCPRIM_400000_NS6detail17trampoline_kernelINS0_14default_configENS1_29binary_search_config_selectorIybEEZNS1_14transform_implILb0ES3_S5_N6thrust23THRUST_200600_302600_NS17counting_iteratorIyNS8_11use_defaultESA_SA_EEPbZNS1_13binary_searchIS3_S5_PySB_SC_NS1_16binary_search_opENS8_6detail16wrapped_functionINS0_4lessIvEEbEEEE10hipError_tPvRmT1_T2_T3_mmT4_T5_P12ihipStream_tbEUlRKyE_EESL_SP_SQ_mSR_SU_bEUlT_E_NS1_11comp_targetILNS1_3genE10ELNS1_11target_archE1201ELNS1_3gpuE5ELNS1_3repE0EEENS1_30default_config_static_selectorELNS0_4arch9wavefront6targetE0EEEvSO_
	.globl	_ZN7rocprim17ROCPRIM_400000_NS6detail17trampoline_kernelINS0_14default_configENS1_29binary_search_config_selectorIybEEZNS1_14transform_implILb0ES3_S5_N6thrust23THRUST_200600_302600_NS17counting_iteratorIyNS8_11use_defaultESA_SA_EEPbZNS1_13binary_searchIS3_S5_PySB_SC_NS1_16binary_search_opENS8_6detail16wrapped_functionINS0_4lessIvEEbEEEE10hipError_tPvRmT1_T2_T3_mmT4_T5_P12ihipStream_tbEUlRKyE_EESL_SP_SQ_mSR_SU_bEUlT_E_NS1_11comp_targetILNS1_3genE10ELNS1_11target_archE1201ELNS1_3gpuE5ELNS1_3repE0EEENS1_30default_config_static_selectorELNS0_4arch9wavefront6targetE0EEEvSO_
	.p2align	8
	.type	_ZN7rocprim17ROCPRIM_400000_NS6detail17trampoline_kernelINS0_14default_configENS1_29binary_search_config_selectorIybEEZNS1_14transform_implILb0ES3_S5_N6thrust23THRUST_200600_302600_NS17counting_iteratorIyNS8_11use_defaultESA_SA_EEPbZNS1_13binary_searchIS3_S5_PySB_SC_NS1_16binary_search_opENS8_6detail16wrapped_functionINS0_4lessIvEEbEEEE10hipError_tPvRmT1_T2_T3_mmT4_T5_P12ihipStream_tbEUlRKyE_EESL_SP_SQ_mSR_SU_bEUlT_E_NS1_11comp_targetILNS1_3genE10ELNS1_11target_archE1201ELNS1_3gpuE5ELNS1_3repE0EEENS1_30default_config_static_selectorELNS0_4arch9wavefront6targetE0EEEvSO_,@function
_ZN7rocprim17ROCPRIM_400000_NS6detail17trampoline_kernelINS0_14default_configENS1_29binary_search_config_selectorIybEEZNS1_14transform_implILb0ES3_S5_N6thrust23THRUST_200600_302600_NS17counting_iteratorIyNS8_11use_defaultESA_SA_EEPbZNS1_13binary_searchIS3_S5_PySB_SC_NS1_16binary_search_opENS8_6detail16wrapped_functionINS0_4lessIvEEbEEEE10hipError_tPvRmT1_T2_T3_mmT4_T5_P12ihipStream_tbEUlRKyE_EESL_SP_SQ_mSR_SU_bEUlT_E_NS1_11comp_targetILNS1_3genE10ELNS1_11target_archE1201ELNS1_3gpuE5ELNS1_3repE0EEENS1_30default_config_static_selectorELNS0_4arch9wavefront6targetE0EEEvSO_: ; @_ZN7rocprim17ROCPRIM_400000_NS6detail17trampoline_kernelINS0_14default_configENS1_29binary_search_config_selectorIybEEZNS1_14transform_implILb0ES3_S5_N6thrust23THRUST_200600_302600_NS17counting_iteratorIyNS8_11use_defaultESA_SA_EEPbZNS1_13binary_searchIS3_S5_PySB_SC_NS1_16binary_search_opENS8_6detail16wrapped_functionINS0_4lessIvEEbEEEE10hipError_tPvRmT1_T2_T3_mmT4_T5_P12ihipStream_tbEUlRKyE_EESL_SP_SQ_mSR_SU_bEUlT_E_NS1_11comp_targetILNS1_3genE10ELNS1_11target_archE1201ELNS1_3gpuE5ELNS1_3repE0EEENS1_30default_config_static_selectorELNS0_4arch9wavefront6targetE0EEEvSO_
; %bb.0:
	.section	.rodata,"a",@progbits
	.p2align	6, 0x0
	.amdhsa_kernel _ZN7rocprim17ROCPRIM_400000_NS6detail17trampoline_kernelINS0_14default_configENS1_29binary_search_config_selectorIybEEZNS1_14transform_implILb0ES3_S5_N6thrust23THRUST_200600_302600_NS17counting_iteratorIyNS8_11use_defaultESA_SA_EEPbZNS1_13binary_searchIS3_S5_PySB_SC_NS1_16binary_search_opENS8_6detail16wrapped_functionINS0_4lessIvEEbEEEE10hipError_tPvRmT1_T2_T3_mmT4_T5_P12ihipStream_tbEUlRKyE_EESL_SP_SQ_mSR_SU_bEUlT_E_NS1_11comp_targetILNS1_3genE10ELNS1_11target_archE1201ELNS1_3gpuE5ELNS1_3repE0EEENS1_30default_config_static_selectorELNS0_4arch9wavefront6targetE0EEEvSO_
		.amdhsa_group_segment_fixed_size 0
		.amdhsa_private_segment_fixed_size 0
		.amdhsa_kernarg_size 56
		.amdhsa_user_sgpr_count 15
		.amdhsa_user_sgpr_dispatch_ptr 0
		.amdhsa_user_sgpr_queue_ptr 0
		.amdhsa_user_sgpr_kernarg_segment_ptr 1
		.amdhsa_user_sgpr_dispatch_id 0
		.amdhsa_user_sgpr_private_segment_size 0
		.amdhsa_wavefront_size32 1
		.amdhsa_uses_dynamic_stack 0
		.amdhsa_enable_private_segment 0
		.amdhsa_system_sgpr_workgroup_id_x 1
		.amdhsa_system_sgpr_workgroup_id_y 0
		.amdhsa_system_sgpr_workgroup_id_z 0
		.amdhsa_system_sgpr_workgroup_info 0
		.amdhsa_system_vgpr_workitem_id 0
		.amdhsa_next_free_vgpr 1
		.amdhsa_next_free_sgpr 1
		.amdhsa_reserve_vcc 0
		.amdhsa_float_round_mode_32 0
		.amdhsa_float_round_mode_16_64 0
		.amdhsa_float_denorm_mode_32 3
		.amdhsa_float_denorm_mode_16_64 3
		.amdhsa_dx10_clamp 1
		.amdhsa_ieee_mode 1
		.amdhsa_fp16_overflow 0
		.amdhsa_workgroup_processor_mode 1
		.amdhsa_memory_ordered 1
		.amdhsa_forward_progress 0
		.amdhsa_shared_vgpr_count 0
		.amdhsa_exception_fp_ieee_invalid_op 0
		.amdhsa_exception_fp_denorm_src 0
		.amdhsa_exception_fp_ieee_div_zero 0
		.amdhsa_exception_fp_ieee_overflow 0
		.amdhsa_exception_fp_ieee_underflow 0
		.amdhsa_exception_fp_ieee_inexact 0
		.amdhsa_exception_int_div_zero 0
	.end_amdhsa_kernel
	.section	.text._ZN7rocprim17ROCPRIM_400000_NS6detail17trampoline_kernelINS0_14default_configENS1_29binary_search_config_selectorIybEEZNS1_14transform_implILb0ES3_S5_N6thrust23THRUST_200600_302600_NS17counting_iteratorIyNS8_11use_defaultESA_SA_EEPbZNS1_13binary_searchIS3_S5_PySB_SC_NS1_16binary_search_opENS8_6detail16wrapped_functionINS0_4lessIvEEbEEEE10hipError_tPvRmT1_T2_T3_mmT4_T5_P12ihipStream_tbEUlRKyE_EESL_SP_SQ_mSR_SU_bEUlT_E_NS1_11comp_targetILNS1_3genE10ELNS1_11target_archE1201ELNS1_3gpuE5ELNS1_3repE0EEENS1_30default_config_static_selectorELNS0_4arch9wavefront6targetE0EEEvSO_,"axG",@progbits,_ZN7rocprim17ROCPRIM_400000_NS6detail17trampoline_kernelINS0_14default_configENS1_29binary_search_config_selectorIybEEZNS1_14transform_implILb0ES3_S5_N6thrust23THRUST_200600_302600_NS17counting_iteratorIyNS8_11use_defaultESA_SA_EEPbZNS1_13binary_searchIS3_S5_PySB_SC_NS1_16binary_search_opENS8_6detail16wrapped_functionINS0_4lessIvEEbEEEE10hipError_tPvRmT1_T2_T3_mmT4_T5_P12ihipStream_tbEUlRKyE_EESL_SP_SQ_mSR_SU_bEUlT_E_NS1_11comp_targetILNS1_3genE10ELNS1_11target_archE1201ELNS1_3gpuE5ELNS1_3repE0EEENS1_30default_config_static_selectorELNS0_4arch9wavefront6targetE0EEEvSO_,comdat
.Lfunc_end195:
	.size	_ZN7rocprim17ROCPRIM_400000_NS6detail17trampoline_kernelINS0_14default_configENS1_29binary_search_config_selectorIybEEZNS1_14transform_implILb0ES3_S5_N6thrust23THRUST_200600_302600_NS17counting_iteratorIyNS8_11use_defaultESA_SA_EEPbZNS1_13binary_searchIS3_S5_PySB_SC_NS1_16binary_search_opENS8_6detail16wrapped_functionINS0_4lessIvEEbEEEE10hipError_tPvRmT1_T2_T3_mmT4_T5_P12ihipStream_tbEUlRKyE_EESL_SP_SQ_mSR_SU_bEUlT_E_NS1_11comp_targetILNS1_3genE10ELNS1_11target_archE1201ELNS1_3gpuE5ELNS1_3repE0EEENS1_30default_config_static_selectorELNS0_4arch9wavefront6targetE0EEEvSO_, .Lfunc_end195-_ZN7rocprim17ROCPRIM_400000_NS6detail17trampoline_kernelINS0_14default_configENS1_29binary_search_config_selectorIybEEZNS1_14transform_implILb0ES3_S5_N6thrust23THRUST_200600_302600_NS17counting_iteratorIyNS8_11use_defaultESA_SA_EEPbZNS1_13binary_searchIS3_S5_PySB_SC_NS1_16binary_search_opENS8_6detail16wrapped_functionINS0_4lessIvEEbEEEE10hipError_tPvRmT1_T2_T3_mmT4_T5_P12ihipStream_tbEUlRKyE_EESL_SP_SQ_mSR_SU_bEUlT_E_NS1_11comp_targetILNS1_3genE10ELNS1_11target_archE1201ELNS1_3gpuE5ELNS1_3repE0EEENS1_30default_config_static_selectorELNS0_4arch9wavefront6targetE0EEEvSO_
                                        ; -- End function
	.section	.AMDGPU.csdata,"",@progbits
; Kernel info:
; codeLenInByte = 0
; NumSgprs: 0
; NumVgprs: 0
; ScratchSize: 0
; MemoryBound: 0
; FloatMode: 240
; IeeeMode: 1
; LDSByteSize: 0 bytes/workgroup (compile time only)
; SGPRBlocks: 0
; VGPRBlocks: 0
; NumSGPRsForWavesPerEU: 1
; NumVGPRsForWavesPerEU: 1
; Occupancy: 16
; WaveLimiterHint : 0
; COMPUTE_PGM_RSRC2:SCRATCH_EN: 0
; COMPUTE_PGM_RSRC2:USER_SGPR: 15
; COMPUTE_PGM_RSRC2:TRAP_HANDLER: 0
; COMPUTE_PGM_RSRC2:TGID_X_EN: 1
; COMPUTE_PGM_RSRC2:TGID_Y_EN: 0
; COMPUTE_PGM_RSRC2:TGID_Z_EN: 0
; COMPUTE_PGM_RSRC2:TIDIG_COMP_CNT: 0
	.section	.text._ZN7rocprim17ROCPRIM_400000_NS6detail17trampoline_kernelINS0_14default_configENS1_29binary_search_config_selectorIybEEZNS1_14transform_implILb0ES3_S5_N6thrust23THRUST_200600_302600_NS17counting_iteratorIyNS8_11use_defaultESA_SA_EEPbZNS1_13binary_searchIS3_S5_PySB_SC_NS1_16binary_search_opENS8_6detail16wrapped_functionINS0_4lessIvEEbEEEE10hipError_tPvRmT1_T2_T3_mmT4_T5_P12ihipStream_tbEUlRKyE_EESL_SP_SQ_mSR_SU_bEUlT_E_NS1_11comp_targetILNS1_3genE10ELNS1_11target_archE1200ELNS1_3gpuE4ELNS1_3repE0EEENS1_30default_config_static_selectorELNS0_4arch9wavefront6targetE0EEEvSO_,"axG",@progbits,_ZN7rocprim17ROCPRIM_400000_NS6detail17trampoline_kernelINS0_14default_configENS1_29binary_search_config_selectorIybEEZNS1_14transform_implILb0ES3_S5_N6thrust23THRUST_200600_302600_NS17counting_iteratorIyNS8_11use_defaultESA_SA_EEPbZNS1_13binary_searchIS3_S5_PySB_SC_NS1_16binary_search_opENS8_6detail16wrapped_functionINS0_4lessIvEEbEEEE10hipError_tPvRmT1_T2_T3_mmT4_T5_P12ihipStream_tbEUlRKyE_EESL_SP_SQ_mSR_SU_bEUlT_E_NS1_11comp_targetILNS1_3genE10ELNS1_11target_archE1200ELNS1_3gpuE4ELNS1_3repE0EEENS1_30default_config_static_selectorELNS0_4arch9wavefront6targetE0EEEvSO_,comdat
	.protected	_ZN7rocprim17ROCPRIM_400000_NS6detail17trampoline_kernelINS0_14default_configENS1_29binary_search_config_selectorIybEEZNS1_14transform_implILb0ES3_S5_N6thrust23THRUST_200600_302600_NS17counting_iteratorIyNS8_11use_defaultESA_SA_EEPbZNS1_13binary_searchIS3_S5_PySB_SC_NS1_16binary_search_opENS8_6detail16wrapped_functionINS0_4lessIvEEbEEEE10hipError_tPvRmT1_T2_T3_mmT4_T5_P12ihipStream_tbEUlRKyE_EESL_SP_SQ_mSR_SU_bEUlT_E_NS1_11comp_targetILNS1_3genE10ELNS1_11target_archE1200ELNS1_3gpuE4ELNS1_3repE0EEENS1_30default_config_static_selectorELNS0_4arch9wavefront6targetE0EEEvSO_ ; -- Begin function _ZN7rocprim17ROCPRIM_400000_NS6detail17trampoline_kernelINS0_14default_configENS1_29binary_search_config_selectorIybEEZNS1_14transform_implILb0ES3_S5_N6thrust23THRUST_200600_302600_NS17counting_iteratorIyNS8_11use_defaultESA_SA_EEPbZNS1_13binary_searchIS3_S5_PySB_SC_NS1_16binary_search_opENS8_6detail16wrapped_functionINS0_4lessIvEEbEEEE10hipError_tPvRmT1_T2_T3_mmT4_T5_P12ihipStream_tbEUlRKyE_EESL_SP_SQ_mSR_SU_bEUlT_E_NS1_11comp_targetILNS1_3genE10ELNS1_11target_archE1200ELNS1_3gpuE4ELNS1_3repE0EEENS1_30default_config_static_selectorELNS0_4arch9wavefront6targetE0EEEvSO_
	.globl	_ZN7rocprim17ROCPRIM_400000_NS6detail17trampoline_kernelINS0_14default_configENS1_29binary_search_config_selectorIybEEZNS1_14transform_implILb0ES3_S5_N6thrust23THRUST_200600_302600_NS17counting_iteratorIyNS8_11use_defaultESA_SA_EEPbZNS1_13binary_searchIS3_S5_PySB_SC_NS1_16binary_search_opENS8_6detail16wrapped_functionINS0_4lessIvEEbEEEE10hipError_tPvRmT1_T2_T3_mmT4_T5_P12ihipStream_tbEUlRKyE_EESL_SP_SQ_mSR_SU_bEUlT_E_NS1_11comp_targetILNS1_3genE10ELNS1_11target_archE1200ELNS1_3gpuE4ELNS1_3repE0EEENS1_30default_config_static_selectorELNS0_4arch9wavefront6targetE0EEEvSO_
	.p2align	8
	.type	_ZN7rocprim17ROCPRIM_400000_NS6detail17trampoline_kernelINS0_14default_configENS1_29binary_search_config_selectorIybEEZNS1_14transform_implILb0ES3_S5_N6thrust23THRUST_200600_302600_NS17counting_iteratorIyNS8_11use_defaultESA_SA_EEPbZNS1_13binary_searchIS3_S5_PySB_SC_NS1_16binary_search_opENS8_6detail16wrapped_functionINS0_4lessIvEEbEEEE10hipError_tPvRmT1_T2_T3_mmT4_T5_P12ihipStream_tbEUlRKyE_EESL_SP_SQ_mSR_SU_bEUlT_E_NS1_11comp_targetILNS1_3genE10ELNS1_11target_archE1200ELNS1_3gpuE4ELNS1_3repE0EEENS1_30default_config_static_selectorELNS0_4arch9wavefront6targetE0EEEvSO_,@function
_ZN7rocprim17ROCPRIM_400000_NS6detail17trampoline_kernelINS0_14default_configENS1_29binary_search_config_selectorIybEEZNS1_14transform_implILb0ES3_S5_N6thrust23THRUST_200600_302600_NS17counting_iteratorIyNS8_11use_defaultESA_SA_EEPbZNS1_13binary_searchIS3_S5_PySB_SC_NS1_16binary_search_opENS8_6detail16wrapped_functionINS0_4lessIvEEbEEEE10hipError_tPvRmT1_T2_T3_mmT4_T5_P12ihipStream_tbEUlRKyE_EESL_SP_SQ_mSR_SU_bEUlT_E_NS1_11comp_targetILNS1_3genE10ELNS1_11target_archE1200ELNS1_3gpuE4ELNS1_3repE0EEENS1_30default_config_static_selectorELNS0_4arch9wavefront6targetE0EEEvSO_: ; @_ZN7rocprim17ROCPRIM_400000_NS6detail17trampoline_kernelINS0_14default_configENS1_29binary_search_config_selectorIybEEZNS1_14transform_implILb0ES3_S5_N6thrust23THRUST_200600_302600_NS17counting_iteratorIyNS8_11use_defaultESA_SA_EEPbZNS1_13binary_searchIS3_S5_PySB_SC_NS1_16binary_search_opENS8_6detail16wrapped_functionINS0_4lessIvEEbEEEE10hipError_tPvRmT1_T2_T3_mmT4_T5_P12ihipStream_tbEUlRKyE_EESL_SP_SQ_mSR_SU_bEUlT_E_NS1_11comp_targetILNS1_3genE10ELNS1_11target_archE1200ELNS1_3gpuE4ELNS1_3repE0EEENS1_30default_config_static_selectorELNS0_4arch9wavefront6targetE0EEEvSO_
; %bb.0:
	.section	.rodata,"a",@progbits
	.p2align	6, 0x0
	.amdhsa_kernel _ZN7rocprim17ROCPRIM_400000_NS6detail17trampoline_kernelINS0_14default_configENS1_29binary_search_config_selectorIybEEZNS1_14transform_implILb0ES3_S5_N6thrust23THRUST_200600_302600_NS17counting_iteratorIyNS8_11use_defaultESA_SA_EEPbZNS1_13binary_searchIS3_S5_PySB_SC_NS1_16binary_search_opENS8_6detail16wrapped_functionINS0_4lessIvEEbEEEE10hipError_tPvRmT1_T2_T3_mmT4_T5_P12ihipStream_tbEUlRKyE_EESL_SP_SQ_mSR_SU_bEUlT_E_NS1_11comp_targetILNS1_3genE10ELNS1_11target_archE1200ELNS1_3gpuE4ELNS1_3repE0EEENS1_30default_config_static_selectorELNS0_4arch9wavefront6targetE0EEEvSO_
		.amdhsa_group_segment_fixed_size 0
		.amdhsa_private_segment_fixed_size 0
		.amdhsa_kernarg_size 56
		.amdhsa_user_sgpr_count 15
		.amdhsa_user_sgpr_dispatch_ptr 0
		.amdhsa_user_sgpr_queue_ptr 0
		.amdhsa_user_sgpr_kernarg_segment_ptr 1
		.amdhsa_user_sgpr_dispatch_id 0
		.amdhsa_user_sgpr_private_segment_size 0
		.amdhsa_wavefront_size32 1
		.amdhsa_uses_dynamic_stack 0
		.amdhsa_enable_private_segment 0
		.amdhsa_system_sgpr_workgroup_id_x 1
		.amdhsa_system_sgpr_workgroup_id_y 0
		.amdhsa_system_sgpr_workgroup_id_z 0
		.amdhsa_system_sgpr_workgroup_info 0
		.amdhsa_system_vgpr_workitem_id 0
		.amdhsa_next_free_vgpr 1
		.amdhsa_next_free_sgpr 1
		.amdhsa_reserve_vcc 0
		.amdhsa_float_round_mode_32 0
		.amdhsa_float_round_mode_16_64 0
		.amdhsa_float_denorm_mode_32 3
		.amdhsa_float_denorm_mode_16_64 3
		.amdhsa_dx10_clamp 1
		.amdhsa_ieee_mode 1
		.amdhsa_fp16_overflow 0
		.amdhsa_workgroup_processor_mode 1
		.amdhsa_memory_ordered 1
		.amdhsa_forward_progress 0
		.amdhsa_shared_vgpr_count 0
		.amdhsa_exception_fp_ieee_invalid_op 0
		.amdhsa_exception_fp_denorm_src 0
		.amdhsa_exception_fp_ieee_div_zero 0
		.amdhsa_exception_fp_ieee_overflow 0
		.amdhsa_exception_fp_ieee_underflow 0
		.amdhsa_exception_fp_ieee_inexact 0
		.amdhsa_exception_int_div_zero 0
	.end_amdhsa_kernel
	.section	.text._ZN7rocprim17ROCPRIM_400000_NS6detail17trampoline_kernelINS0_14default_configENS1_29binary_search_config_selectorIybEEZNS1_14transform_implILb0ES3_S5_N6thrust23THRUST_200600_302600_NS17counting_iteratorIyNS8_11use_defaultESA_SA_EEPbZNS1_13binary_searchIS3_S5_PySB_SC_NS1_16binary_search_opENS8_6detail16wrapped_functionINS0_4lessIvEEbEEEE10hipError_tPvRmT1_T2_T3_mmT4_T5_P12ihipStream_tbEUlRKyE_EESL_SP_SQ_mSR_SU_bEUlT_E_NS1_11comp_targetILNS1_3genE10ELNS1_11target_archE1200ELNS1_3gpuE4ELNS1_3repE0EEENS1_30default_config_static_selectorELNS0_4arch9wavefront6targetE0EEEvSO_,"axG",@progbits,_ZN7rocprim17ROCPRIM_400000_NS6detail17trampoline_kernelINS0_14default_configENS1_29binary_search_config_selectorIybEEZNS1_14transform_implILb0ES3_S5_N6thrust23THRUST_200600_302600_NS17counting_iteratorIyNS8_11use_defaultESA_SA_EEPbZNS1_13binary_searchIS3_S5_PySB_SC_NS1_16binary_search_opENS8_6detail16wrapped_functionINS0_4lessIvEEbEEEE10hipError_tPvRmT1_T2_T3_mmT4_T5_P12ihipStream_tbEUlRKyE_EESL_SP_SQ_mSR_SU_bEUlT_E_NS1_11comp_targetILNS1_3genE10ELNS1_11target_archE1200ELNS1_3gpuE4ELNS1_3repE0EEENS1_30default_config_static_selectorELNS0_4arch9wavefront6targetE0EEEvSO_,comdat
.Lfunc_end196:
	.size	_ZN7rocprim17ROCPRIM_400000_NS6detail17trampoline_kernelINS0_14default_configENS1_29binary_search_config_selectorIybEEZNS1_14transform_implILb0ES3_S5_N6thrust23THRUST_200600_302600_NS17counting_iteratorIyNS8_11use_defaultESA_SA_EEPbZNS1_13binary_searchIS3_S5_PySB_SC_NS1_16binary_search_opENS8_6detail16wrapped_functionINS0_4lessIvEEbEEEE10hipError_tPvRmT1_T2_T3_mmT4_T5_P12ihipStream_tbEUlRKyE_EESL_SP_SQ_mSR_SU_bEUlT_E_NS1_11comp_targetILNS1_3genE10ELNS1_11target_archE1200ELNS1_3gpuE4ELNS1_3repE0EEENS1_30default_config_static_selectorELNS0_4arch9wavefront6targetE0EEEvSO_, .Lfunc_end196-_ZN7rocprim17ROCPRIM_400000_NS6detail17trampoline_kernelINS0_14default_configENS1_29binary_search_config_selectorIybEEZNS1_14transform_implILb0ES3_S5_N6thrust23THRUST_200600_302600_NS17counting_iteratorIyNS8_11use_defaultESA_SA_EEPbZNS1_13binary_searchIS3_S5_PySB_SC_NS1_16binary_search_opENS8_6detail16wrapped_functionINS0_4lessIvEEbEEEE10hipError_tPvRmT1_T2_T3_mmT4_T5_P12ihipStream_tbEUlRKyE_EESL_SP_SQ_mSR_SU_bEUlT_E_NS1_11comp_targetILNS1_3genE10ELNS1_11target_archE1200ELNS1_3gpuE4ELNS1_3repE0EEENS1_30default_config_static_selectorELNS0_4arch9wavefront6targetE0EEEvSO_
                                        ; -- End function
	.section	.AMDGPU.csdata,"",@progbits
; Kernel info:
; codeLenInByte = 0
; NumSgprs: 0
; NumVgprs: 0
; ScratchSize: 0
; MemoryBound: 0
; FloatMode: 240
; IeeeMode: 1
; LDSByteSize: 0 bytes/workgroup (compile time only)
; SGPRBlocks: 0
; VGPRBlocks: 0
; NumSGPRsForWavesPerEU: 1
; NumVGPRsForWavesPerEU: 1
; Occupancy: 16
; WaveLimiterHint : 0
; COMPUTE_PGM_RSRC2:SCRATCH_EN: 0
; COMPUTE_PGM_RSRC2:USER_SGPR: 15
; COMPUTE_PGM_RSRC2:TRAP_HANDLER: 0
; COMPUTE_PGM_RSRC2:TGID_X_EN: 1
; COMPUTE_PGM_RSRC2:TGID_Y_EN: 0
; COMPUTE_PGM_RSRC2:TGID_Z_EN: 0
; COMPUTE_PGM_RSRC2:TIDIG_COMP_CNT: 0
	.section	.text._ZN7rocprim17ROCPRIM_400000_NS6detail17trampoline_kernelINS0_14default_configENS1_29binary_search_config_selectorIybEEZNS1_14transform_implILb0ES3_S5_N6thrust23THRUST_200600_302600_NS17counting_iteratorIyNS8_11use_defaultESA_SA_EEPbZNS1_13binary_searchIS3_S5_PySB_SC_NS1_16binary_search_opENS8_6detail16wrapped_functionINS0_4lessIvEEbEEEE10hipError_tPvRmT1_T2_T3_mmT4_T5_P12ihipStream_tbEUlRKyE_EESL_SP_SQ_mSR_SU_bEUlT_E_NS1_11comp_targetILNS1_3genE9ELNS1_11target_archE1100ELNS1_3gpuE3ELNS1_3repE0EEENS1_30default_config_static_selectorELNS0_4arch9wavefront6targetE0EEEvSO_,"axG",@progbits,_ZN7rocprim17ROCPRIM_400000_NS6detail17trampoline_kernelINS0_14default_configENS1_29binary_search_config_selectorIybEEZNS1_14transform_implILb0ES3_S5_N6thrust23THRUST_200600_302600_NS17counting_iteratorIyNS8_11use_defaultESA_SA_EEPbZNS1_13binary_searchIS3_S5_PySB_SC_NS1_16binary_search_opENS8_6detail16wrapped_functionINS0_4lessIvEEbEEEE10hipError_tPvRmT1_T2_T3_mmT4_T5_P12ihipStream_tbEUlRKyE_EESL_SP_SQ_mSR_SU_bEUlT_E_NS1_11comp_targetILNS1_3genE9ELNS1_11target_archE1100ELNS1_3gpuE3ELNS1_3repE0EEENS1_30default_config_static_selectorELNS0_4arch9wavefront6targetE0EEEvSO_,comdat
	.protected	_ZN7rocprim17ROCPRIM_400000_NS6detail17trampoline_kernelINS0_14default_configENS1_29binary_search_config_selectorIybEEZNS1_14transform_implILb0ES3_S5_N6thrust23THRUST_200600_302600_NS17counting_iteratorIyNS8_11use_defaultESA_SA_EEPbZNS1_13binary_searchIS3_S5_PySB_SC_NS1_16binary_search_opENS8_6detail16wrapped_functionINS0_4lessIvEEbEEEE10hipError_tPvRmT1_T2_T3_mmT4_T5_P12ihipStream_tbEUlRKyE_EESL_SP_SQ_mSR_SU_bEUlT_E_NS1_11comp_targetILNS1_3genE9ELNS1_11target_archE1100ELNS1_3gpuE3ELNS1_3repE0EEENS1_30default_config_static_selectorELNS0_4arch9wavefront6targetE0EEEvSO_ ; -- Begin function _ZN7rocprim17ROCPRIM_400000_NS6detail17trampoline_kernelINS0_14default_configENS1_29binary_search_config_selectorIybEEZNS1_14transform_implILb0ES3_S5_N6thrust23THRUST_200600_302600_NS17counting_iteratorIyNS8_11use_defaultESA_SA_EEPbZNS1_13binary_searchIS3_S5_PySB_SC_NS1_16binary_search_opENS8_6detail16wrapped_functionINS0_4lessIvEEbEEEE10hipError_tPvRmT1_T2_T3_mmT4_T5_P12ihipStream_tbEUlRKyE_EESL_SP_SQ_mSR_SU_bEUlT_E_NS1_11comp_targetILNS1_3genE9ELNS1_11target_archE1100ELNS1_3gpuE3ELNS1_3repE0EEENS1_30default_config_static_selectorELNS0_4arch9wavefront6targetE0EEEvSO_
	.globl	_ZN7rocprim17ROCPRIM_400000_NS6detail17trampoline_kernelINS0_14default_configENS1_29binary_search_config_selectorIybEEZNS1_14transform_implILb0ES3_S5_N6thrust23THRUST_200600_302600_NS17counting_iteratorIyNS8_11use_defaultESA_SA_EEPbZNS1_13binary_searchIS3_S5_PySB_SC_NS1_16binary_search_opENS8_6detail16wrapped_functionINS0_4lessIvEEbEEEE10hipError_tPvRmT1_T2_T3_mmT4_T5_P12ihipStream_tbEUlRKyE_EESL_SP_SQ_mSR_SU_bEUlT_E_NS1_11comp_targetILNS1_3genE9ELNS1_11target_archE1100ELNS1_3gpuE3ELNS1_3repE0EEENS1_30default_config_static_selectorELNS0_4arch9wavefront6targetE0EEEvSO_
	.p2align	8
	.type	_ZN7rocprim17ROCPRIM_400000_NS6detail17trampoline_kernelINS0_14default_configENS1_29binary_search_config_selectorIybEEZNS1_14transform_implILb0ES3_S5_N6thrust23THRUST_200600_302600_NS17counting_iteratorIyNS8_11use_defaultESA_SA_EEPbZNS1_13binary_searchIS3_S5_PySB_SC_NS1_16binary_search_opENS8_6detail16wrapped_functionINS0_4lessIvEEbEEEE10hipError_tPvRmT1_T2_T3_mmT4_T5_P12ihipStream_tbEUlRKyE_EESL_SP_SQ_mSR_SU_bEUlT_E_NS1_11comp_targetILNS1_3genE9ELNS1_11target_archE1100ELNS1_3gpuE3ELNS1_3repE0EEENS1_30default_config_static_selectorELNS0_4arch9wavefront6targetE0EEEvSO_,@function
_ZN7rocprim17ROCPRIM_400000_NS6detail17trampoline_kernelINS0_14default_configENS1_29binary_search_config_selectorIybEEZNS1_14transform_implILb0ES3_S5_N6thrust23THRUST_200600_302600_NS17counting_iteratorIyNS8_11use_defaultESA_SA_EEPbZNS1_13binary_searchIS3_S5_PySB_SC_NS1_16binary_search_opENS8_6detail16wrapped_functionINS0_4lessIvEEbEEEE10hipError_tPvRmT1_T2_T3_mmT4_T5_P12ihipStream_tbEUlRKyE_EESL_SP_SQ_mSR_SU_bEUlT_E_NS1_11comp_targetILNS1_3genE9ELNS1_11target_archE1100ELNS1_3gpuE3ELNS1_3repE0EEENS1_30default_config_static_selectorELNS0_4arch9wavefront6targetE0EEEvSO_: ; @_ZN7rocprim17ROCPRIM_400000_NS6detail17trampoline_kernelINS0_14default_configENS1_29binary_search_config_selectorIybEEZNS1_14transform_implILb0ES3_S5_N6thrust23THRUST_200600_302600_NS17counting_iteratorIyNS8_11use_defaultESA_SA_EEPbZNS1_13binary_searchIS3_S5_PySB_SC_NS1_16binary_search_opENS8_6detail16wrapped_functionINS0_4lessIvEEbEEEE10hipError_tPvRmT1_T2_T3_mmT4_T5_P12ihipStream_tbEUlRKyE_EESL_SP_SQ_mSR_SU_bEUlT_E_NS1_11comp_targetILNS1_3genE9ELNS1_11target_archE1100ELNS1_3gpuE3ELNS1_3repE0EEENS1_30default_config_static_selectorELNS0_4arch9wavefront6targetE0EEEvSO_
; %bb.0:
	s_clause 0x3
	s_load_b128 s[4:7], s[0:1], 0x0
	s_load_b128 s[16:19], s[0:1], 0x18
	s_load_b32 s2, s[0:1], 0x38
	s_load_b64 s[20:21], s[0:1], 0x28
	s_mov_b32 s25, 0
	s_waitcnt lgkmcnt(0)
	s_add_u32 s22, s16, s6
	s_addc_u32 s17, s17, s7
	s_lshl_b32 s23, s15, 10
	s_add_i32 s2, s2, -1
	s_add_u32 s3, s4, s23
	s_addc_u32 s4, s5, 0
	s_add_u32 s16, s3, s6
	s_addc_u32 s24, s4, s7
	s_cmp_lg_u32 s15, s2
	s_mov_b32 s2, -1
	s_cbranch_scc0 .LBB197_98
; %bb.1:
	v_add_co_u32 v1, s2, s16, v0
	v_mov_b32_e32 v3, 0
	v_mov_b32_e32 v4, 0
	v_add_co_ci_u32_e64 v2, null, s24, 0, s2
	s_cmp_lg_u64 s[20:21], 0
	s_cselect_b32 s4, -1, 0
	s_cmp_eq_u64 s[20:21], 0
	s_cbranch_scc1 .LBB197_5
; %bb.2:
	v_mov_b32_e32 v3, 0
	v_dual_mov_b32 v4, 0 :: v_dual_mov_b32 v5, s20
	v_mov_b32_e32 v6, s21
	s_mov_b32 s3, 0
	s_set_inst_prefetch_distance 0x1
	.p2align	6
.LBB197_3:                              ; =>This Inner Loop Header: Depth=1
	s_delay_alu instid0(VALU_DEP_2) | instskip(NEXT) | instid1(VALU_DEP_2)
	v_sub_co_u32 v7, vcc_lo, v5, v3
	v_sub_co_ci_u32_e32 v8, vcc_lo, v6, v4, vcc_lo
	s_delay_alu instid0(VALU_DEP_1) | instskip(SKIP_1) | instid1(VALU_DEP_2)
	v_lshrrev_b64 v[9:10], 1, v[7:8]
	v_lshrrev_b64 v[7:8], 6, v[7:8]
	v_add_co_u32 v9, vcc_lo, v9, v3
	s_delay_alu instid0(VALU_DEP_3) | instskip(NEXT) | instid1(VALU_DEP_2)
	v_add_co_ci_u32_e32 v10, vcc_lo, v10, v4, vcc_lo
	v_add_co_u32 v7, vcc_lo, v9, v7
	s_delay_alu instid0(VALU_DEP_2) | instskip(NEXT) | instid1(VALU_DEP_1)
	v_add_co_ci_u32_e32 v8, vcc_lo, v10, v8, vcc_lo
	v_lshlrev_b64 v[9:10], 3, v[7:8]
	s_delay_alu instid0(VALU_DEP_1) | instskip(NEXT) | instid1(VALU_DEP_2)
	v_add_co_u32 v9, vcc_lo, s18, v9
	v_add_co_ci_u32_e32 v10, vcc_lo, s19, v10, vcc_lo
	v_add_co_u32 v11, vcc_lo, v7, 1
	global_load_b64 v[9:10], v[9:10], off
	s_waitcnt vmcnt(0)
	v_cmp_lt_u64_e64 s2, v[9:10], v[1:2]
	v_add_co_ci_u32_e32 v9, vcc_lo, 0, v8, vcc_lo
	s_delay_alu instid0(VALU_DEP_2) | instskip(SKIP_1) | instid1(VALU_DEP_3)
	v_cndmask_b32_e64 v6, v8, v6, s2
	v_cndmask_b32_e64 v5, v7, v5, s2
	;; [unrolled: 1-line block ×4, first 2 shown]
	s_delay_alu instid0(VALU_DEP_1) | instskip(SKIP_1) | instid1(SALU_CYCLE_1)
	v_cmp_ge_u64_e32 vcc_lo, v[3:4], v[5:6]
	s_or_b32 s3, vcc_lo, s3
	s_and_not1_b32 exec_lo, exec_lo, s3
	s_cbranch_execnz .LBB197_3
; %bb.4:
	s_set_inst_prefetch_distance 0x2
	s_or_b32 exec_lo, exec_lo, s3
.LBB197_5:
	s_mov_b32 s3, 0
	s_mov_b32 s2, exec_lo
	v_cmpx_ne_u64_e64 s[20:21], v[3:4]
	s_cbranch_execz .LBB197_7
; %bb.6:
	v_lshlrev_b64 v[3:4], 3, v[3:4]
	s_delay_alu instid0(VALU_DEP_1) | instskip(NEXT) | instid1(VALU_DEP_2)
	v_add_co_u32 v3, vcc_lo, s18, v3
	v_add_co_ci_u32_e32 v4, vcc_lo, s19, v4, vcc_lo
	global_load_b64 v[3:4], v[3:4], off
	s_waitcnt vmcnt(0)
	v_cmp_le_u64_e32 vcc_lo, v[3:4], v[1:2]
	s_and_b32 s3, vcc_lo, exec_lo
.LBB197_7:
	s_or_b32 exec_lo, exec_lo, s2
	v_add_co_u32 v3, vcc_lo, v1, 64
	v_mov_b32_e32 v5, 0
	v_cndmask_b32_e64 v9, 0, 1, s4
	v_add_co_ci_u32_e32 v4, vcc_lo, 0, v2, vcc_lo
	v_mov_b32_e32 v6, 0
	s_and_not1_b32 vcc_lo, exec_lo, s4
	s_cbranch_vccnz .LBB197_11
; %bb.8:
	v_dual_mov_b32 v7, s20 :: v_dual_mov_b32 v8, s21
	s_mov_b32 s4, 0
	s_set_inst_prefetch_distance 0x1
	.p2align	6
.LBB197_9:                              ; =>This Inner Loop Header: Depth=1
	s_delay_alu instid0(VALU_DEP_1) | instskip(NEXT) | instid1(VALU_DEP_2)
	v_sub_co_u32 v10, vcc_lo, v7, v5
	v_sub_co_ci_u32_e32 v11, vcc_lo, v8, v6, vcc_lo
	s_delay_alu instid0(VALU_DEP_1) | instskip(SKIP_1) | instid1(VALU_DEP_2)
	v_lshrrev_b64 v[12:13], 1, v[10:11]
	v_lshrrev_b64 v[10:11], 6, v[10:11]
	v_add_co_u32 v12, vcc_lo, v12, v5
	s_delay_alu instid0(VALU_DEP_3) | instskip(NEXT) | instid1(VALU_DEP_2)
	v_add_co_ci_u32_e32 v13, vcc_lo, v13, v6, vcc_lo
	v_add_co_u32 v10, vcc_lo, v12, v10
	s_delay_alu instid0(VALU_DEP_2) | instskip(NEXT) | instid1(VALU_DEP_1)
	v_add_co_ci_u32_e32 v11, vcc_lo, v13, v11, vcc_lo
	v_lshlrev_b64 v[12:13], 3, v[10:11]
	s_delay_alu instid0(VALU_DEP_1) | instskip(NEXT) | instid1(VALU_DEP_2)
	v_add_co_u32 v12, vcc_lo, s18, v12
	v_add_co_ci_u32_e32 v13, vcc_lo, s19, v13, vcc_lo
	v_add_co_u32 v14, vcc_lo, v10, 1
	global_load_b64 v[12:13], v[12:13], off
	s_waitcnt vmcnt(0)
	v_cmp_lt_u64_e64 s2, v[12:13], v[3:4]
	v_add_co_ci_u32_e32 v12, vcc_lo, 0, v11, vcc_lo
	s_delay_alu instid0(VALU_DEP_2) | instskip(SKIP_1) | instid1(VALU_DEP_3)
	v_cndmask_b32_e64 v8, v11, v8, s2
	v_cndmask_b32_e64 v7, v10, v7, s2
	;; [unrolled: 1-line block ×4, first 2 shown]
	s_delay_alu instid0(VALU_DEP_1) | instskip(SKIP_1) | instid1(SALU_CYCLE_1)
	v_cmp_ge_u64_e32 vcc_lo, v[5:6], v[7:8]
	s_or_b32 s4, vcc_lo, s4
	s_and_not1_b32 exec_lo, exec_lo, s4
	s_cbranch_execnz .LBB197_9
; %bb.10:
	s_set_inst_prefetch_distance 0x2
	s_or_b32 exec_lo, exec_lo, s4
.LBB197_11:
	s_mov_b32 s4, 0
	s_mov_b32 s2, exec_lo
	v_cmpx_ne_u64_e64 s[20:21], v[5:6]
	s_cbranch_execz .LBB197_13
; %bb.12:
	v_lshlrev_b64 v[5:6], 3, v[5:6]
	s_delay_alu instid0(VALU_DEP_1) | instskip(NEXT) | instid1(VALU_DEP_2)
	v_add_co_u32 v5, vcc_lo, s18, v5
	v_add_co_ci_u32_e32 v6, vcc_lo, s19, v6, vcc_lo
	global_load_b64 v[5:6], v[5:6], off
	s_waitcnt vmcnt(0)
	v_cmp_le_u64_e32 vcc_lo, v[5:6], v[3:4]
	s_and_b32 s4, vcc_lo, exec_lo
.LBB197_13:
	s_or_b32 exec_lo, exec_lo, s2
	v_cmp_ne_u32_e32 vcc_lo, 1, v9
	v_add_co_u32 v3, s2, 0x80, v1
	v_mov_b32_e32 v5, 0
	v_add_co_ci_u32_e64 v4, s2, 0, v2, s2
	v_mov_b32_e32 v6, 0
	s_cbranch_vccnz .LBB197_17
; %bb.14:
	v_dual_mov_b32 v7, s20 :: v_dual_mov_b32 v8, s21
	s_mov_b32 s5, 0
	s_set_inst_prefetch_distance 0x1
	.p2align	6
.LBB197_15:                             ; =>This Inner Loop Header: Depth=1
	s_delay_alu instid0(VALU_DEP_1) | instskip(NEXT) | instid1(VALU_DEP_2)
	v_sub_co_u32 v10, vcc_lo, v7, v5
	v_sub_co_ci_u32_e32 v11, vcc_lo, v8, v6, vcc_lo
	s_delay_alu instid0(VALU_DEP_1) | instskip(SKIP_1) | instid1(VALU_DEP_2)
	v_lshrrev_b64 v[12:13], 1, v[10:11]
	v_lshrrev_b64 v[10:11], 6, v[10:11]
	v_add_co_u32 v12, vcc_lo, v12, v5
	s_delay_alu instid0(VALU_DEP_3) | instskip(NEXT) | instid1(VALU_DEP_2)
	v_add_co_ci_u32_e32 v13, vcc_lo, v13, v6, vcc_lo
	v_add_co_u32 v10, vcc_lo, v12, v10
	s_delay_alu instid0(VALU_DEP_2) | instskip(NEXT) | instid1(VALU_DEP_1)
	v_add_co_ci_u32_e32 v11, vcc_lo, v13, v11, vcc_lo
	v_lshlrev_b64 v[12:13], 3, v[10:11]
	s_delay_alu instid0(VALU_DEP_1) | instskip(NEXT) | instid1(VALU_DEP_2)
	v_add_co_u32 v12, vcc_lo, s18, v12
	v_add_co_ci_u32_e32 v13, vcc_lo, s19, v13, vcc_lo
	v_add_co_u32 v14, vcc_lo, v10, 1
	global_load_b64 v[12:13], v[12:13], off
	s_waitcnt vmcnt(0)
	v_cmp_lt_u64_e64 s2, v[12:13], v[3:4]
	v_add_co_ci_u32_e32 v12, vcc_lo, 0, v11, vcc_lo
	s_delay_alu instid0(VALU_DEP_2) | instskip(SKIP_1) | instid1(VALU_DEP_3)
	v_cndmask_b32_e64 v8, v11, v8, s2
	v_cndmask_b32_e64 v7, v10, v7, s2
	;; [unrolled: 1-line block ×4, first 2 shown]
	s_delay_alu instid0(VALU_DEP_1) | instskip(SKIP_1) | instid1(SALU_CYCLE_1)
	v_cmp_ge_u64_e32 vcc_lo, v[5:6], v[7:8]
	s_or_b32 s5, vcc_lo, s5
	s_and_not1_b32 exec_lo, exec_lo, s5
	s_cbranch_execnz .LBB197_15
; %bb.16:
	s_set_inst_prefetch_distance 0x2
	s_or_b32 exec_lo, exec_lo, s5
.LBB197_17:
	s_mov_b32 s5, 0
	s_mov_b32 s2, exec_lo
	s_delay_alu instid0(VALU_DEP_1)
	v_cmpx_ne_u64_e64 s[20:21], v[5:6]
	s_cbranch_execz .LBB197_19
; %bb.18:
	v_lshlrev_b64 v[5:6], 3, v[5:6]
	s_delay_alu instid0(VALU_DEP_1) | instskip(NEXT) | instid1(VALU_DEP_2)
	v_add_co_u32 v5, vcc_lo, s18, v5
	v_add_co_ci_u32_e32 v6, vcc_lo, s19, v6, vcc_lo
	global_load_b64 v[5:6], v[5:6], off
	s_waitcnt vmcnt(0)
	v_cmp_le_u64_e32 vcc_lo, v[5:6], v[3:4]
	s_and_b32 s5, vcc_lo, exec_lo
.LBB197_19:
	s_or_b32 exec_lo, exec_lo, s2
	v_cmp_ne_u32_e32 vcc_lo, 1, v9
	v_add_co_u32 v3, s2, 0xc0, v1
	v_mov_b32_e32 v5, 0
	v_add_co_ci_u32_e64 v4, s2, 0, v2, s2
	v_mov_b32_e32 v6, 0
	s_cbranch_vccnz .LBB197_23
; %bb.20:
	v_dual_mov_b32 v7, s20 :: v_dual_mov_b32 v8, s21
	s_mov_b32 s6, 0
	s_set_inst_prefetch_distance 0x1
	.p2align	6
.LBB197_21:                             ; =>This Inner Loop Header: Depth=1
	s_delay_alu instid0(VALU_DEP_1) | instskip(NEXT) | instid1(VALU_DEP_2)
	v_sub_co_u32 v10, vcc_lo, v7, v5
	v_sub_co_ci_u32_e32 v11, vcc_lo, v8, v6, vcc_lo
	s_delay_alu instid0(VALU_DEP_1) | instskip(SKIP_1) | instid1(VALU_DEP_2)
	v_lshrrev_b64 v[12:13], 1, v[10:11]
	v_lshrrev_b64 v[10:11], 6, v[10:11]
	v_add_co_u32 v12, vcc_lo, v12, v5
	s_delay_alu instid0(VALU_DEP_3) | instskip(NEXT) | instid1(VALU_DEP_2)
	v_add_co_ci_u32_e32 v13, vcc_lo, v13, v6, vcc_lo
	v_add_co_u32 v10, vcc_lo, v12, v10
	s_delay_alu instid0(VALU_DEP_2) | instskip(NEXT) | instid1(VALU_DEP_1)
	v_add_co_ci_u32_e32 v11, vcc_lo, v13, v11, vcc_lo
	v_lshlrev_b64 v[12:13], 3, v[10:11]
	s_delay_alu instid0(VALU_DEP_1) | instskip(NEXT) | instid1(VALU_DEP_2)
	v_add_co_u32 v12, vcc_lo, s18, v12
	v_add_co_ci_u32_e32 v13, vcc_lo, s19, v13, vcc_lo
	v_add_co_u32 v14, vcc_lo, v10, 1
	global_load_b64 v[12:13], v[12:13], off
	s_waitcnt vmcnt(0)
	v_cmp_lt_u64_e64 s2, v[12:13], v[3:4]
	v_add_co_ci_u32_e32 v12, vcc_lo, 0, v11, vcc_lo
	s_delay_alu instid0(VALU_DEP_2) | instskip(SKIP_1) | instid1(VALU_DEP_3)
	v_cndmask_b32_e64 v8, v11, v8, s2
	v_cndmask_b32_e64 v7, v10, v7, s2
	;; [unrolled: 1-line block ×4, first 2 shown]
	s_delay_alu instid0(VALU_DEP_1) | instskip(SKIP_1) | instid1(SALU_CYCLE_1)
	v_cmp_ge_u64_e32 vcc_lo, v[5:6], v[7:8]
	s_or_b32 s6, vcc_lo, s6
	s_and_not1_b32 exec_lo, exec_lo, s6
	s_cbranch_execnz .LBB197_21
; %bb.22:
	s_set_inst_prefetch_distance 0x2
	s_or_b32 exec_lo, exec_lo, s6
.LBB197_23:
	s_mov_b32 s6, 0
	s_mov_b32 s2, exec_lo
	s_delay_alu instid0(VALU_DEP_1)
	v_cmpx_ne_u64_e64 s[20:21], v[5:6]
	s_cbranch_execz .LBB197_25
; %bb.24:
	v_lshlrev_b64 v[5:6], 3, v[5:6]
	s_delay_alu instid0(VALU_DEP_1) | instskip(NEXT) | instid1(VALU_DEP_2)
	v_add_co_u32 v5, vcc_lo, s18, v5
	v_add_co_ci_u32_e32 v6, vcc_lo, s19, v6, vcc_lo
	global_load_b64 v[5:6], v[5:6], off
	s_waitcnt vmcnt(0)
	v_cmp_le_u64_e32 vcc_lo, v[5:6], v[3:4]
	s_and_b32 s6, vcc_lo, exec_lo
.LBB197_25:
	s_or_b32 exec_lo, exec_lo, s2
	v_cmp_ne_u32_e32 vcc_lo, 1, v9
	v_add_co_u32 v3, s2, 0x100, v1
	v_mov_b32_e32 v5, 0
	v_add_co_ci_u32_e64 v4, s2, 0, v2, s2
	v_mov_b32_e32 v6, 0
	s_cbranch_vccnz .LBB197_29
; %bb.26:
	v_dual_mov_b32 v7, s20 :: v_dual_mov_b32 v8, s21
	s_mov_b32 s7, 0
	s_set_inst_prefetch_distance 0x1
	.p2align	6
.LBB197_27:                             ; =>This Inner Loop Header: Depth=1
	s_delay_alu instid0(VALU_DEP_1) | instskip(NEXT) | instid1(VALU_DEP_2)
	v_sub_co_u32 v10, vcc_lo, v7, v5
	v_sub_co_ci_u32_e32 v11, vcc_lo, v8, v6, vcc_lo
	s_delay_alu instid0(VALU_DEP_1) | instskip(SKIP_1) | instid1(VALU_DEP_2)
	v_lshrrev_b64 v[12:13], 1, v[10:11]
	v_lshrrev_b64 v[10:11], 6, v[10:11]
	v_add_co_u32 v12, vcc_lo, v12, v5
	s_delay_alu instid0(VALU_DEP_3) | instskip(NEXT) | instid1(VALU_DEP_2)
	v_add_co_ci_u32_e32 v13, vcc_lo, v13, v6, vcc_lo
	v_add_co_u32 v10, vcc_lo, v12, v10
	s_delay_alu instid0(VALU_DEP_2) | instskip(NEXT) | instid1(VALU_DEP_1)
	v_add_co_ci_u32_e32 v11, vcc_lo, v13, v11, vcc_lo
	v_lshlrev_b64 v[12:13], 3, v[10:11]
	s_delay_alu instid0(VALU_DEP_1) | instskip(NEXT) | instid1(VALU_DEP_2)
	v_add_co_u32 v12, vcc_lo, s18, v12
	v_add_co_ci_u32_e32 v13, vcc_lo, s19, v13, vcc_lo
	v_add_co_u32 v14, vcc_lo, v10, 1
	global_load_b64 v[12:13], v[12:13], off
	s_waitcnt vmcnt(0)
	v_cmp_lt_u64_e64 s2, v[12:13], v[3:4]
	v_add_co_ci_u32_e32 v12, vcc_lo, 0, v11, vcc_lo
	s_delay_alu instid0(VALU_DEP_2) | instskip(SKIP_1) | instid1(VALU_DEP_3)
	v_cndmask_b32_e64 v8, v11, v8, s2
	v_cndmask_b32_e64 v7, v10, v7, s2
	;; [unrolled: 1-line block ×4, first 2 shown]
	s_delay_alu instid0(VALU_DEP_1) | instskip(SKIP_1) | instid1(SALU_CYCLE_1)
	v_cmp_ge_u64_e32 vcc_lo, v[5:6], v[7:8]
	s_or_b32 s7, vcc_lo, s7
	s_and_not1_b32 exec_lo, exec_lo, s7
	s_cbranch_execnz .LBB197_27
; %bb.28:
	s_set_inst_prefetch_distance 0x2
	s_or_b32 exec_lo, exec_lo, s7
.LBB197_29:
	s_mov_b32 s7, 0
	s_mov_b32 s2, exec_lo
	s_delay_alu instid0(VALU_DEP_1)
	v_cmpx_ne_u64_e64 s[20:21], v[5:6]
	s_cbranch_execz .LBB197_31
; %bb.30:
	v_lshlrev_b64 v[5:6], 3, v[5:6]
	s_delay_alu instid0(VALU_DEP_1) | instskip(NEXT) | instid1(VALU_DEP_2)
	v_add_co_u32 v5, vcc_lo, s18, v5
	v_add_co_ci_u32_e32 v6, vcc_lo, s19, v6, vcc_lo
	global_load_b64 v[5:6], v[5:6], off
	s_waitcnt vmcnt(0)
	v_cmp_le_u64_e32 vcc_lo, v[5:6], v[3:4]
	s_and_b32 s7, vcc_lo, exec_lo
.LBB197_31:
	s_or_b32 exec_lo, exec_lo, s2
	v_cmp_ne_u32_e32 vcc_lo, 1, v9
	v_add_co_u32 v3, s2, 0x140, v1
	v_mov_b32_e32 v5, 0
	v_add_co_ci_u32_e64 v4, s2, 0, v2, s2
	v_mov_b32_e32 v6, 0
	s_cbranch_vccnz .LBB197_35
; %bb.32:
	v_dual_mov_b32 v7, s20 :: v_dual_mov_b32 v8, s21
	s_mov_b32 s8, 0
	s_set_inst_prefetch_distance 0x1
	.p2align	6
.LBB197_33:                             ; =>This Inner Loop Header: Depth=1
	s_delay_alu instid0(VALU_DEP_1) | instskip(NEXT) | instid1(VALU_DEP_2)
	v_sub_co_u32 v10, vcc_lo, v7, v5
	v_sub_co_ci_u32_e32 v11, vcc_lo, v8, v6, vcc_lo
	s_delay_alu instid0(VALU_DEP_1) | instskip(SKIP_1) | instid1(VALU_DEP_2)
	v_lshrrev_b64 v[12:13], 1, v[10:11]
	v_lshrrev_b64 v[10:11], 6, v[10:11]
	v_add_co_u32 v12, vcc_lo, v12, v5
	s_delay_alu instid0(VALU_DEP_3) | instskip(NEXT) | instid1(VALU_DEP_2)
	v_add_co_ci_u32_e32 v13, vcc_lo, v13, v6, vcc_lo
	v_add_co_u32 v10, vcc_lo, v12, v10
	s_delay_alu instid0(VALU_DEP_2) | instskip(NEXT) | instid1(VALU_DEP_1)
	v_add_co_ci_u32_e32 v11, vcc_lo, v13, v11, vcc_lo
	v_lshlrev_b64 v[12:13], 3, v[10:11]
	s_delay_alu instid0(VALU_DEP_1) | instskip(NEXT) | instid1(VALU_DEP_2)
	v_add_co_u32 v12, vcc_lo, s18, v12
	v_add_co_ci_u32_e32 v13, vcc_lo, s19, v13, vcc_lo
	v_add_co_u32 v14, vcc_lo, v10, 1
	global_load_b64 v[12:13], v[12:13], off
	s_waitcnt vmcnt(0)
	v_cmp_lt_u64_e64 s2, v[12:13], v[3:4]
	v_add_co_ci_u32_e32 v12, vcc_lo, 0, v11, vcc_lo
	s_delay_alu instid0(VALU_DEP_2) | instskip(SKIP_1) | instid1(VALU_DEP_3)
	v_cndmask_b32_e64 v8, v11, v8, s2
	v_cndmask_b32_e64 v7, v10, v7, s2
	;; [unrolled: 1-line block ×4, first 2 shown]
	s_delay_alu instid0(VALU_DEP_1) | instskip(SKIP_1) | instid1(SALU_CYCLE_1)
	v_cmp_ge_u64_e32 vcc_lo, v[5:6], v[7:8]
	s_or_b32 s8, vcc_lo, s8
	s_and_not1_b32 exec_lo, exec_lo, s8
	s_cbranch_execnz .LBB197_33
; %bb.34:
	s_set_inst_prefetch_distance 0x2
	s_or_b32 exec_lo, exec_lo, s8
.LBB197_35:
	s_mov_b32 s8, 0
	s_mov_b32 s2, exec_lo
	s_delay_alu instid0(VALU_DEP_1)
	v_cmpx_ne_u64_e64 s[20:21], v[5:6]
	s_cbranch_execz .LBB197_37
; %bb.36:
	v_lshlrev_b64 v[5:6], 3, v[5:6]
	s_delay_alu instid0(VALU_DEP_1) | instskip(NEXT) | instid1(VALU_DEP_2)
	v_add_co_u32 v5, vcc_lo, s18, v5
	v_add_co_ci_u32_e32 v6, vcc_lo, s19, v6, vcc_lo
	global_load_b64 v[5:6], v[5:6], off
	s_waitcnt vmcnt(0)
	v_cmp_le_u64_e32 vcc_lo, v[5:6], v[3:4]
	s_and_b32 s8, vcc_lo, exec_lo
.LBB197_37:
	s_or_b32 exec_lo, exec_lo, s2
	v_cmp_ne_u32_e32 vcc_lo, 1, v9
	v_add_co_u32 v3, s2, 0x180, v1
	v_mov_b32_e32 v5, 0
	v_add_co_ci_u32_e64 v4, s2, 0, v2, s2
	v_mov_b32_e32 v6, 0
	s_cbranch_vccnz .LBB197_41
; %bb.38:
	v_dual_mov_b32 v7, s20 :: v_dual_mov_b32 v8, s21
	s_mov_b32 s9, 0
	s_set_inst_prefetch_distance 0x1
	.p2align	6
.LBB197_39:                             ; =>This Inner Loop Header: Depth=1
	s_delay_alu instid0(VALU_DEP_1) | instskip(NEXT) | instid1(VALU_DEP_2)
	v_sub_co_u32 v10, vcc_lo, v7, v5
	v_sub_co_ci_u32_e32 v11, vcc_lo, v8, v6, vcc_lo
	s_delay_alu instid0(VALU_DEP_1) | instskip(SKIP_1) | instid1(VALU_DEP_2)
	v_lshrrev_b64 v[12:13], 1, v[10:11]
	v_lshrrev_b64 v[10:11], 6, v[10:11]
	v_add_co_u32 v12, vcc_lo, v12, v5
	s_delay_alu instid0(VALU_DEP_3) | instskip(NEXT) | instid1(VALU_DEP_2)
	v_add_co_ci_u32_e32 v13, vcc_lo, v13, v6, vcc_lo
	v_add_co_u32 v10, vcc_lo, v12, v10
	s_delay_alu instid0(VALU_DEP_2) | instskip(NEXT) | instid1(VALU_DEP_1)
	v_add_co_ci_u32_e32 v11, vcc_lo, v13, v11, vcc_lo
	v_lshlrev_b64 v[12:13], 3, v[10:11]
	s_delay_alu instid0(VALU_DEP_1) | instskip(NEXT) | instid1(VALU_DEP_2)
	v_add_co_u32 v12, vcc_lo, s18, v12
	v_add_co_ci_u32_e32 v13, vcc_lo, s19, v13, vcc_lo
	v_add_co_u32 v14, vcc_lo, v10, 1
	global_load_b64 v[12:13], v[12:13], off
	s_waitcnt vmcnt(0)
	v_cmp_lt_u64_e64 s2, v[12:13], v[3:4]
	v_add_co_ci_u32_e32 v12, vcc_lo, 0, v11, vcc_lo
	s_delay_alu instid0(VALU_DEP_2) | instskip(SKIP_1) | instid1(VALU_DEP_3)
	v_cndmask_b32_e64 v8, v11, v8, s2
	v_cndmask_b32_e64 v7, v10, v7, s2
	;; [unrolled: 1-line block ×4, first 2 shown]
	s_delay_alu instid0(VALU_DEP_1) | instskip(SKIP_1) | instid1(SALU_CYCLE_1)
	v_cmp_ge_u64_e32 vcc_lo, v[5:6], v[7:8]
	s_or_b32 s9, vcc_lo, s9
	s_and_not1_b32 exec_lo, exec_lo, s9
	s_cbranch_execnz .LBB197_39
; %bb.40:
	s_set_inst_prefetch_distance 0x2
	s_or_b32 exec_lo, exec_lo, s9
.LBB197_41:
	s_mov_b32 s9, 0
	s_mov_b32 s2, exec_lo
	s_delay_alu instid0(VALU_DEP_1)
	v_cmpx_ne_u64_e64 s[20:21], v[5:6]
	s_cbranch_execz .LBB197_43
; %bb.42:
	v_lshlrev_b64 v[5:6], 3, v[5:6]
	s_delay_alu instid0(VALU_DEP_1) | instskip(NEXT) | instid1(VALU_DEP_2)
	v_add_co_u32 v5, vcc_lo, s18, v5
	v_add_co_ci_u32_e32 v6, vcc_lo, s19, v6, vcc_lo
	global_load_b64 v[5:6], v[5:6], off
	s_waitcnt vmcnt(0)
	v_cmp_le_u64_e32 vcc_lo, v[5:6], v[3:4]
	s_and_b32 s9, vcc_lo, exec_lo
.LBB197_43:
	s_or_b32 exec_lo, exec_lo, s2
	v_cmp_ne_u32_e32 vcc_lo, 1, v9
	v_add_co_u32 v3, s2, 0x1c0, v1
	v_mov_b32_e32 v5, 0
	v_add_co_ci_u32_e64 v4, s2, 0, v2, s2
	v_mov_b32_e32 v6, 0
	s_cbranch_vccnz .LBB197_47
; %bb.44:
	v_dual_mov_b32 v7, s20 :: v_dual_mov_b32 v8, s21
	s_mov_b32 s10, 0
	s_set_inst_prefetch_distance 0x1
	.p2align	6
.LBB197_45:                             ; =>This Inner Loop Header: Depth=1
	s_delay_alu instid0(VALU_DEP_1) | instskip(NEXT) | instid1(VALU_DEP_2)
	v_sub_co_u32 v10, vcc_lo, v7, v5
	v_sub_co_ci_u32_e32 v11, vcc_lo, v8, v6, vcc_lo
	s_delay_alu instid0(VALU_DEP_1) | instskip(SKIP_1) | instid1(VALU_DEP_2)
	v_lshrrev_b64 v[12:13], 1, v[10:11]
	v_lshrrev_b64 v[10:11], 6, v[10:11]
	v_add_co_u32 v12, vcc_lo, v12, v5
	s_delay_alu instid0(VALU_DEP_3) | instskip(NEXT) | instid1(VALU_DEP_2)
	v_add_co_ci_u32_e32 v13, vcc_lo, v13, v6, vcc_lo
	v_add_co_u32 v10, vcc_lo, v12, v10
	s_delay_alu instid0(VALU_DEP_2) | instskip(NEXT) | instid1(VALU_DEP_1)
	v_add_co_ci_u32_e32 v11, vcc_lo, v13, v11, vcc_lo
	v_lshlrev_b64 v[12:13], 3, v[10:11]
	s_delay_alu instid0(VALU_DEP_1) | instskip(NEXT) | instid1(VALU_DEP_2)
	v_add_co_u32 v12, vcc_lo, s18, v12
	v_add_co_ci_u32_e32 v13, vcc_lo, s19, v13, vcc_lo
	v_add_co_u32 v14, vcc_lo, v10, 1
	global_load_b64 v[12:13], v[12:13], off
	s_waitcnt vmcnt(0)
	v_cmp_lt_u64_e64 s2, v[12:13], v[3:4]
	v_add_co_ci_u32_e32 v12, vcc_lo, 0, v11, vcc_lo
	s_delay_alu instid0(VALU_DEP_2) | instskip(SKIP_1) | instid1(VALU_DEP_3)
	v_cndmask_b32_e64 v8, v11, v8, s2
	v_cndmask_b32_e64 v7, v10, v7, s2
	;; [unrolled: 1-line block ×4, first 2 shown]
	s_delay_alu instid0(VALU_DEP_1) | instskip(SKIP_1) | instid1(SALU_CYCLE_1)
	v_cmp_ge_u64_e32 vcc_lo, v[5:6], v[7:8]
	s_or_b32 s10, vcc_lo, s10
	s_and_not1_b32 exec_lo, exec_lo, s10
	s_cbranch_execnz .LBB197_45
; %bb.46:
	s_set_inst_prefetch_distance 0x2
	s_or_b32 exec_lo, exec_lo, s10
.LBB197_47:
	s_mov_b32 s10, 0
	s_mov_b32 s2, exec_lo
	s_delay_alu instid0(VALU_DEP_1)
	v_cmpx_ne_u64_e64 s[20:21], v[5:6]
	s_cbranch_execz .LBB197_49
; %bb.48:
	v_lshlrev_b64 v[5:6], 3, v[5:6]
	s_delay_alu instid0(VALU_DEP_1) | instskip(NEXT) | instid1(VALU_DEP_2)
	v_add_co_u32 v5, vcc_lo, s18, v5
	v_add_co_ci_u32_e32 v6, vcc_lo, s19, v6, vcc_lo
	global_load_b64 v[5:6], v[5:6], off
	s_waitcnt vmcnt(0)
	v_cmp_le_u64_e32 vcc_lo, v[5:6], v[3:4]
	s_and_b32 s10, vcc_lo, exec_lo
.LBB197_49:
	s_or_b32 exec_lo, exec_lo, s2
	v_cmp_ne_u32_e32 vcc_lo, 1, v9
	v_add_co_u32 v3, s2, 0x200, v1
	v_mov_b32_e32 v5, 0
	v_add_co_ci_u32_e64 v4, s2, 0, v2, s2
	v_mov_b32_e32 v6, 0
	s_cbranch_vccnz .LBB197_53
; %bb.50:
	v_dual_mov_b32 v7, s20 :: v_dual_mov_b32 v8, s21
	s_mov_b32 s11, 0
	s_set_inst_prefetch_distance 0x1
	.p2align	6
.LBB197_51:                             ; =>This Inner Loop Header: Depth=1
	s_delay_alu instid0(VALU_DEP_1) | instskip(NEXT) | instid1(VALU_DEP_2)
	v_sub_co_u32 v10, vcc_lo, v7, v5
	v_sub_co_ci_u32_e32 v11, vcc_lo, v8, v6, vcc_lo
	s_delay_alu instid0(VALU_DEP_1) | instskip(SKIP_1) | instid1(VALU_DEP_2)
	v_lshrrev_b64 v[12:13], 1, v[10:11]
	v_lshrrev_b64 v[10:11], 6, v[10:11]
	v_add_co_u32 v12, vcc_lo, v12, v5
	s_delay_alu instid0(VALU_DEP_3) | instskip(NEXT) | instid1(VALU_DEP_2)
	v_add_co_ci_u32_e32 v13, vcc_lo, v13, v6, vcc_lo
	v_add_co_u32 v10, vcc_lo, v12, v10
	s_delay_alu instid0(VALU_DEP_2) | instskip(NEXT) | instid1(VALU_DEP_1)
	v_add_co_ci_u32_e32 v11, vcc_lo, v13, v11, vcc_lo
	v_lshlrev_b64 v[12:13], 3, v[10:11]
	s_delay_alu instid0(VALU_DEP_1) | instskip(NEXT) | instid1(VALU_DEP_2)
	v_add_co_u32 v12, vcc_lo, s18, v12
	v_add_co_ci_u32_e32 v13, vcc_lo, s19, v13, vcc_lo
	v_add_co_u32 v14, vcc_lo, v10, 1
	global_load_b64 v[12:13], v[12:13], off
	s_waitcnt vmcnt(0)
	v_cmp_lt_u64_e64 s2, v[12:13], v[3:4]
	v_add_co_ci_u32_e32 v12, vcc_lo, 0, v11, vcc_lo
	s_delay_alu instid0(VALU_DEP_2) | instskip(SKIP_1) | instid1(VALU_DEP_3)
	v_cndmask_b32_e64 v8, v11, v8, s2
	v_cndmask_b32_e64 v7, v10, v7, s2
	v_cndmask_b32_e64 v6, v6, v12, s2
	v_cndmask_b32_e64 v5, v5, v14, s2
	s_delay_alu instid0(VALU_DEP_1) | instskip(SKIP_1) | instid1(SALU_CYCLE_1)
	v_cmp_ge_u64_e32 vcc_lo, v[5:6], v[7:8]
	s_or_b32 s11, vcc_lo, s11
	s_and_not1_b32 exec_lo, exec_lo, s11
	s_cbranch_execnz .LBB197_51
; %bb.52:
	s_set_inst_prefetch_distance 0x2
	s_or_b32 exec_lo, exec_lo, s11
.LBB197_53:
	s_mov_b32 s11, 0
	s_mov_b32 s2, exec_lo
	s_delay_alu instid0(VALU_DEP_1)
	v_cmpx_ne_u64_e64 s[20:21], v[5:6]
	s_cbranch_execz .LBB197_55
; %bb.54:
	v_lshlrev_b64 v[5:6], 3, v[5:6]
	s_delay_alu instid0(VALU_DEP_1) | instskip(NEXT) | instid1(VALU_DEP_2)
	v_add_co_u32 v5, vcc_lo, s18, v5
	v_add_co_ci_u32_e32 v6, vcc_lo, s19, v6, vcc_lo
	global_load_b64 v[5:6], v[5:6], off
	s_waitcnt vmcnt(0)
	v_cmp_le_u64_e32 vcc_lo, v[5:6], v[3:4]
	s_and_b32 s11, vcc_lo, exec_lo
.LBB197_55:
	s_or_b32 exec_lo, exec_lo, s2
	v_cmp_ne_u32_e32 vcc_lo, 1, v9
	v_add_co_u32 v3, s2, 0x240, v1
	v_mov_b32_e32 v5, 0
	v_add_co_ci_u32_e64 v4, s2, 0, v2, s2
	v_mov_b32_e32 v6, 0
	s_cbranch_vccnz .LBB197_59
; %bb.56:
	v_dual_mov_b32 v7, s20 :: v_dual_mov_b32 v8, s21
	s_mov_b32 s12, 0
	s_set_inst_prefetch_distance 0x1
	.p2align	6
.LBB197_57:                             ; =>This Inner Loop Header: Depth=1
	s_delay_alu instid0(VALU_DEP_1) | instskip(NEXT) | instid1(VALU_DEP_2)
	v_sub_co_u32 v10, vcc_lo, v7, v5
	v_sub_co_ci_u32_e32 v11, vcc_lo, v8, v6, vcc_lo
	s_delay_alu instid0(VALU_DEP_1) | instskip(SKIP_1) | instid1(VALU_DEP_2)
	v_lshrrev_b64 v[12:13], 1, v[10:11]
	v_lshrrev_b64 v[10:11], 6, v[10:11]
	v_add_co_u32 v12, vcc_lo, v12, v5
	s_delay_alu instid0(VALU_DEP_3) | instskip(NEXT) | instid1(VALU_DEP_2)
	v_add_co_ci_u32_e32 v13, vcc_lo, v13, v6, vcc_lo
	v_add_co_u32 v10, vcc_lo, v12, v10
	s_delay_alu instid0(VALU_DEP_2) | instskip(NEXT) | instid1(VALU_DEP_1)
	v_add_co_ci_u32_e32 v11, vcc_lo, v13, v11, vcc_lo
	v_lshlrev_b64 v[12:13], 3, v[10:11]
	s_delay_alu instid0(VALU_DEP_1) | instskip(NEXT) | instid1(VALU_DEP_2)
	v_add_co_u32 v12, vcc_lo, s18, v12
	v_add_co_ci_u32_e32 v13, vcc_lo, s19, v13, vcc_lo
	v_add_co_u32 v14, vcc_lo, v10, 1
	global_load_b64 v[12:13], v[12:13], off
	s_waitcnt vmcnt(0)
	v_cmp_lt_u64_e64 s2, v[12:13], v[3:4]
	v_add_co_ci_u32_e32 v12, vcc_lo, 0, v11, vcc_lo
	s_delay_alu instid0(VALU_DEP_2) | instskip(SKIP_1) | instid1(VALU_DEP_3)
	v_cndmask_b32_e64 v8, v11, v8, s2
	v_cndmask_b32_e64 v7, v10, v7, s2
	;; [unrolled: 1-line block ×4, first 2 shown]
	s_delay_alu instid0(VALU_DEP_1) | instskip(SKIP_1) | instid1(SALU_CYCLE_1)
	v_cmp_ge_u64_e32 vcc_lo, v[5:6], v[7:8]
	s_or_b32 s12, vcc_lo, s12
	s_and_not1_b32 exec_lo, exec_lo, s12
	s_cbranch_execnz .LBB197_57
; %bb.58:
	s_set_inst_prefetch_distance 0x2
	s_or_b32 exec_lo, exec_lo, s12
.LBB197_59:
	s_mov_b32 s12, 0
	s_mov_b32 s2, exec_lo
	s_delay_alu instid0(VALU_DEP_1)
	v_cmpx_ne_u64_e64 s[20:21], v[5:6]
	s_cbranch_execz .LBB197_61
; %bb.60:
	v_lshlrev_b64 v[5:6], 3, v[5:6]
	s_delay_alu instid0(VALU_DEP_1) | instskip(NEXT) | instid1(VALU_DEP_2)
	v_add_co_u32 v5, vcc_lo, s18, v5
	v_add_co_ci_u32_e32 v6, vcc_lo, s19, v6, vcc_lo
	global_load_b64 v[5:6], v[5:6], off
	s_waitcnt vmcnt(0)
	v_cmp_le_u64_e32 vcc_lo, v[5:6], v[3:4]
	s_and_b32 s12, vcc_lo, exec_lo
.LBB197_61:
	s_or_b32 exec_lo, exec_lo, s2
	v_cmp_ne_u32_e32 vcc_lo, 1, v9
	v_add_co_u32 v3, s2, 0x280, v1
	v_mov_b32_e32 v5, 0
	v_add_co_ci_u32_e64 v4, s2, 0, v2, s2
	v_mov_b32_e32 v6, 0
	s_cbranch_vccnz .LBB197_65
; %bb.62:
	v_dual_mov_b32 v7, s20 :: v_dual_mov_b32 v8, s21
	s_mov_b32 s13, 0
	s_set_inst_prefetch_distance 0x1
	.p2align	6
.LBB197_63:                             ; =>This Inner Loop Header: Depth=1
	s_delay_alu instid0(VALU_DEP_1) | instskip(NEXT) | instid1(VALU_DEP_2)
	v_sub_co_u32 v10, vcc_lo, v7, v5
	v_sub_co_ci_u32_e32 v11, vcc_lo, v8, v6, vcc_lo
	s_delay_alu instid0(VALU_DEP_1) | instskip(SKIP_1) | instid1(VALU_DEP_2)
	v_lshrrev_b64 v[12:13], 1, v[10:11]
	v_lshrrev_b64 v[10:11], 6, v[10:11]
	v_add_co_u32 v12, vcc_lo, v12, v5
	s_delay_alu instid0(VALU_DEP_3) | instskip(NEXT) | instid1(VALU_DEP_2)
	v_add_co_ci_u32_e32 v13, vcc_lo, v13, v6, vcc_lo
	v_add_co_u32 v10, vcc_lo, v12, v10
	s_delay_alu instid0(VALU_DEP_2) | instskip(NEXT) | instid1(VALU_DEP_1)
	v_add_co_ci_u32_e32 v11, vcc_lo, v13, v11, vcc_lo
	v_lshlrev_b64 v[12:13], 3, v[10:11]
	s_delay_alu instid0(VALU_DEP_1) | instskip(NEXT) | instid1(VALU_DEP_2)
	v_add_co_u32 v12, vcc_lo, s18, v12
	v_add_co_ci_u32_e32 v13, vcc_lo, s19, v13, vcc_lo
	v_add_co_u32 v14, vcc_lo, v10, 1
	global_load_b64 v[12:13], v[12:13], off
	s_waitcnt vmcnt(0)
	v_cmp_lt_u64_e64 s2, v[12:13], v[3:4]
	v_add_co_ci_u32_e32 v12, vcc_lo, 0, v11, vcc_lo
	s_delay_alu instid0(VALU_DEP_2) | instskip(SKIP_1) | instid1(VALU_DEP_3)
	v_cndmask_b32_e64 v8, v11, v8, s2
	v_cndmask_b32_e64 v7, v10, v7, s2
	;; [unrolled: 1-line block ×4, first 2 shown]
	s_delay_alu instid0(VALU_DEP_1) | instskip(SKIP_1) | instid1(SALU_CYCLE_1)
	v_cmp_ge_u64_e32 vcc_lo, v[5:6], v[7:8]
	s_or_b32 s13, vcc_lo, s13
	s_and_not1_b32 exec_lo, exec_lo, s13
	s_cbranch_execnz .LBB197_63
; %bb.64:
	s_set_inst_prefetch_distance 0x2
	s_or_b32 exec_lo, exec_lo, s13
.LBB197_65:
	s_mov_b32 s13, 0
	s_mov_b32 s2, exec_lo
	s_delay_alu instid0(VALU_DEP_1)
	v_cmpx_ne_u64_e64 s[20:21], v[5:6]
	s_cbranch_execz .LBB197_67
; %bb.66:
	v_lshlrev_b64 v[5:6], 3, v[5:6]
	s_delay_alu instid0(VALU_DEP_1) | instskip(NEXT) | instid1(VALU_DEP_2)
	v_add_co_u32 v5, vcc_lo, s18, v5
	v_add_co_ci_u32_e32 v6, vcc_lo, s19, v6, vcc_lo
	global_load_b64 v[5:6], v[5:6], off
	s_waitcnt vmcnt(0)
	v_cmp_le_u64_e32 vcc_lo, v[5:6], v[3:4]
	s_and_b32 s13, vcc_lo, exec_lo
.LBB197_67:
	s_or_b32 exec_lo, exec_lo, s2
	v_cmp_ne_u32_e32 vcc_lo, 1, v9
	v_add_co_u32 v3, s2, 0x2c0, v1
	v_mov_b32_e32 v5, 0
	v_add_co_ci_u32_e64 v4, s2, 0, v2, s2
	v_mov_b32_e32 v6, 0
	s_cbranch_vccnz .LBB197_71
; %bb.68:
	v_dual_mov_b32 v7, s20 :: v_dual_mov_b32 v8, s21
	s_mov_b32 s14, 0
	s_set_inst_prefetch_distance 0x1
	.p2align	6
.LBB197_69:                             ; =>This Inner Loop Header: Depth=1
	s_delay_alu instid0(VALU_DEP_1) | instskip(NEXT) | instid1(VALU_DEP_2)
	v_sub_co_u32 v10, vcc_lo, v7, v5
	v_sub_co_ci_u32_e32 v11, vcc_lo, v8, v6, vcc_lo
	s_delay_alu instid0(VALU_DEP_1) | instskip(SKIP_1) | instid1(VALU_DEP_2)
	v_lshrrev_b64 v[12:13], 1, v[10:11]
	v_lshrrev_b64 v[10:11], 6, v[10:11]
	v_add_co_u32 v12, vcc_lo, v12, v5
	s_delay_alu instid0(VALU_DEP_3) | instskip(NEXT) | instid1(VALU_DEP_2)
	v_add_co_ci_u32_e32 v13, vcc_lo, v13, v6, vcc_lo
	v_add_co_u32 v10, vcc_lo, v12, v10
	s_delay_alu instid0(VALU_DEP_2) | instskip(NEXT) | instid1(VALU_DEP_1)
	v_add_co_ci_u32_e32 v11, vcc_lo, v13, v11, vcc_lo
	v_lshlrev_b64 v[12:13], 3, v[10:11]
	s_delay_alu instid0(VALU_DEP_1) | instskip(NEXT) | instid1(VALU_DEP_2)
	v_add_co_u32 v12, vcc_lo, s18, v12
	v_add_co_ci_u32_e32 v13, vcc_lo, s19, v13, vcc_lo
	v_add_co_u32 v14, vcc_lo, v10, 1
	global_load_b64 v[12:13], v[12:13], off
	s_waitcnt vmcnt(0)
	v_cmp_lt_u64_e64 s2, v[12:13], v[3:4]
	v_add_co_ci_u32_e32 v12, vcc_lo, 0, v11, vcc_lo
	s_delay_alu instid0(VALU_DEP_2) | instskip(SKIP_1) | instid1(VALU_DEP_3)
	v_cndmask_b32_e64 v8, v11, v8, s2
	v_cndmask_b32_e64 v7, v10, v7, s2
	;; [unrolled: 1-line block ×4, first 2 shown]
	s_delay_alu instid0(VALU_DEP_1) | instskip(SKIP_1) | instid1(SALU_CYCLE_1)
	v_cmp_ge_u64_e32 vcc_lo, v[5:6], v[7:8]
	s_or_b32 s14, vcc_lo, s14
	s_and_not1_b32 exec_lo, exec_lo, s14
	s_cbranch_execnz .LBB197_69
; %bb.70:
	s_set_inst_prefetch_distance 0x2
	s_or_b32 exec_lo, exec_lo, s14
.LBB197_71:
	s_mov_b32 s14, 0
	s_mov_b32 s2, exec_lo
	s_delay_alu instid0(VALU_DEP_1)
	v_cmpx_ne_u64_e64 s[20:21], v[5:6]
	s_cbranch_execz .LBB197_73
; %bb.72:
	v_lshlrev_b64 v[5:6], 3, v[5:6]
	s_delay_alu instid0(VALU_DEP_1) | instskip(NEXT) | instid1(VALU_DEP_2)
	v_add_co_u32 v5, vcc_lo, s18, v5
	v_add_co_ci_u32_e32 v6, vcc_lo, s19, v6, vcc_lo
	global_load_b64 v[5:6], v[5:6], off
	s_waitcnt vmcnt(0)
	v_cmp_le_u64_e32 vcc_lo, v[5:6], v[3:4]
	s_and_b32 s14, vcc_lo, exec_lo
.LBB197_73:
	s_or_b32 exec_lo, exec_lo, s2
	v_cmp_ne_u32_e32 vcc_lo, 1, v9
	v_add_co_u32 v3, s2, 0x300, v1
	v_mov_b32_e32 v5, 0
	v_add_co_ci_u32_e64 v4, s2, 0, v2, s2
	v_mov_b32_e32 v6, 0
	s_cbranch_vccnz .LBB197_77
; %bb.74:
	v_dual_mov_b32 v7, s20 :: v_dual_mov_b32 v8, s21
	s_mov_b32 s15, 0
	s_set_inst_prefetch_distance 0x1
	.p2align	6
.LBB197_75:                             ; =>This Inner Loop Header: Depth=1
	s_delay_alu instid0(VALU_DEP_1) | instskip(NEXT) | instid1(VALU_DEP_2)
	v_sub_co_u32 v10, vcc_lo, v7, v5
	v_sub_co_ci_u32_e32 v11, vcc_lo, v8, v6, vcc_lo
	s_delay_alu instid0(VALU_DEP_1) | instskip(SKIP_1) | instid1(VALU_DEP_2)
	v_lshrrev_b64 v[12:13], 1, v[10:11]
	v_lshrrev_b64 v[10:11], 6, v[10:11]
	v_add_co_u32 v12, vcc_lo, v12, v5
	s_delay_alu instid0(VALU_DEP_3) | instskip(NEXT) | instid1(VALU_DEP_2)
	v_add_co_ci_u32_e32 v13, vcc_lo, v13, v6, vcc_lo
	v_add_co_u32 v10, vcc_lo, v12, v10
	s_delay_alu instid0(VALU_DEP_2) | instskip(NEXT) | instid1(VALU_DEP_1)
	v_add_co_ci_u32_e32 v11, vcc_lo, v13, v11, vcc_lo
	v_lshlrev_b64 v[12:13], 3, v[10:11]
	s_delay_alu instid0(VALU_DEP_1) | instskip(NEXT) | instid1(VALU_DEP_2)
	v_add_co_u32 v12, vcc_lo, s18, v12
	v_add_co_ci_u32_e32 v13, vcc_lo, s19, v13, vcc_lo
	v_add_co_u32 v14, vcc_lo, v10, 1
	global_load_b64 v[12:13], v[12:13], off
	s_waitcnt vmcnt(0)
	v_cmp_lt_u64_e64 s2, v[12:13], v[3:4]
	v_add_co_ci_u32_e32 v12, vcc_lo, 0, v11, vcc_lo
	s_delay_alu instid0(VALU_DEP_2) | instskip(SKIP_1) | instid1(VALU_DEP_3)
	v_cndmask_b32_e64 v8, v11, v8, s2
	v_cndmask_b32_e64 v7, v10, v7, s2
	;; [unrolled: 1-line block ×4, first 2 shown]
	s_delay_alu instid0(VALU_DEP_1) | instskip(SKIP_1) | instid1(SALU_CYCLE_1)
	v_cmp_ge_u64_e32 vcc_lo, v[5:6], v[7:8]
	s_or_b32 s15, vcc_lo, s15
	s_and_not1_b32 exec_lo, exec_lo, s15
	s_cbranch_execnz .LBB197_75
; %bb.76:
	s_set_inst_prefetch_distance 0x2
	s_or_b32 exec_lo, exec_lo, s15
.LBB197_77:
	s_mov_b32 s15, 0
	s_mov_b32 s2, exec_lo
	s_delay_alu instid0(VALU_DEP_1)
	v_cmpx_ne_u64_e64 s[20:21], v[5:6]
	s_cbranch_execz .LBB197_79
; %bb.78:
	v_lshlrev_b64 v[5:6], 3, v[5:6]
	s_delay_alu instid0(VALU_DEP_1) | instskip(NEXT) | instid1(VALU_DEP_2)
	v_add_co_u32 v5, vcc_lo, s18, v5
	v_add_co_ci_u32_e32 v6, vcc_lo, s19, v6, vcc_lo
	global_load_b64 v[5:6], v[5:6], off
	s_waitcnt vmcnt(0)
	v_cmp_le_u64_e32 vcc_lo, v[5:6], v[3:4]
	s_and_b32 s15, vcc_lo, exec_lo
.LBB197_79:
	s_or_b32 exec_lo, exec_lo, s2
	v_cmp_ne_u32_e32 vcc_lo, 1, v9
	v_add_co_u32 v3, s2, 0x340, v1
	v_mov_b32_e32 v5, 0
	v_add_co_ci_u32_e64 v4, s2, 0, v2, s2
	v_mov_b32_e32 v6, 0
	s_cbranch_vccnz .LBB197_83
; %bb.80:
	v_dual_mov_b32 v7, s20 :: v_dual_mov_b32 v8, s21
	s_mov_b32 s25, 0
	s_set_inst_prefetch_distance 0x1
	.p2align	6
.LBB197_81:                             ; =>This Inner Loop Header: Depth=1
	s_delay_alu instid0(VALU_DEP_1) | instskip(NEXT) | instid1(VALU_DEP_2)
	v_sub_co_u32 v10, vcc_lo, v7, v5
	v_sub_co_ci_u32_e32 v11, vcc_lo, v8, v6, vcc_lo
	s_delay_alu instid0(VALU_DEP_1) | instskip(SKIP_1) | instid1(VALU_DEP_2)
	v_lshrrev_b64 v[12:13], 1, v[10:11]
	v_lshrrev_b64 v[10:11], 6, v[10:11]
	v_add_co_u32 v12, vcc_lo, v12, v5
	s_delay_alu instid0(VALU_DEP_3) | instskip(NEXT) | instid1(VALU_DEP_2)
	v_add_co_ci_u32_e32 v13, vcc_lo, v13, v6, vcc_lo
	v_add_co_u32 v10, vcc_lo, v12, v10
	s_delay_alu instid0(VALU_DEP_2) | instskip(NEXT) | instid1(VALU_DEP_1)
	v_add_co_ci_u32_e32 v11, vcc_lo, v13, v11, vcc_lo
	v_lshlrev_b64 v[12:13], 3, v[10:11]
	s_delay_alu instid0(VALU_DEP_1) | instskip(NEXT) | instid1(VALU_DEP_2)
	v_add_co_u32 v12, vcc_lo, s18, v12
	v_add_co_ci_u32_e32 v13, vcc_lo, s19, v13, vcc_lo
	v_add_co_u32 v14, vcc_lo, v10, 1
	global_load_b64 v[12:13], v[12:13], off
	s_waitcnt vmcnt(0)
	v_cmp_lt_u64_e64 s2, v[12:13], v[3:4]
	v_add_co_ci_u32_e32 v12, vcc_lo, 0, v11, vcc_lo
	s_delay_alu instid0(VALU_DEP_2) | instskip(SKIP_1) | instid1(VALU_DEP_3)
	v_cndmask_b32_e64 v8, v11, v8, s2
	v_cndmask_b32_e64 v7, v10, v7, s2
	;; [unrolled: 1-line block ×4, first 2 shown]
	s_delay_alu instid0(VALU_DEP_1) | instskip(SKIP_1) | instid1(SALU_CYCLE_1)
	v_cmp_ge_u64_e32 vcc_lo, v[5:6], v[7:8]
	s_or_b32 s25, vcc_lo, s25
	s_and_not1_b32 exec_lo, exec_lo, s25
	s_cbranch_execnz .LBB197_81
; %bb.82:
	s_set_inst_prefetch_distance 0x2
	s_or_b32 exec_lo, exec_lo, s25
.LBB197_83:
	s_mov_b32 s25, 0
	s_mov_b32 s2, exec_lo
	s_delay_alu instid0(VALU_DEP_1)
	v_cmpx_ne_u64_e64 s[20:21], v[5:6]
	s_cbranch_execz .LBB197_85
; %bb.84:
	v_lshlrev_b64 v[5:6], 3, v[5:6]
	s_delay_alu instid0(VALU_DEP_1) | instskip(NEXT) | instid1(VALU_DEP_2)
	v_add_co_u32 v5, vcc_lo, s18, v5
	v_add_co_ci_u32_e32 v6, vcc_lo, s19, v6, vcc_lo
	global_load_b64 v[5:6], v[5:6], off
	s_waitcnt vmcnt(0)
	v_cmp_le_u64_e32 vcc_lo, v[5:6], v[3:4]
	s_and_b32 s25, vcc_lo, exec_lo
.LBB197_85:
	s_or_b32 exec_lo, exec_lo, s2
	v_cmp_ne_u32_e32 vcc_lo, 1, v9
	v_add_co_u32 v3, s2, 0x380, v1
	v_mov_b32_e32 v5, 0
	v_add_co_ci_u32_e64 v4, s2, 0, v2, s2
	v_mov_b32_e32 v6, 0
	s_cbranch_vccnz .LBB197_89
; %bb.86:
	v_dual_mov_b32 v7, s20 :: v_dual_mov_b32 v8, s21
	s_mov_b32 s26, 0
	s_set_inst_prefetch_distance 0x1
	.p2align	6
.LBB197_87:                             ; =>This Inner Loop Header: Depth=1
	s_delay_alu instid0(VALU_DEP_1) | instskip(NEXT) | instid1(VALU_DEP_2)
	v_sub_co_u32 v10, vcc_lo, v7, v5
	v_sub_co_ci_u32_e32 v11, vcc_lo, v8, v6, vcc_lo
	s_delay_alu instid0(VALU_DEP_1) | instskip(SKIP_1) | instid1(VALU_DEP_2)
	v_lshrrev_b64 v[12:13], 1, v[10:11]
	v_lshrrev_b64 v[10:11], 6, v[10:11]
	v_add_co_u32 v12, vcc_lo, v12, v5
	s_delay_alu instid0(VALU_DEP_3) | instskip(NEXT) | instid1(VALU_DEP_2)
	v_add_co_ci_u32_e32 v13, vcc_lo, v13, v6, vcc_lo
	v_add_co_u32 v10, vcc_lo, v12, v10
	s_delay_alu instid0(VALU_DEP_2) | instskip(NEXT) | instid1(VALU_DEP_1)
	v_add_co_ci_u32_e32 v11, vcc_lo, v13, v11, vcc_lo
	v_lshlrev_b64 v[12:13], 3, v[10:11]
	s_delay_alu instid0(VALU_DEP_1) | instskip(NEXT) | instid1(VALU_DEP_2)
	v_add_co_u32 v12, vcc_lo, s18, v12
	v_add_co_ci_u32_e32 v13, vcc_lo, s19, v13, vcc_lo
	v_add_co_u32 v14, vcc_lo, v10, 1
	global_load_b64 v[12:13], v[12:13], off
	s_waitcnt vmcnt(0)
	v_cmp_lt_u64_e64 s2, v[12:13], v[3:4]
	v_add_co_ci_u32_e32 v12, vcc_lo, 0, v11, vcc_lo
	s_delay_alu instid0(VALU_DEP_2) | instskip(SKIP_1) | instid1(VALU_DEP_3)
	v_cndmask_b32_e64 v8, v11, v8, s2
	v_cndmask_b32_e64 v7, v10, v7, s2
	;; [unrolled: 1-line block ×4, first 2 shown]
	s_delay_alu instid0(VALU_DEP_1) | instskip(SKIP_1) | instid1(SALU_CYCLE_1)
	v_cmp_ge_u64_e32 vcc_lo, v[5:6], v[7:8]
	s_or_b32 s26, vcc_lo, s26
	s_and_not1_b32 exec_lo, exec_lo, s26
	s_cbranch_execnz .LBB197_87
; %bb.88:
	s_set_inst_prefetch_distance 0x2
	s_or_b32 exec_lo, exec_lo, s26
.LBB197_89:
	s_mov_b32 s26, 0
	s_mov_b32 s2, exec_lo
	s_delay_alu instid0(VALU_DEP_1)
	v_cmpx_ne_u64_e64 s[20:21], v[5:6]
	s_cbranch_execz .LBB197_91
; %bb.90:
	v_lshlrev_b64 v[5:6], 3, v[5:6]
	s_delay_alu instid0(VALU_DEP_1) | instskip(NEXT) | instid1(VALU_DEP_2)
	v_add_co_u32 v5, vcc_lo, s18, v5
	v_add_co_ci_u32_e32 v6, vcc_lo, s19, v6, vcc_lo
	global_load_b64 v[5:6], v[5:6], off
	s_waitcnt vmcnt(0)
	v_cmp_le_u64_e32 vcc_lo, v[5:6], v[3:4]
	s_and_b32 s26, vcc_lo, exec_lo
.LBB197_91:
	s_or_b32 exec_lo, exec_lo, s2
	v_cmp_ne_u32_e32 vcc_lo, 1, v9
	v_add_co_u32 v1, s2, 0x3c0, v1
	v_mov_b32_e32 v3, 0
	v_add_co_ci_u32_e64 v2, s2, 0, v2, s2
	v_mov_b32_e32 v4, 0
	s_cbranch_vccnz .LBB197_95
; %bb.92:
	v_dual_mov_b32 v5, s20 :: v_dual_mov_b32 v6, s21
	s_mov_b32 s27, 0
	s_set_inst_prefetch_distance 0x1
	.p2align	6
.LBB197_93:                             ; =>This Inner Loop Header: Depth=1
	s_delay_alu instid0(VALU_DEP_1) | instskip(NEXT) | instid1(VALU_DEP_2)
	v_sub_co_u32 v7, vcc_lo, v5, v3
	v_sub_co_ci_u32_e32 v8, vcc_lo, v6, v4, vcc_lo
	s_delay_alu instid0(VALU_DEP_1) | instskip(SKIP_1) | instid1(VALU_DEP_2)
	v_lshrrev_b64 v[9:10], 1, v[7:8]
	v_lshrrev_b64 v[7:8], 6, v[7:8]
	v_add_co_u32 v9, vcc_lo, v9, v3
	s_delay_alu instid0(VALU_DEP_3) | instskip(NEXT) | instid1(VALU_DEP_2)
	v_add_co_ci_u32_e32 v10, vcc_lo, v10, v4, vcc_lo
	v_add_co_u32 v7, vcc_lo, v9, v7
	s_delay_alu instid0(VALU_DEP_2) | instskip(NEXT) | instid1(VALU_DEP_1)
	v_add_co_ci_u32_e32 v8, vcc_lo, v10, v8, vcc_lo
	v_lshlrev_b64 v[9:10], 3, v[7:8]
	s_delay_alu instid0(VALU_DEP_1) | instskip(NEXT) | instid1(VALU_DEP_2)
	v_add_co_u32 v9, vcc_lo, s18, v9
	v_add_co_ci_u32_e32 v10, vcc_lo, s19, v10, vcc_lo
	v_add_co_u32 v11, vcc_lo, v7, 1
	global_load_b64 v[9:10], v[9:10], off
	s_waitcnt vmcnt(0)
	v_cmp_lt_u64_e64 s2, v[9:10], v[1:2]
	v_add_co_ci_u32_e32 v9, vcc_lo, 0, v8, vcc_lo
	s_delay_alu instid0(VALU_DEP_2) | instskip(SKIP_1) | instid1(VALU_DEP_3)
	v_cndmask_b32_e64 v6, v8, v6, s2
	v_cndmask_b32_e64 v5, v7, v5, s2
	;; [unrolled: 1-line block ×4, first 2 shown]
	s_delay_alu instid0(VALU_DEP_1) | instskip(SKIP_1) | instid1(SALU_CYCLE_1)
	v_cmp_ge_u64_e32 vcc_lo, v[3:4], v[5:6]
	s_or_b32 s27, vcc_lo, s27
	s_and_not1_b32 exec_lo, exec_lo, s27
	s_cbranch_execnz .LBB197_93
; %bb.94:
	s_set_inst_prefetch_distance 0x2
	s_or_b32 exec_lo, exec_lo, s27
.LBB197_95:
	s_mov_b32 s2, 0
	s_mov_b32 s27, 0
	s_mov_b32 s28, exec_lo
	v_cmpx_ne_u64_e64 s[20:21], v[3:4]
	s_cbranch_execz .LBB197_97
; %bb.96:
	v_lshlrev_b64 v[3:4], 3, v[3:4]
	s_delay_alu instid0(VALU_DEP_1) | instskip(NEXT) | instid1(VALU_DEP_2)
	v_add_co_u32 v3, vcc_lo, s18, v3
	v_add_co_ci_u32_e32 v4, vcc_lo, s19, v4, vcc_lo
	global_load_b64 v[3:4], v[3:4], off
	s_waitcnt vmcnt(0)
	v_cmp_le_u64_e32 vcc_lo, v[3:4], v[1:2]
	s_and_b32 s27, vcc_lo, exec_lo
.LBB197_97:
	s_or_b32 exec_lo, exec_lo, s28
	v_cndmask_b32_e64 v15, 0, 1, s3
	s_add_u32 s3, s22, s23
	v_cndmask_b32_e64 v14, 0, 1, s7
	s_addc_u32 s7, s17, 0
	v_add_co_u32 v1, s3, s3, v0
	v_cndmask_b32_e64 v10, 0, 1, s11
	v_add_co_ci_u32_e64 v2, null, s7, 0, s3
	v_cndmask_b32_e64 v9, 0, 1, s12
	v_cndmask_b32_e64 v16, 0, 1, s4
	;; [unrolled: 1-line block ×13, first 2 shown]
	s_clause 0x7
	global_store_b8 v[1:2], v15, off
	global_store_b8 v[1:2], v16, off offset:64
	global_store_b8 v[1:2], v17, off offset:128
	;; [unrolled: 1-line block ×7, first 2 shown]
	s_mov_b32 s25, -1
	s_clause 0x6
	global_store_b8 v[1:2], v10, off offset:512
	global_store_b8 v[1:2], v9, off offset:576
	;; [unrolled: 1-line block ×7, first 2 shown]
	s_and_b32 vcc_lo, exec_lo, s2
	s_cbranch_vccnz .LBB197_99
	s_branch .LBB197_245
.LBB197_98:
                                        ; implicit-def: $vgpr3
                                        ; implicit-def: $vgpr1_vgpr2
	s_and_b32 vcc_lo, exec_lo, s2
	s_cbranch_vccz .LBB197_245
.LBB197_99:
	s_load_b32 s0, s[0:1], 0x10
                                        ; implicit-def: $vgpr7
	s_waitcnt lgkmcnt(0)
	s_sub_i32 s27, s0, s23
	s_cmp_lg_u64 s[20:21], 0
	v_cmp_gt_u32_e64 s0, s27, v0
	s_cselect_b32 s26, -1, 0
	s_delay_alu instid0(VALU_DEP_1)
	s_and_saveexec_b32 s2, s0
	s_cbranch_execz .LBB197_107
; %bb.100:
	v_add_co_u32 v1, s1, s16, v0
	v_mov_b32_e32 v3, 0
	v_add_co_ci_u32_e64 v2, null, s24, 0, s1
	v_mov_b32_e32 v4, 0
	s_and_not1_b32 vcc_lo, exec_lo, s26
	s_cbranch_vccnz .LBB197_104
; %bb.101:
	v_dual_mov_b32 v5, s20 :: v_dual_mov_b32 v6, s21
	s_mov_b32 s3, 0
	s_set_inst_prefetch_distance 0x1
	.p2align	6
.LBB197_102:                            ; =>This Inner Loop Header: Depth=1
	s_delay_alu instid0(VALU_DEP_1) | instskip(NEXT) | instid1(VALU_DEP_2)
	v_sub_co_u32 v7, vcc_lo, v5, v3
	v_sub_co_ci_u32_e32 v8, vcc_lo, v6, v4, vcc_lo
	s_delay_alu instid0(VALU_DEP_1) | instskip(SKIP_1) | instid1(VALU_DEP_2)
	v_lshrrev_b64 v[9:10], 1, v[7:8]
	v_lshrrev_b64 v[7:8], 6, v[7:8]
	v_add_co_u32 v9, vcc_lo, v9, v3
	s_delay_alu instid0(VALU_DEP_3) | instskip(NEXT) | instid1(VALU_DEP_2)
	v_add_co_ci_u32_e32 v10, vcc_lo, v10, v4, vcc_lo
	v_add_co_u32 v7, vcc_lo, v9, v7
	s_delay_alu instid0(VALU_DEP_2) | instskip(NEXT) | instid1(VALU_DEP_1)
	v_add_co_ci_u32_e32 v8, vcc_lo, v10, v8, vcc_lo
	v_lshlrev_b64 v[9:10], 3, v[7:8]
	s_delay_alu instid0(VALU_DEP_1) | instskip(NEXT) | instid1(VALU_DEP_2)
	v_add_co_u32 v9, vcc_lo, s18, v9
	v_add_co_ci_u32_e32 v10, vcc_lo, s19, v10, vcc_lo
	v_add_co_u32 v11, vcc_lo, v7, 1
	global_load_b64 v[9:10], v[9:10], off
	s_waitcnt vmcnt(0)
	v_cmp_lt_u64_e64 s1, v[9:10], v[1:2]
	v_add_co_ci_u32_e32 v9, vcc_lo, 0, v8, vcc_lo
	s_delay_alu instid0(VALU_DEP_2) | instskip(SKIP_1) | instid1(VALU_DEP_3)
	v_cndmask_b32_e64 v6, v8, v6, s1
	v_cndmask_b32_e64 v5, v7, v5, s1
	;; [unrolled: 1-line block ×4, first 2 shown]
	s_delay_alu instid0(VALU_DEP_1) | instskip(SKIP_1) | instid1(SALU_CYCLE_1)
	v_cmp_ge_u64_e32 vcc_lo, v[3:4], v[5:6]
	s_or_b32 s3, vcc_lo, s3
	s_and_not1_b32 exec_lo, exec_lo, s3
	s_cbranch_execnz .LBB197_102
; %bb.103:
	s_set_inst_prefetch_distance 0x2
	s_or_b32 exec_lo, exec_lo, s3
.LBB197_104:
	s_mov_b32 s3, 0
	s_mov_b32 s1, exec_lo
	v_cmpx_ne_u64_e64 s[20:21], v[3:4]
	s_cbranch_execz .LBB197_106
; %bb.105:
	v_lshlrev_b64 v[3:4], 3, v[3:4]
	s_delay_alu instid0(VALU_DEP_1) | instskip(NEXT) | instid1(VALU_DEP_2)
	v_add_co_u32 v3, vcc_lo, s18, v3
	v_add_co_ci_u32_e32 v4, vcc_lo, s19, v4, vcc_lo
	global_load_b64 v[3:4], v[3:4], off
	s_waitcnt vmcnt(0)
	v_cmp_le_u64_e32 vcc_lo, v[3:4], v[1:2]
	s_and_b32 s3, vcc_lo, exec_lo
.LBB197_106:
	s_or_b32 exec_lo, exec_lo, s1
	v_cndmask_b32_e64 v7, 0, 1, s3
.LBB197_107:
	s_or_b32 exec_lo, exec_lo, s2
	v_or_b32_e32 v1, 64, v0
                                        ; implicit-def: $vgpr8
	s_delay_alu instid0(VALU_DEP_1) | instskip(NEXT) | instid1(VALU_DEP_1)
	v_cmp_gt_u32_e64 s1, s27, v1
	s_and_saveexec_b32 s3, s1
	s_cbranch_execz .LBB197_115
; %bb.108:
	v_add_co_u32 v1, s2, s16, v1
	v_mov_b32_e32 v3, 0
	v_add_co_ci_u32_e64 v2, null, s24, 0, s2
	v_mov_b32_e32 v4, 0
	s_and_not1_b32 vcc_lo, exec_lo, s26
	s_cbranch_vccnz .LBB197_112
; %bb.109:
	v_dual_mov_b32 v5, s20 :: v_dual_mov_b32 v6, s21
	s_mov_b32 s4, 0
	s_set_inst_prefetch_distance 0x1
	.p2align	6
.LBB197_110:                            ; =>This Inner Loop Header: Depth=1
	s_delay_alu instid0(VALU_DEP_1) | instskip(NEXT) | instid1(VALU_DEP_2)
	v_sub_co_u32 v8, vcc_lo, v5, v3
	v_sub_co_ci_u32_e32 v9, vcc_lo, v6, v4, vcc_lo
	s_delay_alu instid0(VALU_DEP_1) | instskip(SKIP_1) | instid1(VALU_DEP_2)
	v_lshrrev_b64 v[10:11], 1, v[8:9]
	v_lshrrev_b64 v[8:9], 6, v[8:9]
	v_add_co_u32 v10, vcc_lo, v10, v3
	s_delay_alu instid0(VALU_DEP_3) | instskip(NEXT) | instid1(VALU_DEP_2)
	v_add_co_ci_u32_e32 v11, vcc_lo, v11, v4, vcc_lo
	v_add_co_u32 v8, vcc_lo, v10, v8
	s_delay_alu instid0(VALU_DEP_2) | instskip(NEXT) | instid1(VALU_DEP_1)
	v_add_co_ci_u32_e32 v9, vcc_lo, v11, v9, vcc_lo
	v_lshlrev_b64 v[10:11], 3, v[8:9]
	s_delay_alu instid0(VALU_DEP_1) | instskip(NEXT) | instid1(VALU_DEP_2)
	v_add_co_u32 v10, vcc_lo, s18, v10
	v_add_co_ci_u32_e32 v11, vcc_lo, s19, v11, vcc_lo
	v_add_co_u32 v12, vcc_lo, v8, 1
	global_load_b64 v[10:11], v[10:11], off
	s_waitcnt vmcnt(0)
	v_cmp_lt_u64_e64 s2, v[10:11], v[1:2]
	v_add_co_ci_u32_e32 v10, vcc_lo, 0, v9, vcc_lo
	s_delay_alu instid0(VALU_DEP_2) | instskip(SKIP_1) | instid1(VALU_DEP_3)
	v_cndmask_b32_e64 v6, v9, v6, s2
	v_cndmask_b32_e64 v5, v8, v5, s2
	;; [unrolled: 1-line block ×4, first 2 shown]
	s_delay_alu instid0(VALU_DEP_1) | instskip(SKIP_1) | instid1(SALU_CYCLE_1)
	v_cmp_ge_u64_e32 vcc_lo, v[3:4], v[5:6]
	s_or_b32 s4, vcc_lo, s4
	s_and_not1_b32 exec_lo, exec_lo, s4
	s_cbranch_execnz .LBB197_110
; %bb.111:
	s_set_inst_prefetch_distance 0x2
	s_or_b32 exec_lo, exec_lo, s4
.LBB197_112:
	s_mov_b32 s4, 0
	s_mov_b32 s2, exec_lo
	v_cmpx_ne_u64_e64 s[20:21], v[3:4]
	s_cbranch_execz .LBB197_114
; %bb.113:
	v_lshlrev_b64 v[3:4], 3, v[3:4]
	s_delay_alu instid0(VALU_DEP_1) | instskip(NEXT) | instid1(VALU_DEP_2)
	v_add_co_u32 v3, vcc_lo, s18, v3
	v_add_co_ci_u32_e32 v4, vcc_lo, s19, v4, vcc_lo
	global_load_b64 v[3:4], v[3:4], off
	s_waitcnt vmcnt(0)
	v_cmp_le_u64_e32 vcc_lo, v[3:4], v[1:2]
	s_and_b32 s4, vcc_lo, exec_lo
.LBB197_114:
	s_or_b32 exec_lo, exec_lo, s2
	v_cndmask_b32_e64 v8, 0, 1, s4
.LBB197_115:
	s_or_b32 exec_lo, exec_lo, s3
	v_or_b32_e32 v1, 0x80, v0
                                        ; implicit-def: $vgpr9
	s_delay_alu instid0(VALU_DEP_1) | instskip(NEXT) | instid1(VALU_DEP_1)
	v_cmp_gt_u32_e64 s2, s27, v1
	s_and_saveexec_b32 s4, s2
	s_cbranch_execz .LBB197_123
; %bb.116:
	v_add_co_u32 v1, s3, s16, v1
	v_mov_b32_e32 v3, 0
	v_add_co_ci_u32_e64 v2, null, s24, 0, s3
	v_mov_b32_e32 v4, 0
	s_and_not1_b32 vcc_lo, exec_lo, s26
	s_cbranch_vccnz .LBB197_120
; %bb.117:
	v_dual_mov_b32 v5, s20 :: v_dual_mov_b32 v6, s21
	s_mov_b32 s5, 0
	s_set_inst_prefetch_distance 0x1
	.p2align	6
.LBB197_118:                            ; =>This Inner Loop Header: Depth=1
	s_delay_alu instid0(VALU_DEP_1) | instskip(NEXT) | instid1(VALU_DEP_2)
	v_sub_co_u32 v9, vcc_lo, v5, v3
	v_sub_co_ci_u32_e32 v10, vcc_lo, v6, v4, vcc_lo
	s_delay_alu instid0(VALU_DEP_1) | instskip(SKIP_1) | instid1(VALU_DEP_2)
	v_lshrrev_b64 v[11:12], 1, v[9:10]
	v_lshrrev_b64 v[9:10], 6, v[9:10]
	v_add_co_u32 v11, vcc_lo, v11, v3
	s_delay_alu instid0(VALU_DEP_3) | instskip(NEXT) | instid1(VALU_DEP_2)
	v_add_co_ci_u32_e32 v12, vcc_lo, v12, v4, vcc_lo
	v_add_co_u32 v9, vcc_lo, v11, v9
	s_delay_alu instid0(VALU_DEP_2) | instskip(NEXT) | instid1(VALU_DEP_1)
	v_add_co_ci_u32_e32 v10, vcc_lo, v12, v10, vcc_lo
	v_lshlrev_b64 v[11:12], 3, v[9:10]
	s_delay_alu instid0(VALU_DEP_1) | instskip(NEXT) | instid1(VALU_DEP_2)
	v_add_co_u32 v11, vcc_lo, s18, v11
	v_add_co_ci_u32_e32 v12, vcc_lo, s19, v12, vcc_lo
	v_add_co_u32 v13, vcc_lo, v9, 1
	global_load_b64 v[11:12], v[11:12], off
	s_waitcnt vmcnt(0)
	v_cmp_lt_u64_e64 s3, v[11:12], v[1:2]
	v_add_co_ci_u32_e32 v11, vcc_lo, 0, v10, vcc_lo
	s_delay_alu instid0(VALU_DEP_2) | instskip(SKIP_1) | instid1(VALU_DEP_3)
	v_cndmask_b32_e64 v6, v10, v6, s3
	v_cndmask_b32_e64 v5, v9, v5, s3
	v_cndmask_b32_e64 v4, v4, v11, s3
	v_cndmask_b32_e64 v3, v3, v13, s3
	s_delay_alu instid0(VALU_DEP_1) | instskip(SKIP_1) | instid1(SALU_CYCLE_1)
	v_cmp_ge_u64_e32 vcc_lo, v[3:4], v[5:6]
	s_or_b32 s5, vcc_lo, s5
	s_and_not1_b32 exec_lo, exec_lo, s5
	s_cbranch_execnz .LBB197_118
; %bb.119:
	s_set_inst_prefetch_distance 0x2
	s_or_b32 exec_lo, exec_lo, s5
.LBB197_120:
	s_mov_b32 s5, 0
	s_mov_b32 s3, exec_lo
	v_cmpx_ne_u64_e64 s[20:21], v[3:4]
	s_cbranch_execz .LBB197_122
; %bb.121:
	v_lshlrev_b64 v[3:4], 3, v[3:4]
	s_delay_alu instid0(VALU_DEP_1) | instskip(NEXT) | instid1(VALU_DEP_2)
	v_add_co_u32 v3, vcc_lo, s18, v3
	v_add_co_ci_u32_e32 v4, vcc_lo, s19, v4, vcc_lo
	global_load_b64 v[3:4], v[3:4], off
	s_waitcnt vmcnt(0)
	v_cmp_le_u64_e32 vcc_lo, v[3:4], v[1:2]
	s_and_b32 s5, vcc_lo, exec_lo
.LBB197_122:
	s_or_b32 exec_lo, exec_lo, s3
	v_cndmask_b32_e64 v9, 0, 1, s5
.LBB197_123:
	s_or_b32 exec_lo, exec_lo, s4
	v_or_b32_e32 v1, 0xc0, v0
                                        ; implicit-def: $vgpr10
	s_delay_alu instid0(VALU_DEP_1) | instskip(NEXT) | instid1(VALU_DEP_1)
	v_cmp_gt_u32_e64 s3, s27, v1
	s_and_saveexec_b32 s5, s3
	s_cbranch_execz .LBB197_131
; %bb.124:
	v_add_co_u32 v1, s4, s16, v1
	v_mov_b32_e32 v3, 0
	v_add_co_ci_u32_e64 v2, null, s24, 0, s4
	v_mov_b32_e32 v4, 0
	s_and_not1_b32 vcc_lo, exec_lo, s26
	s_cbranch_vccnz .LBB197_128
; %bb.125:
	v_dual_mov_b32 v5, s20 :: v_dual_mov_b32 v6, s21
	s_mov_b32 s6, 0
	s_set_inst_prefetch_distance 0x1
	.p2align	6
.LBB197_126:                            ; =>This Inner Loop Header: Depth=1
	s_delay_alu instid0(VALU_DEP_1) | instskip(NEXT) | instid1(VALU_DEP_2)
	v_sub_co_u32 v10, vcc_lo, v5, v3
	v_sub_co_ci_u32_e32 v11, vcc_lo, v6, v4, vcc_lo
	s_delay_alu instid0(VALU_DEP_1) | instskip(SKIP_1) | instid1(VALU_DEP_2)
	v_lshrrev_b64 v[12:13], 1, v[10:11]
	v_lshrrev_b64 v[10:11], 6, v[10:11]
	v_add_co_u32 v12, vcc_lo, v12, v3
	s_delay_alu instid0(VALU_DEP_3) | instskip(NEXT) | instid1(VALU_DEP_2)
	v_add_co_ci_u32_e32 v13, vcc_lo, v13, v4, vcc_lo
	v_add_co_u32 v10, vcc_lo, v12, v10
	s_delay_alu instid0(VALU_DEP_2) | instskip(NEXT) | instid1(VALU_DEP_1)
	v_add_co_ci_u32_e32 v11, vcc_lo, v13, v11, vcc_lo
	v_lshlrev_b64 v[12:13], 3, v[10:11]
	s_delay_alu instid0(VALU_DEP_1) | instskip(NEXT) | instid1(VALU_DEP_2)
	v_add_co_u32 v12, vcc_lo, s18, v12
	v_add_co_ci_u32_e32 v13, vcc_lo, s19, v13, vcc_lo
	v_add_co_u32 v14, vcc_lo, v10, 1
	global_load_b64 v[12:13], v[12:13], off
	s_waitcnt vmcnt(0)
	v_cmp_lt_u64_e64 s4, v[12:13], v[1:2]
	v_add_co_ci_u32_e32 v12, vcc_lo, 0, v11, vcc_lo
	s_delay_alu instid0(VALU_DEP_2) | instskip(SKIP_1) | instid1(VALU_DEP_3)
	v_cndmask_b32_e64 v6, v11, v6, s4
	v_cndmask_b32_e64 v5, v10, v5, s4
	;; [unrolled: 1-line block ×4, first 2 shown]
	s_delay_alu instid0(VALU_DEP_1) | instskip(SKIP_1) | instid1(SALU_CYCLE_1)
	v_cmp_ge_u64_e32 vcc_lo, v[3:4], v[5:6]
	s_or_b32 s6, vcc_lo, s6
	s_and_not1_b32 exec_lo, exec_lo, s6
	s_cbranch_execnz .LBB197_126
; %bb.127:
	s_set_inst_prefetch_distance 0x2
	s_or_b32 exec_lo, exec_lo, s6
.LBB197_128:
	s_mov_b32 s6, 0
	s_mov_b32 s4, exec_lo
	v_cmpx_ne_u64_e64 s[20:21], v[3:4]
	s_cbranch_execz .LBB197_130
; %bb.129:
	v_lshlrev_b64 v[3:4], 3, v[3:4]
	s_delay_alu instid0(VALU_DEP_1) | instskip(NEXT) | instid1(VALU_DEP_2)
	v_add_co_u32 v3, vcc_lo, s18, v3
	v_add_co_ci_u32_e32 v4, vcc_lo, s19, v4, vcc_lo
	global_load_b64 v[3:4], v[3:4], off
	s_waitcnt vmcnt(0)
	v_cmp_le_u64_e32 vcc_lo, v[3:4], v[1:2]
	s_and_b32 s6, vcc_lo, exec_lo
.LBB197_130:
	s_or_b32 exec_lo, exec_lo, s4
	v_cndmask_b32_e64 v10, 0, 1, s6
.LBB197_131:
	s_or_b32 exec_lo, exec_lo, s5
	v_or_b32_e32 v1, 0x100, v0
                                        ; implicit-def: $vgpr11
	s_delay_alu instid0(VALU_DEP_1) | instskip(NEXT) | instid1(VALU_DEP_1)
	v_cmp_gt_u32_e64 s4, s27, v1
	s_and_saveexec_b32 s6, s4
	s_cbranch_execz .LBB197_139
; %bb.132:
	v_add_co_u32 v1, s5, s16, v1
	v_mov_b32_e32 v3, 0
	v_add_co_ci_u32_e64 v2, null, s24, 0, s5
	v_mov_b32_e32 v4, 0
	s_and_not1_b32 vcc_lo, exec_lo, s26
	s_cbranch_vccnz .LBB197_136
; %bb.133:
	v_dual_mov_b32 v5, s20 :: v_dual_mov_b32 v6, s21
	s_mov_b32 s7, 0
	s_set_inst_prefetch_distance 0x1
	.p2align	6
.LBB197_134:                            ; =>This Inner Loop Header: Depth=1
	s_delay_alu instid0(VALU_DEP_1) | instskip(NEXT) | instid1(VALU_DEP_2)
	v_sub_co_u32 v11, vcc_lo, v5, v3
	v_sub_co_ci_u32_e32 v12, vcc_lo, v6, v4, vcc_lo
	s_delay_alu instid0(VALU_DEP_1) | instskip(SKIP_1) | instid1(VALU_DEP_2)
	v_lshrrev_b64 v[13:14], 1, v[11:12]
	v_lshrrev_b64 v[11:12], 6, v[11:12]
	v_add_co_u32 v13, vcc_lo, v13, v3
	s_delay_alu instid0(VALU_DEP_3) | instskip(NEXT) | instid1(VALU_DEP_2)
	v_add_co_ci_u32_e32 v14, vcc_lo, v14, v4, vcc_lo
	v_add_co_u32 v11, vcc_lo, v13, v11
	s_delay_alu instid0(VALU_DEP_2) | instskip(NEXT) | instid1(VALU_DEP_1)
	v_add_co_ci_u32_e32 v12, vcc_lo, v14, v12, vcc_lo
	v_lshlrev_b64 v[13:14], 3, v[11:12]
	s_delay_alu instid0(VALU_DEP_1) | instskip(NEXT) | instid1(VALU_DEP_2)
	v_add_co_u32 v13, vcc_lo, s18, v13
	v_add_co_ci_u32_e32 v14, vcc_lo, s19, v14, vcc_lo
	v_add_co_u32 v15, vcc_lo, v11, 1
	global_load_b64 v[13:14], v[13:14], off
	s_waitcnt vmcnt(0)
	v_cmp_lt_u64_e64 s5, v[13:14], v[1:2]
	v_add_co_ci_u32_e32 v13, vcc_lo, 0, v12, vcc_lo
	s_delay_alu instid0(VALU_DEP_2) | instskip(SKIP_1) | instid1(VALU_DEP_3)
	v_cndmask_b32_e64 v6, v12, v6, s5
	v_cndmask_b32_e64 v5, v11, v5, s5
	;; [unrolled: 1-line block ×4, first 2 shown]
	s_delay_alu instid0(VALU_DEP_1) | instskip(SKIP_1) | instid1(SALU_CYCLE_1)
	v_cmp_ge_u64_e32 vcc_lo, v[3:4], v[5:6]
	s_or_b32 s7, vcc_lo, s7
	s_and_not1_b32 exec_lo, exec_lo, s7
	s_cbranch_execnz .LBB197_134
; %bb.135:
	s_set_inst_prefetch_distance 0x2
	s_or_b32 exec_lo, exec_lo, s7
.LBB197_136:
	s_mov_b32 s7, 0
	s_mov_b32 s5, exec_lo
	v_cmpx_ne_u64_e64 s[20:21], v[3:4]
	s_cbranch_execz .LBB197_138
; %bb.137:
	v_lshlrev_b64 v[3:4], 3, v[3:4]
	s_delay_alu instid0(VALU_DEP_1) | instskip(NEXT) | instid1(VALU_DEP_2)
	v_add_co_u32 v3, vcc_lo, s18, v3
	v_add_co_ci_u32_e32 v4, vcc_lo, s19, v4, vcc_lo
	global_load_b64 v[3:4], v[3:4], off
	s_waitcnt vmcnt(0)
	v_cmp_le_u64_e32 vcc_lo, v[3:4], v[1:2]
	s_and_b32 s7, vcc_lo, exec_lo
.LBB197_138:
	s_or_b32 exec_lo, exec_lo, s5
	v_cndmask_b32_e64 v11, 0, 1, s7
.LBB197_139:
	s_or_b32 exec_lo, exec_lo, s6
	v_or_b32_e32 v1, 0x140, v0
                                        ; implicit-def: $vgpr12
	s_delay_alu instid0(VALU_DEP_1) | instskip(NEXT) | instid1(VALU_DEP_1)
	v_cmp_gt_u32_e64 s5, s27, v1
	s_and_saveexec_b32 s7, s5
	s_cbranch_execz .LBB197_147
; %bb.140:
	v_add_co_u32 v1, s6, s16, v1
	v_mov_b32_e32 v3, 0
	v_add_co_ci_u32_e64 v2, null, s24, 0, s6
	v_mov_b32_e32 v4, 0
	s_and_not1_b32 vcc_lo, exec_lo, s26
	s_cbranch_vccnz .LBB197_144
; %bb.141:
	v_dual_mov_b32 v5, s20 :: v_dual_mov_b32 v6, s21
	s_mov_b32 s8, 0
	s_set_inst_prefetch_distance 0x1
	.p2align	6
.LBB197_142:                            ; =>This Inner Loop Header: Depth=1
	s_delay_alu instid0(VALU_DEP_1) | instskip(NEXT) | instid1(VALU_DEP_2)
	v_sub_co_u32 v12, vcc_lo, v5, v3
	v_sub_co_ci_u32_e32 v13, vcc_lo, v6, v4, vcc_lo
	s_delay_alu instid0(VALU_DEP_1) | instskip(SKIP_1) | instid1(VALU_DEP_2)
	v_lshrrev_b64 v[14:15], 1, v[12:13]
	v_lshrrev_b64 v[12:13], 6, v[12:13]
	v_add_co_u32 v14, vcc_lo, v14, v3
	s_delay_alu instid0(VALU_DEP_3) | instskip(NEXT) | instid1(VALU_DEP_2)
	v_add_co_ci_u32_e32 v15, vcc_lo, v15, v4, vcc_lo
	v_add_co_u32 v12, vcc_lo, v14, v12
	s_delay_alu instid0(VALU_DEP_2) | instskip(NEXT) | instid1(VALU_DEP_1)
	v_add_co_ci_u32_e32 v13, vcc_lo, v15, v13, vcc_lo
	v_lshlrev_b64 v[14:15], 3, v[12:13]
	s_delay_alu instid0(VALU_DEP_1) | instskip(NEXT) | instid1(VALU_DEP_2)
	v_add_co_u32 v14, vcc_lo, s18, v14
	v_add_co_ci_u32_e32 v15, vcc_lo, s19, v15, vcc_lo
	v_add_co_u32 v16, vcc_lo, v12, 1
	global_load_b64 v[14:15], v[14:15], off
	s_waitcnt vmcnt(0)
	v_cmp_lt_u64_e64 s6, v[14:15], v[1:2]
	v_add_co_ci_u32_e32 v14, vcc_lo, 0, v13, vcc_lo
	s_delay_alu instid0(VALU_DEP_2) | instskip(SKIP_1) | instid1(VALU_DEP_3)
	v_cndmask_b32_e64 v6, v13, v6, s6
	v_cndmask_b32_e64 v5, v12, v5, s6
	;; [unrolled: 1-line block ×4, first 2 shown]
	s_delay_alu instid0(VALU_DEP_1) | instskip(SKIP_1) | instid1(SALU_CYCLE_1)
	v_cmp_ge_u64_e32 vcc_lo, v[3:4], v[5:6]
	s_or_b32 s8, vcc_lo, s8
	s_and_not1_b32 exec_lo, exec_lo, s8
	s_cbranch_execnz .LBB197_142
; %bb.143:
	s_set_inst_prefetch_distance 0x2
	s_or_b32 exec_lo, exec_lo, s8
.LBB197_144:
	s_mov_b32 s8, 0
	s_mov_b32 s6, exec_lo
	v_cmpx_ne_u64_e64 s[20:21], v[3:4]
	s_cbranch_execz .LBB197_146
; %bb.145:
	v_lshlrev_b64 v[3:4], 3, v[3:4]
	s_delay_alu instid0(VALU_DEP_1) | instskip(NEXT) | instid1(VALU_DEP_2)
	v_add_co_u32 v3, vcc_lo, s18, v3
	v_add_co_ci_u32_e32 v4, vcc_lo, s19, v4, vcc_lo
	global_load_b64 v[3:4], v[3:4], off
	s_waitcnt vmcnt(0)
	v_cmp_le_u64_e32 vcc_lo, v[3:4], v[1:2]
	s_and_b32 s8, vcc_lo, exec_lo
.LBB197_146:
	s_or_b32 exec_lo, exec_lo, s6
	v_cndmask_b32_e64 v12, 0, 1, s8
.LBB197_147:
	s_or_b32 exec_lo, exec_lo, s7
	v_or_b32_e32 v1, 0x180, v0
                                        ; implicit-def: $vgpr13
	s_delay_alu instid0(VALU_DEP_1) | instskip(NEXT) | instid1(VALU_DEP_1)
	v_cmp_gt_u32_e64 s6, s27, v1
	s_and_saveexec_b32 s8, s6
	s_cbranch_execz .LBB197_155
; %bb.148:
	v_add_co_u32 v1, s7, s16, v1
	v_mov_b32_e32 v3, 0
	v_add_co_ci_u32_e64 v2, null, s24, 0, s7
	v_mov_b32_e32 v4, 0
	s_and_not1_b32 vcc_lo, exec_lo, s26
	s_cbranch_vccnz .LBB197_152
; %bb.149:
	v_dual_mov_b32 v5, s20 :: v_dual_mov_b32 v6, s21
	s_mov_b32 s9, 0
	s_set_inst_prefetch_distance 0x1
	.p2align	6
.LBB197_150:                            ; =>This Inner Loop Header: Depth=1
	s_delay_alu instid0(VALU_DEP_1) | instskip(NEXT) | instid1(VALU_DEP_2)
	v_sub_co_u32 v13, vcc_lo, v5, v3
	v_sub_co_ci_u32_e32 v14, vcc_lo, v6, v4, vcc_lo
	s_delay_alu instid0(VALU_DEP_1) | instskip(SKIP_1) | instid1(VALU_DEP_2)
	v_lshrrev_b64 v[15:16], 1, v[13:14]
	v_lshrrev_b64 v[13:14], 6, v[13:14]
	v_add_co_u32 v15, vcc_lo, v15, v3
	s_delay_alu instid0(VALU_DEP_3) | instskip(NEXT) | instid1(VALU_DEP_2)
	v_add_co_ci_u32_e32 v16, vcc_lo, v16, v4, vcc_lo
	v_add_co_u32 v13, vcc_lo, v15, v13
	s_delay_alu instid0(VALU_DEP_2) | instskip(NEXT) | instid1(VALU_DEP_1)
	v_add_co_ci_u32_e32 v14, vcc_lo, v16, v14, vcc_lo
	v_lshlrev_b64 v[15:16], 3, v[13:14]
	s_delay_alu instid0(VALU_DEP_1) | instskip(NEXT) | instid1(VALU_DEP_2)
	v_add_co_u32 v15, vcc_lo, s18, v15
	v_add_co_ci_u32_e32 v16, vcc_lo, s19, v16, vcc_lo
	v_add_co_u32 v17, vcc_lo, v13, 1
	global_load_b64 v[15:16], v[15:16], off
	s_waitcnt vmcnt(0)
	v_cmp_lt_u64_e64 s7, v[15:16], v[1:2]
	v_add_co_ci_u32_e32 v15, vcc_lo, 0, v14, vcc_lo
	s_delay_alu instid0(VALU_DEP_2) | instskip(SKIP_1) | instid1(VALU_DEP_3)
	v_cndmask_b32_e64 v6, v14, v6, s7
	v_cndmask_b32_e64 v5, v13, v5, s7
	v_cndmask_b32_e64 v4, v4, v15, s7
	v_cndmask_b32_e64 v3, v3, v17, s7
	s_delay_alu instid0(VALU_DEP_1) | instskip(SKIP_1) | instid1(SALU_CYCLE_1)
	v_cmp_ge_u64_e32 vcc_lo, v[3:4], v[5:6]
	s_or_b32 s9, vcc_lo, s9
	s_and_not1_b32 exec_lo, exec_lo, s9
	s_cbranch_execnz .LBB197_150
; %bb.151:
	s_set_inst_prefetch_distance 0x2
	s_or_b32 exec_lo, exec_lo, s9
.LBB197_152:
	s_mov_b32 s9, 0
	s_mov_b32 s7, exec_lo
	v_cmpx_ne_u64_e64 s[20:21], v[3:4]
	s_cbranch_execz .LBB197_154
; %bb.153:
	v_lshlrev_b64 v[3:4], 3, v[3:4]
	s_delay_alu instid0(VALU_DEP_1) | instskip(NEXT) | instid1(VALU_DEP_2)
	v_add_co_u32 v3, vcc_lo, s18, v3
	v_add_co_ci_u32_e32 v4, vcc_lo, s19, v4, vcc_lo
	global_load_b64 v[3:4], v[3:4], off
	s_waitcnt vmcnt(0)
	v_cmp_le_u64_e32 vcc_lo, v[3:4], v[1:2]
	s_and_b32 s9, vcc_lo, exec_lo
.LBB197_154:
	s_or_b32 exec_lo, exec_lo, s7
	v_cndmask_b32_e64 v13, 0, 1, s9
.LBB197_155:
	s_or_b32 exec_lo, exec_lo, s8
	v_or_b32_e32 v1, 0x1c0, v0
                                        ; implicit-def: $vgpr14
	s_delay_alu instid0(VALU_DEP_1) | instskip(NEXT) | instid1(VALU_DEP_1)
	v_cmp_gt_u32_e64 s7, s27, v1
	s_and_saveexec_b32 s9, s7
	s_cbranch_execz .LBB197_163
; %bb.156:
	v_add_co_u32 v1, s8, s16, v1
	v_mov_b32_e32 v3, 0
	v_add_co_ci_u32_e64 v2, null, s24, 0, s8
	v_mov_b32_e32 v4, 0
	s_and_not1_b32 vcc_lo, exec_lo, s26
	s_cbranch_vccnz .LBB197_160
; %bb.157:
	v_dual_mov_b32 v5, s20 :: v_dual_mov_b32 v6, s21
	s_mov_b32 s10, 0
	s_set_inst_prefetch_distance 0x1
	.p2align	6
.LBB197_158:                            ; =>This Inner Loop Header: Depth=1
	s_delay_alu instid0(VALU_DEP_1) | instskip(NEXT) | instid1(VALU_DEP_2)
	v_sub_co_u32 v14, vcc_lo, v5, v3
	v_sub_co_ci_u32_e32 v15, vcc_lo, v6, v4, vcc_lo
	s_delay_alu instid0(VALU_DEP_1) | instskip(SKIP_1) | instid1(VALU_DEP_2)
	v_lshrrev_b64 v[16:17], 1, v[14:15]
	v_lshrrev_b64 v[14:15], 6, v[14:15]
	v_add_co_u32 v16, vcc_lo, v16, v3
	s_delay_alu instid0(VALU_DEP_3) | instskip(NEXT) | instid1(VALU_DEP_2)
	v_add_co_ci_u32_e32 v17, vcc_lo, v17, v4, vcc_lo
	v_add_co_u32 v14, vcc_lo, v16, v14
	s_delay_alu instid0(VALU_DEP_2) | instskip(NEXT) | instid1(VALU_DEP_1)
	v_add_co_ci_u32_e32 v15, vcc_lo, v17, v15, vcc_lo
	v_lshlrev_b64 v[16:17], 3, v[14:15]
	s_delay_alu instid0(VALU_DEP_1) | instskip(NEXT) | instid1(VALU_DEP_2)
	v_add_co_u32 v16, vcc_lo, s18, v16
	v_add_co_ci_u32_e32 v17, vcc_lo, s19, v17, vcc_lo
	v_add_co_u32 v18, vcc_lo, v14, 1
	global_load_b64 v[16:17], v[16:17], off
	s_waitcnt vmcnt(0)
	v_cmp_lt_u64_e64 s8, v[16:17], v[1:2]
	v_add_co_ci_u32_e32 v16, vcc_lo, 0, v15, vcc_lo
	s_delay_alu instid0(VALU_DEP_2) | instskip(SKIP_1) | instid1(VALU_DEP_3)
	v_cndmask_b32_e64 v6, v15, v6, s8
	v_cndmask_b32_e64 v5, v14, v5, s8
	;; [unrolled: 1-line block ×4, first 2 shown]
	s_delay_alu instid0(VALU_DEP_1) | instskip(SKIP_1) | instid1(SALU_CYCLE_1)
	v_cmp_ge_u64_e32 vcc_lo, v[3:4], v[5:6]
	s_or_b32 s10, vcc_lo, s10
	s_and_not1_b32 exec_lo, exec_lo, s10
	s_cbranch_execnz .LBB197_158
; %bb.159:
	s_set_inst_prefetch_distance 0x2
	s_or_b32 exec_lo, exec_lo, s10
.LBB197_160:
	s_mov_b32 s10, 0
	s_mov_b32 s8, exec_lo
	v_cmpx_ne_u64_e64 s[20:21], v[3:4]
	s_cbranch_execz .LBB197_162
; %bb.161:
	v_lshlrev_b64 v[3:4], 3, v[3:4]
	s_delay_alu instid0(VALU_DEP_1) | instskip(NEXT) | instid1(VALU_DEP_2)
	v_add_co_u32 v3, vcc_lo, s18, v3
	v_add_co_ci_u32_e32 v4, vcc_lo, s19, v4, vcc_lo
	global_load_b64 v[3:4], v[3:4], off
	s_waitcnt vmcnt(0)
	v_cmp_le_u64_e32 vcc_lo, v[3:4], v[1:2]
	s_and_b32 s10, vcc_lo, exec_lo
.LBB197_162:
	s_or_b32 exec_lo, exec_lo, s8
	v_cndmask_b32_e64 v14, 0, 1, s10
.LBB197_163:
	s_or_b32 exec_lo, exec_lo, s9
	v_or_b32_e32 v1, 0x200, v0
                                        ; implicit-def: $vgpr15
	s_delay_alu instid0(VALU_DEP_1) | instskip(NEXT) | instid1(VALU_DEP_1)
	v_cmp_gt_u32_e64 s8, s27, v1
	s_and_saveexec_b32 s10, s8
	s_cbranch_execz .LBB197_171
; %bb.164:
	v_add_co_u32 v1, s9, s16, v1
	v_mov_b32_e32 v3, 0
	v_add_co_ci_u32_e64 v2, null, s24, 0, s9
	v_mov_b32_e32 v4, 0
	s_and_not1_b32 vcc_lo, exec_lo, s26
	s_cbranch_vccnz .LBB197_168
; %bb.165:
	v_dual_mov_b32 v5, s20 :: v_dual_mov_b32 v6, s21
	s_mov_b32 s11, 0
	s_set_inst_prefetch_distance 0x1
	.p2align	6
.LBB197_166:                            ; =>This Inner Loop Header: Depth=1
	s_delay_alu instid0(VALU_DEP_1) | instskip(NEXT) | instid1(VALU_DEP_2)
	v_sub_co_u32 v15, vcc_lo, v5, v3
	v_sub_co_ci_u32_e32 v16, vcc_lo, v6, v4, vcc_lo
	s_delay_alu instid0(VALU_DEP_1) | instskip(SKIP_1) | instid1(VALU_DEP_2)
	v_lshrrev_b64 v[17:18], 1, v[15:16]
	v_lshrrev_b64 v[15:16], 6, v[15:16]
	v_add_co_u32 v17, vcc_lo, v17, v3
	s_delay_alu instid0(VALU_DEP_3) | instskip(NEXT) | instid1(VALU_DEP_2)
	v_add_co_ci_u32_e32 v18, vcc_lo, v18, v4, vcc_lo
	v_add_co_u32 v15, vcc_lo, v17, v15
	s_delay_alu instid0(VALU_DEP_2) | instskip(NEXT) | instid1(VALU_DEP_1)
	v_add_co_ci_u32_e32 v16, vcc_lo, v18, v16, vcc_lo
	v_lshlrev_b64 v[17:18], 3, v[15:16]
	s_delay_alu instid0(VALU_DEP_1) | instskip(NEXT) | instid1(VALU_DEP_2)
	v_add_co_u32 v17, vcc_lo, s18, v17
	v_add_co_ci_u32_e32 v18, vcc_lo, s19, v18, vcc_lo
	v_add_co_u32 v19, vcc_lo, v15, 1
	global_load_b64 v[17:18], v[17:18], off
	s_waitcnt vmcnt(0)
	v_cmp_lt_u64_e64 s9, v[17:18], v[1:2]
	v_add_co_ci_u32_e32 v17, vcc_lo, 0, v16, vcc_lo
	s_delay_alu instid0(VALU_DEP_2) | instskip(SKIP_1) | instid1(VALU_DEP_3)
	v_cndmask_b32_e64 v6, v16, v6, s9
	v_cndmask_b32_e64 v5, v15, v5, s9
	;; [unrolled: 1-line block ×4, first 2 shown]
	s_delay_alu instid0(VALU_DEP_1) | instskip(SKIP_1) | instid1(SALU_CYCLE_1)
	v_cmp_ge_u64_e32 vcc_lo, v[3:4], v[5:6]
	s_or_b32 s11, vcc_lo, s11
	s_and_not1_b32 exec_lo, exec_lo, s11
	s_cbranch_execnz .LBB197_166
; %bb.167:
	s_set_inst_prefetch_distance 0x2
	s_or_b32 exec_lo, exec_lo, s11
.LBB197_168:
	s_mov_b32 s11, 0
	s_mov_b32 s9, exec_lo
	v_cmpx_ne_u64_e64 s[20:21], v[3:4]
	s_cbranch_execz .LBB197_170
; %bb.169:
	v_lshlrev_b64 v[3:4], 3, v[3:4]
	s_delay_alu instid0(VALU_DEP_1) | instskip(NEXT) | instid1(VALU_DEP_2)
	v_add_co_u32 v3, vcc_lo, s18, v3
	v_add_co_ci_u32_e32 v4, vcc_lo, s19, v4, vcc_lo
	global_load_b64 v[3:4], v[3:4], off
	s_waitcnt vmcnt(0)
	v_cmp_le_u64_e32 vcc_lo, v[3:4], v[1:2]
	s_and_b32 s11, vcc_lo, exec_lo
.LBB197_170:
	s_or_b32 exec_lo, exec_lo, s9
	v_cndmask_b32_e64 v15, 0, 1, s11
.LBB197_171:
	s_or_b32 exec_lo, exec_lo, s10
	v_or_b32_e32 v1, 0x240, v0
                                        ; implicit-def: $vgpr16
	s_delay_alu instid0(VALU_DEP_1) | instskip(NEXT) | instid1(VALU_DEP_1)
	v_cmp_gt_u32_e64 s9, s27, v1
	s_and_saveexec_b32 s11, s9
	s_cbranch_execz .LBB197_179
; %bb.172:
	v_add_co_u32 v1, s10, s16, v1
	v_mov_b32_e32 v3, 0
	v_add_co_ci_u32_e64 v2, null, s24, 0, s10
	v_mov_b32_e32 v4, 0
	s_and_not1_b32 vcc_lo, exec_lo, s26
	s_cbranch_vccnz .LBB197_176
; %bb.173:
	v_dual_mov_b32 v5, s20 :: v_dual_mov_b32 v6, s21
	s_mov_b32 s12, 0
	s_set_inst_prefetch_distance 0x1
	.p2align	6
.LBB197_174:                            ; =>This Inner Loop Header: Depth=1
	s_delay_alu instid0(VALU_DEP_1) | instskip(NEXT) | instid1(VALU_DEP_2)
	v_sub_co_u32 v16, vcc_lo, v5, v3
	v_sub_co_ci_u32_e32 v17, vcc_lo, v6, v4, vcc_lo
	s_delay_alu instid0(VALU_DEP_1) | instskip(SKIP_1) | instid1(VALU_DEP_2)
	v_lshrrev_b64 v[18:19], 1, v[16:17]
	v_lshrrev_b64 v[16:17], 6, v[16:17]
	v_add_co_u32 v18, vcc_lo, v18, v3
	s_delay_alu instid0(VALU_DEP_3) | instskip(NEXT) | instid1(VALU_DEP_2)
	v_add_co_ci_u32_e32 v19, vcc_lo, v19, v4, vcc_lo
	v_add_co_u32 v16, vcc_lo, v18, v16
	s_delay_alu instid0(VALU_DEP_2) | instskip(NEXT) | instid1(VALU_DEP_1)
	v_add_co_ci_u32_e32 v17, vcc_lo, v19, v17, vcc_lo
	v_lshlrev_b64 v[18:19], 3, v[16:17]
	s_delay_alu instid0(VALU_DEP_1) | instskip(NEXT) | instid1(VALU_DEP_2)
	v_add_co_u32 v18, vcc_lo, s18, v18
	v_add_co_ci_u32_e32 v19, vcc_lo, s19, v19, vcc_lo
	v_add_co_u32 v20, vcc_lo, v16, 1
	global_load_b64 v[18:19], v[18:19], off
	s_waitcnt vmcnt(0)
	v_cmp_lt_u64_e64 s10, v[18:19], v[1:2]
	v_add_co_ci_u32_e32 v18, vcc_lo, 0, v17, vcc_lo
	s_delay_alu instid0(VALU_DEP_2) | instskip(SKIP_1) | instid1(VALU_DEP_3)
	v_cndmask_b32_e64 v6, v17, v6, s10
	v_cndmask_b32_e64 v5, v16, v5, s10
	;; [unrolled: 1-line block ×4, first 2 shown]
	s_delay_alu instid0(VALU_DEP_1) | instskip(SKIP_1) | instid1(SALU_CYCLE_1)
	v_cmp_ge_u64_e32 vcc_lo, v[3:4], v[5:6]
	s_or_b32 s12, vcc_lo, s12
	s_and_not1_b32 exec_lo, exec_lo, s12
	s_cbranch_execnz .LBB197_174
; %bb.175:
	s_set_inst_prefetch_distance 0x2
	s_or_b32 exec_lo, exec_lo, s12
.LBB197_176:
	s_mov_b32 s12, 0
	s_mov_b32 s10, exec_lo
	v_cmpx_ne_u64_e64 s[20:21], v[3:4]
	s_cbranch_execz .LBB197_178
; %bb.177:
	v_lshlrev_b64 v[3:4], 3, v[3:4]
	s_delay_alu instid0(VALU_DEP_1) | instskip(NEXT) | instid1(VALU_DEP_2)
	v_add_co_u32 v3, vcc_lo, s18, v3
	v_add_co_ci_u32_e32 v4, vcc_lo, s19, v4, vcc_lo
	global_load_b64 v[3:4], v[3:4], off
	s_waitcnt vmcnt(0)
	v_cmp_le_u64_e32 vcc_lo, v[3:4], v[1:2]
	s_and_b32 s12, vcc_lo, exec_lo
.LBB197_178:
	s_or_b32 exec_lo, exec_lo, s10
	v_cndmask_b32_e64 v16, 0, 1, s12
.LBB197_179:
	s_or_b32 exec_lo, exec_lo, s11
	v_or_b32_e32 v1, 0x280, v0
                                        ; implicit-def: $vgpr17
	s_delay_alu instid0(VALU_DEP_1) | instskip(NEXT) | instid1(VALU_DEP_1)
	v_cmp_gt_u32_e64 s10, s27, v1
	s_and_saveexec_b32 s12, s10
	s_cbranch_execz .LBB197_187
; %bb.180:
	v_add_co_u32 v1, s11, s16, v1
	v_mov_b32_e32 v3, 0
	v_add_co_ci_u32_e64 v2, null, s24, 0, s11
	v_mov_b32_e32 v4, 0
	s_and_not1_b32 vcc_lo, exec_lo, s26
	s_cbranch_vccnz .LBB197_184
; %bb.181:
	v_dual_mov_b32 v5, s20 :: v_dual_mov_b32 v6, s21
	s_mov_b32 s13, 0
	s_set_inst_prefetch_distance 0x1
	.p2align	6
.LBB197_182:                            ; =>This Inner Loop Header: Depth=1
	s_delay_alu instid0(VALU_DEP_1) | instskip(NEXT) | instid1(VALU_DEP_2)
	v_sub_co_u32 v17, vcc_lo, v5, v3
	v_sub_co_ci_u32_e32 v18, vcc_lo, v6, v4, vcc_lo
	s_delay_alu instid0(VALU_DEP_1) | instskip(SKIP_1) | instid1(VALU_DEP_2)
	v_lshrrev_b64 v[19:20], 1, v[17:18]
	v_lshrrev_b64 v[17:18], 6, v[17:18]
	v_add_co_u32 v19, vcc_lo, v19, v3
	s_delay_alu instid0(VALU_DEP_3) | instskip(NEXT) | instid1(VALU_DEP_2)
	v_add_co_ci_u32_e32 v20, vcc_lo, v20, v4, vcc_lo
	v_add_co_u32 v17, vcc_lo, v19, v17
	s_delay_alu instid0(VALU_DEP_2) | instskip(NEXT) | instid1(VALU_DEP_1)
	v_add_co_ci_u32_e32 v18, vcc_lo, v20, v18, vcc_lo
	v_lshlrev_b64 v[19:20], 3, v[17:18]
	s_delay_alu instid0(VALU_DEP_1) | instskip(NEXT) | instid1(VALU_DEP_2)
	v_add_co_u32 v19, vcc_lo, s18, v19
	v_add_co_ci_u32_e32 v20, vcc_lo, s19, v20, vcc_lo
	v_add_co_u32 v21, vcc_lo, v17, 1
	global_load_b64 v[19:20], v[19:20], off
	s_waitcnt vmcnt(0)
	v_cmp_lt_u64_e64 s11, v[19:20], v[1:2]
	v_add_co_ci_u32_e32 v19, vcc_lo, 0, v18, vcc_lo
	s_delay_alu instid0(VALU_DEP_2) | instskip(SKIP_1) | instid1(VALU_DEP_3)
	v_cndmask_b32_e64 v6, v18, v6, s11
	v_cndmask_b32_e64 v5, v17, v5, s11
	;; [unrolled: 1-line block ×4, first 2 shown]
	s_delay_alu instid0(VALU_DEP_1) | instskip(SKIP_1) | instid1(SALU_CYCLE_1)
	v_cmp_ge_u64_e32 vcc_lo, v[3:4], v[5:6]
	s_or_b32 s13, vcc_lo, s13
	s_and_not1_b32 exec_lo, exec_lo, s13
	s_cbranch_execnz .LBB197_182
; %bb.183:
	s_set_inst_prefetch_distance 0x2
	s_or_b32 exec_lo, exec_lo, s13
.LBB197_184:
	s_mov_b32 s13, 0
	s_mov_b32 s11, exec_lo
	v_cmpx_ne_u64_e64 s[20:21], v[3:4]
	s_cbranch_execz .LBB197_186
; %bb.185:
	v_lshlrev_b64 v[3:4], 3, v[3:4]
	s_delay_alu instid0(VALU_DEP_1) | instskip(NEXT) | instid1(VALU_DEP_2)
	v_add_co_u32 v3, vcc_lo, s18, v3
	v_add_co_ci_u32_e32 v4, vcc_lo, s19, v4, vcc_lo
	global_load_b64 v[3:4], v[3:4], off
	s_waitcnt vmcnt(0)
	v_cmp_le_u64_e32 vcc_lo, v[3:4], v[1:2]
	s_and_b32 s13, vcc_lo, exec_lo
.LBB197_186:
	s_or_b32 exec_lo, exec_lo, s11
	v_cndmask_b32_e64 v17, 0, 1, s13
.LBB197_187:
	s_or_b32 exec_lo, exec_lo, s12
	v_or_b32_e32 v1, 0x2c0, v0
                                        ; implicit-def: $vgpr18
	s_delay_alu instid0(VALU_DEP_1) | instskip(NEXT) | instid1(VALU_DEP_1)
	v_cmp_gt_u32_e64 s11, s27, v1
	s_and_saveexec_b32 s13, s11
	s_cbranch_execz .LBB197_195
; %bb.188:
	v_add_co_u32 v1, s12, s16, v1
	v_mov_b32_e32 v3, 0
	v_add_co_ci_u32_e64 v2, null, s24, 0, s12
	v_mov_b32_e32 v4, 0
	s_and_not1_b32 vcc_lo, exec_lo, s26
	s_cbranch_vccnz .LBB197_192
; %bb.189:
	v_dual_mov_b32 v5, s20 :: v_dual_mov_b32 v6, s21
	s_mov_b32 s14, 0
	s_set_inst_prefetch_distance 0x1
	.p2align	6
.LBB197_190:                            ; =>This Inner Loop Header: Depth=1
	s_delay_alu instid0(VALU_DEP_1) | instskip(NEXT) | instid1(VALU_DEP_2)
	v_sub_co_u32 v18, vcc_lo, v5, v3
	v_sub_co_ci_u32_e32 v19, vcc_lo, v6, v4, vcc_lo
	s_delay_alu instid0(VALU_DEP_1) | instskip(SKIP_1) | instid1(VALU_DEP_2)
	v_lshrrev_b64 v[20:21], 1, v[18:19]
	v_lshrrev_b64 v[18:19], 6, v[18:19]
	v_add_co_u32 v20, vcc_lo, v20, v3
	s_delay_alu instid0(VALU_DEP_3) | instskip(NEXT) | instid1(VALU_DEP_2)
	v_add_co_ci_u32_e32 v21, vcc_lo, v21, v4, vcc_lo
	v_add_co_u32 v18, vcc_lo, v20, v18
	s_delay_alu instid0(VALU_DEP_2) | instskip(NEXT) | instid1(VALU_DEP_1)
	v_add_co_ci_u32_e32 v19, vcc_lo, v21, v19, vcc_lo
	v_lshlrev_b64 v[20:21], 3, v[18:19]
	s_delay_alu instid0(VALU_DEP_1) | instskip(NEXT) | instid1(VALU_DEP_2)
	v_add_co_u32 v20, vcc_lo, s18, v20
	v_add_co_ci_u32_e32 v21, vcc_lo, s19, v21, vcc_lo
	v_add_co_u32 v22, vcc_lo, v18, 1
	global_load_b64 v[20:21], v[20:21], off
	s_waitcnt vmcnt(0)
	v_cmp_lt_u64_e64 s12, v[20:21], v[1:2]
	v_add_co_ci_u32_e32 v20, vcc_lo, 0, v19, vcc_lo
	s_delay_alu instid0(VALU_DEP_2) | instskip(SKIP_1) | instid1(VALU_DEP_3)
	v_cndmask_b32_e64 v6, v19, v6, s12
	v_cndmask_b32_e64 v5, v18, v5, s12
	;; [unrolled: 1-line block ×4, first 2 shown]
	s_delay_alu instid0(VALU_DEP_1) | instskip(SKIP_1) | instid1(SALU_CYCLE_1)
	v_cmp_ge_u64_e32 vcc_lo, v[3:4], v[5:6]
	s_or_b32 s14, vcc_lo, s14
	s_and_not1_b32 exec_lo, exec_lo, s14
	s_cbranch_execnz .LBB197_190
; %bb.191:
	s_set_inst_prefetch_distance 0x2
	s_or_b32 exec_lo, exec_lo, s14
.LBB197_192:
	s_mov_b32 s14, 0
	s_mov_b32 s12, exec_lo
	v_cmpx_ne_u64_e64 s[20:21], v[3:4]
	s_cbranch_execz .LBB197_194
; %bb.193:
	v_lshlrev_b64 v[3:4], 3, v[3:4]
	s_delay_alu instid0(VALU_DEP_1) | instskip(NEXT) | instid1(VALU_DEP_2)
	v_add_co_u32 v3, vcc_lo, s18, v3
	v_add_co_ci_u32_e32 v4, vcc_lo, s19, v4, vcc_lo
	global_load_b64 v[3:4], v[3:4], off
	s_waitcnt vmcnt(0)
	v_cmp_le_u64_e32 vcc_lo, v[3:4], v[1:2]
	s_and_b32 s14, vcc_lo, exec_lo
.LBB197_194:
	s_or_b32 exec_lo, exec_lo, s12
	v_cndmask_b32_e64 v18, 0, 1, s14
.LBB197_195:
	s_or_b32 exec_lo, exec_lo, s13
	v_or_b32_e32 v1, 0x300, v0
                                        ; implicit-def: $vgpr19
	s_delay_alu instid0(VALU_DEP_1) | instskip(NEXT) | instid1(VALU_DEP_1)
	v_cmp_gt_u32_e64 s12, s27, v1
	s_and_saveexec_b32 s14, s12
	s_cbranch_execz .LBB197_203
; %bb.196:
	v_add_co_u32 v1, s13, s16, v1
	v_mov_b32_e32 v3, 0
	v_add_co_ci_u32_e64 v2, null, s24, 0, s13
	v_mov_b32_e32 v4, 0
	s_and_not1_b32 vcc_lo, exec_lo, s26
	s_cbranch_vccnz .LBB197_200
; %bb.197:
	v_dual_mov_b32 v5, s20 :: v_dual_mov_b32 v6, s21
	s_mov_b32 s15, 0
	s_set_inst_prefetch_distance 0x1
	.p2align	6
.LBB197_198:                            ; =>This Inner Loop Header: Depth=1
	s_delay_alu instid0(VALU_DEP_1) | instskip(NEXT) | instid1(VALU_DEP_2)
	v_sub_co_u32 v19, vcc_lo, v5, v3
	v_sub_co_ci_u32_e32 v20, vcc_lo, v6, v4, vcc_lo
	s_delay_alu instid0(VALU_DEP_1) | instskip(SKIP_1) | instid1(VALU_DEP_2)
	v_lshrrev_b64 v[21:22], 1, v[19:20]
	v_lshrrev_b64 v[19:20], 6, v[19:20]
	v_add_co_u32 v21, vcc_lo, v21, v3
	s_delay_alu instid0(VALU_DEP_3) | instskip(NEXT) | instid1(VALU_DEP_2)
	v_add_co_ci_u32_e32 v22, vcc_lo, v22, v4, vcc_lo
	v_add_co_u32 v19, vcc_lo, v21, v19
	s_delay_alu instid0(VALU_DEP_2) | instskip(NEXT) | instid1(VALU_DEP_1)
	v_add_co_ci_u32_e32 v20, vcc_lo, v22, v20, vcc_lo
	v_lshlrev_b64 v[21:22], 3, v[19:20]
	s_delay_alu instid0(VALU_DEP_1) | instskip(NEXT) | instid1(VALU_DEP_2)
	v_add_co_u32 v21, vcc_lo, s18, v21
	v_add_co_ci_u32_e32 v22, vcc_lo, s19, v22, vcc_lo
	v_add_co_u32 v23, vcc_lo, v19, 1
	global_load_b64 v[21:22], v[21:22], off
	s_waitcnt vmcnt(0)
	v_cmp_lt_u64_e64 s13, v[21:22], v[1:2]
	v_add_co_ci_u32_e32 v21, vcc_lo, 0, v20, vcc_lo
	s_delay_alu instid0(VALU_DEP_2) | instskip(SKIP_1) | instid1(VALU_DEP_3)
	v_cndmask_b32_e64 v6, v20, v6, s13
	v_cndmask_b32_e64 v5, v19, v5, s13
	;; [unrolled: 1-line block ×4, first 2 shown]
	s_delay_alu instid0(VALU_DEP_1) | instskip(SKIP_1) | instid1(SALU_CYCLE_1)
	v_cmp_ge_u64_e32 vcc_lo, v[3:4], v[5:6]
	s_or_b32 s15, vcc_lo, s15
	s_and_not1_b32 exec_lo, exec_lo, s15
	s_cbranch_execnz .LBB197_198
; %bb.199:
	s_set_inst_prefetch_distance 0x2
	s_or_b32 exec_lo, exec_lo, s15
.LBB197_200:
	s_mov_b32 s15, 0
	s_mov_b32 s13, exec_lo
	v_cmpx_ne_u64_e64 s[20:21], v[3:4]
	s_cbranch_execz .LBB197_202
; %bb.201:
	v_lshlrev_b64 v[3:4], 3, v[3:4]
	s_delay_alu instid0(VALU_DEP_1) | instskip(NEXT) | instid1(VALU_DEP_2)
	v_add_co_u32 v3, vcc_lo, s18, v3
	v_add_co_ci_u32_e32 v4, vcc_lo, s19, v4, vcc_lo
	global_load_b64 v[3:4], v[3:4], off
	s_waitcnt vmcnt(0)
	v_cmp_le_u64_e32 vcc_lo, v[3:4], v[1:2]
	s_and_b32 s15, vcc_lo, exec_lo
.LBB197_202:
	s_or_b32 exec_lo, exec_lo, s13
	v_cndmask_b32_e64 v19, 0, 1, s15
.LBB197_203:
	s_or_b32 exec_lo, exec_lo, s14
	v_or_b32_e32 v1, 0x340, v0
                                        ; implicit-def: $vgpr20
	s_delay_alu instid0(VALU_DEP_1) | instskip(NEXT) | instid1(VALU_DEP_1)
	v_cmp_gt_u32_e64 s13, s27, v1
	s_and_saveexec_b32 s15, s13
	s_cbranch_execz .LBB197_211
; %bb.204:
	v_add_co_u32 v1, s14, s16, v1
	v_mov_b32_e32 v3, 0
	v_add_co_ci_u32_e64 v2, null, s24, 0, s14
	v_mov_b32_e32 v4, 0
	s_and_not1_b32 vcc_lo, exec_lo, s26
	s_cbranch_vccnz .LBB197_208
; %bb.205:
	v_dual_mov_b32 v5, s20 :: v_dual_mov_b32 v6, s21
	s_mov_b32 s28, 0
	s_set_inst_prefetch_distance 0x1
	.p2align	6
.LBB197_206:                            ; =>This Inner Loop Header: Depth=1
	s_delay_alu instid0(VALU_DEP_1) | instskip(NEXT) | instid1(VALU_DEP_2)
	v_sub_co_u32 v20, vcc_lo, v5, v3
	v_sub_co_ci_u32_e32 v21, vcc_lo, v6, v4, vcc_lo
	s_delay_alu instid0(VALU_DEP_1) | instskip(SKIP_1) | instid1(VALU_DEP_2)
	v_lshrrev_b64 v[22:23], 1, v[20:21]
	v_lshrrev_b64 v[20:21], 6, v[20:21]
	v_add_co_u32 v22, vcc_lo, v22, v3
	s_delay_alu instid0(VALU_DEP_3) | instskip(NEXT) | instid1(VALU_DEP_2)
	v_add_co_ci_u32_e32 v23, vcc_lo, v23, v4, vcc_lo
	v_add_co_u32 v20, vcc_lo, v22, v20
	s_delay_alu instid0(VALU_DEP_2) | instskip(NEXT) | instid1(VALU_DEP_1)
	v_add_co_ci_u32_e32 v21, vcc_lo, v23, v21, vcc_lo
	v_lshlrev_b64 v[22:23], 3, v[20:21]
	s_delay_alu instid0(VALU_DEP_1) | instskip(NEXT) | instid1(VALU_DEP_2)
	v_add_co_u32 v22, vcc_lo, s18, v22
	v_add_co_ci_u32_e32 v23, vcc_lo, s19, v23, vcc_lo
	v_add_co_u32 v24, vcc_lo, v20, 1
	global_load_b64 v[22:23], v[22:23], off
	s_waitcnt vmcnt(0)
	v_cmp_lt_u64_e64 s14, v[22:23], v[1:2]
	v_add_co_ci_u32_e32 v22, vcc_lo, 0, v21, vcc_lo
	s_delay_alu instid0(VALU_DEP_2) | instskip(SKIP_1) | instid1(VALU_DEP_3)
	v_cndmask_b32_e64 v6, v21, v6, s14
	v_cndmask_b32_e64 v5, v20, v5, s14
	;; [unrolled: 1-line block ×4, first 2 shown]
	s_delay_alu instid0(VALU_DEP_1) | instskip(SKIP_1) | instid1(SALU_CYCLE_1)
	v_cmp_ge_u64_e32 vcc_lo, v[3:4], v[5:6]
	s_or_b32 s28, vcc_lo, s28
	s_and_not1_b32 exec_lo, exec_lo, s28
	s_cbranch_execnz .LBB197_206
; %bb.207:
	s_set_inst_prefetch_distance 0x2
	s_or_b32 exec_lo, exec_lo, s28
.LBB197_208:
	s_mov_b32 s28, 0
	s_mov_b32 s14, exec_lo
	v_cmpx_ne_u64_e64 s[20:21], v[3:4]
	s_cbranch_execz .LBB197_210
; %bb.209:
	v_lshlrev_b64 v[3:4], 3, v[3:4]
	s_delay_alu instid0(VALU_DEP_1) | instskip(NEXT) | instid1(VALU_DEP_2)
	v_add_co_u32 v3, vcc_lo, s18, v3
	v_add_co_ci_u32_e32 v4, vcc_lo, s19, v4, vcc_lo
	global_load_b64 v[3:4], v[3:4], off
	s_waitcnt vmcnt(0)
	v_cmp_le_u64_e32 vcc_lo, v[3:4], v[1:2]
	s_and_b32 s28, vcc_lo, exec_lo
.LBB197_210:
	s_or_b32 exec_lo, exec_lo, s14
	v_cndmask_b32_e64 v20, 0, 1, s28
.LBB197_211:
	s_or_b32 exec_lo, exec_lo, s15
	v_or_b32_e32 v1, 0x380, v0
                                        ; implicit-def: $vgpr21
	s_delay_alu instid0(VALU_DEP_1) | instskip(NEXT) | instid1(VALU_DEP_1)
	v_cmp_gt_u32_e64 s14, s27, v1
	s_and_saveexec_b32 s28, s14
	s_cbranch_execz .LBB197_219
; %bb.212:
	v_add_co_u32 v1, s15, s16, v1
	v_mov_b32_e32 v3, 0
	v_add_co_ci_u32_e64 v2, null, s24, 0, s15
	v_mov_b32_e32 v4, 0
	s_and_not1_b32 vcc_lo, exec_lo, s26
	s_cbranch_vccnz .LBB197_216
; %bb.213:
	v_dual_mov_b32 v5, s20 :: v_dual_mov_b32 v6, s21
	s_mov_b32 s29, 0
	s_set_inst_prefetch_distance 0x1
	.p2align	6
.LBB197_214:                            ; =>This Inner Loop Header: Depth=1
	s_delay_alu instid0(VALU_DEP_1) | instskip(NEXT) | instid1(VALU_DEP_2)
	v_sub_co_u32 v21, vcc_lo, v5, v3
	v_sub_co_ci_u32_e32 v22, vcc_lo, v6, v4, vcc_lo
	s_delay_alu instid0(VALU_DEP_1) | instskip(SKIP_1) | instid1(VALU_DEP_2)
	v_lshrrev_b64 v[23:24], 1, v[21:22]
	v_lshrrev_b64 v[21:22], 6, v[21:22]
	v_add_co_u32 v23, vcc_lo, v23, v3
	s_delay_alu instid0(VALU_DEP_3) | instskip(NEXT) | instid1(VALU_DEP_2)
	v_add_co_ci_u32_e32 v24, vcc_lo, v24, v4, vcc_lo
	v_add_co_u32 v21, vcc_lo, v23, v21
	s_delay_alu instid0(VALU_DEP_2) | instskip(NEXT) | instid1(VALU_DEP_1)
	v_add_co_ci_u32_e32 v22, vcc_lo, v24, v22, vcc_lo
	v_lshlrev_b64 v[23:24], 3, v[21:22]
	s_delay_alu instid0(VALU_DEP_1) | instskip(NEXT) | instid1(VALU_DEP_2)
	v_add_co_u32 v23, vcc_lo, s18, v23
	v_add_co_ci_u32_e32 v24, vcc_lo, s19, v24, vcc_lo
	v_add_co_u32 v25, vcc_lo, v21, 1
	global_load_b64 v[23:24], v[23:24], off
	s_waitcnt vmcnt(0)
	v_cmp_lt_u64_e64 s15, v[23:24], v[1:2]
	v_add_co_ci_u32_e32 v23, vcc_lo, 0, v22, vcc_lo
	s_delay_alu instid0(VALU_DEP_2) | instskip(SKIP_1) | instid1(VALU_DEP_3)
	v_cndmask_b32_e64 v6, v22, v6, s15
	v_cndmask_b32_e64 v5, v21, v5, s15
	;; [unrolled: 1-line block ×4, first 2 shown]
	s_delay_alu instid0(VALU_DEP_1) | instskip(SKIP_1) | instid1(SALU_CYCLE_1)
	v_cmp_ge_u64_e32 vcc_lo, v[3:4], v[5:6]
	s_or_b32 s29, vcc_lo, s29
	s_and_not1_b32 exec_lo, exec_lo, s29
	s_cbranch_execnz .LBB197_214
; %bb.215:
	s_set_inst_prefetch_distance 0x2
	s_or_b32 exec_lo, exec_lo, s29
.LBB197_216:
	s_mov_b32 s29, 0
	s_mov_b32 s15, exec_lo
	v_cmpx_ne_u64_e64 s[20:21], v[3:4]
	s_cbranch_execz .LBB197_218
; %bb.217:
	v_lshlrev_b64 v[3:4], 3, v[3:4]
	s_delay_alu instid0(VALU_DEP_1) | instskip(NEXT) | instid1(VALU_DEP_2)
	v_add_co_u32 v3, vcc_lo, s18, v3
	v_add_co_ci_u32_e32 v4, vcc_lo, s19, v4, vcc_lo
	global_load_b64 v[3:4], v[3:4], off
	s_waitcnt vmcnt(0)
	v_cmp_le_u64_e32 vcc_lo, v[3:4], v[1:2]
	s_and_b32 s29, vcc_lo, exec_lo
.LBB197_218:
	s_or_b32 exec_lo, exec_lo, s15
	v_cndmask_b32_e64 v21, 0, 1, s29
.LBB197_219:
	s_or_b32 exec_lo, exec_lo, s28
	v_or_b32_e32 v1, 0x3c0, v0
                                        ; implicit-def: $vgpr3
	s_delay_alu instid0(VALU_DEP_1) | instskip(NEXT) | instid1(VALU_DEP_1)
	v_cmp_gt_u32_e64 s15, s27, v1
	s_and_saveexec_b32 s27, s15
	s_cbranch_execz .LBB197_227
; %bb.220:
	v_add_co_u32 v1, s16, s16, v1
	v_mov_b32_e32 v3, 0
	v_add_co_ci_u32_e64 v2, null, s24, 0, s16
	v_mov_b32_e32 v4, 0
	s_and_not1_b32 vcc_lo, exec_lo, s26
	s_cbranch_vccnz .LBB197_224
; %bb.221:
	v_dual_mov_b32 v5, s20 :: v_dual_mov_b32 v6, s21
	s_mov_b32 s24, 0
	s_set_inst_prefetch_distance 0x1
	.p2align	6
.LBB197_222:                            ; =>This Inner Loop Header: Depth=1
	s_delay_alu instid0(VALU_DEP_1) | instskip(NEXT) | instid1(VALU_DEP_2)
	v_sub_co_u32 v22, vcc_lo, v5, v3
	v_sub_co_ci_u32_e32 v23, vcc_lo, v6, v4, vcc_lo
	s_delay_alu instid0(VALU_DEP_1) | instskip(SKIP_1) | instid1(VALU_DEP_2)
	v_lshrrev_b64 v[24:25], 1, v[22:23]
	v_lshrrev_b64 v[22:23], 6, v[22:23]
	v_add_co_u32 v24, vcc_lo, v24, v3
	s_delay_alu instid0(VALU_DEP_3) | instskip(NEXT) | instid1(VALU_DEP_2)
	v_add_co_ci_u32_e32 v25, vcc_lo, v25, v4, vcc_lo
	v_add_co_u32 v22, vcc_lo, v24, v22
	s_delay_alu instid0(VALU_DEP_2) | instskip(NEXT) | instid1(VALU_DEP_1)
	v_add_co_ci_u32_e32 v23, vcc_lo, v25, v23, vcc_lo
	v_lshlrev_b64 v[24:25], 3, v[22:23]
	s_delay_alu instid0(VALU_DEP_1) | instskip(NEXT) | instid1(VALU_DEP_2)
	v_add_co_u32 v24, vcc_lo, s18, v24
	v_add_co_ci_u32_e32 v25, vcc_lo, s19, v25, vcc_lo
	v_add_co_u32 v26, vcc_lo, v22, 1
	global_load_b64 v[24:25], v[24:25], off
	s_waitcnt vmcnt(0)
	v_cmp_lt_u64_e64 s16, v[24:25], v[1:2]
	v_add_co_ci_u32_e32 v24, vcc_lo, 0, v23, vcc_lo
	s_delay_alu instid0(VALU_DEP_2) | instskip(SKIP_1) | instid1(VALU_DEP_3)
	v_cndmask_b32_e64 v6, v23, v6, s16
	v_cndmask_b32_e64 v5, v22, v5, s16
	;; [unrolled: 1-line block ×4, first 2 shown]
	s_delay_alu instid0(VALU_DEP_1) | instskip(SKIP_1) | instid1(SALU_CYCLE_1)
	v_cmp_ge_u64_e32 vcc_lo, v[3:4], v[5:6]
	s_or_b32 s24, vcc_lo, s24
	s_and_not1_b32 exec_lo, exec_lo, s24
	s_cbranch_execnz .LBB197_222
; %bb.223:
	s_set_inst_prefetch_distance 0x2
	s_or_b32 exec_lo, exec_lo, s24
.LBB197_224:
	s_delay_alu instid0(VALU_DEP_1)
	v_cmp_ne_u64_e32 vcc_lo, s[20:21], v[3:4]
	s_mov_b32 s20, 0
	s_and_saveexec_b32 s16, vcc_lo
	s_cbranch_execz .LBB197_226
; %bb.225:
	v_lshlrev_b64 v[3:4], 3, v[3:4]
	s_delay_alu instid0(VALU_DEP_1) | instskip(NEXT) | instid1(VALU_DEP_2)
	v_add_co_u32 v3, vcc_lo, s18, v3
	v_add_co_ci_u32_e32 v4, vcc_lo, s19, v4, vcc_lo
	global_load_b64 v[3:4], v[3:4], off
	s_waitcnt vmcnt(0)
	v_cmp_le_u64_e32 vcc_lo, v[3:4], v[1:2]
	s_and_b32 s20, vcc_lo, exec_lo
.LBB197_226:
	s_or_b32 exec_lo, exec_lo, s16
	v_cndmask_b32_e64 v3, 0, 1, s20
.LBB197_227:
	s_or_b32 exec_lo, exec_lo, s27
	s_add_u32 s16, s22, s23
	s_addc_u32 s17, s17, 0
	v_add_co_u32 v1, s16, s16, v0
	s_delay_alu instid0(VALU_DEP_1) | instskip(SKIP_1) | instid1(SALU_CYCLE_1)
	v_add_co_ci_u32_e64 v2, null, s17, 0, s16
	s_and_saveexec_b32 s16, s0
	s_xor_b32 s0, exec_lo, s16
	s_cbranch_execnz .LBB197_248
; %bb.228:
	s_or_b32 exec_lo, exec_lo, s0
	s_and_saveexec_b32 s0, s1
	s_cbranch_execnz .LBB197_249
.LBB197_229:
	s_or_b32 exec_lo, exec_lo, s0
	s_and_saveexec_b32 s0, s2
	s_cbranch_execnz .LBB197_250
.LBB197_230:
	s_or_b32 exec_lo, exec_lo, s0
	s_and_saveexec_b32 s0, s3
	s_cbranch_execnz .LBB197_251
.LBB197_231:
	s_or_b32 exec_lo, exec_lo, s0
	s_and_saveexec_b32 s0, s4
	s_cbranch_execnz .LBB197_252
.LBB197_232:
	s_or_b32 exec_lo, exec_lo, s0
	s_and_saveexec_b32 s0, s5
	s_cbranch_execnz .LBB197_253
.LBB197_233:
	s_or_b32 exec_lo, exec_lo, s0
	s_and_saveexec_b32 s0, s6
	s_cbranch_execnz .LBB197_254
.LBB197_234:
	s_or_b32 exec_lo, exec_lo, s0
	s_and_saveexec_b32 s0, s7
	s_cbranch_execnz .LBB197_255
.LBB197_235:
	s_or_b32 exec_lo, exec_lo, s0
	s_and_saveexec_b32 s0, s8
	s_cbranch_execnz .LBB197_256
.LBB197_236:
	s_or_b32 exec_lo, exec_lo, s0
	s_and_saveexec_b32 s0, s9
	s_cbranch_execnz .LBB197_257
.LBB197_237:
	s_or_b32 exec_lo, exec_lo, s0
	s_and_saveexec_b32 s0, s10
	s_cbranch_execnz .LBB197_258
.LBB197_238:
	s_or_b32 exec_lo, exec_lo, s0
	s_and_saveexec_b32 s0, s11
	s_cbranch_execnz .LBB197_259
.LBB197_239:
	s_or_b32 exec_lo, exec_lo, s0
	s_and_saveexec_b32 s0, s12
	s_cbranch_execnz .LBB197_260
.LBB197_240:
	s_or_b32 exec_lo, exec_lo, s0
	s_and_saveexec_b32 s0, s13
	s_cbranch_execnz .LBB197_261
.LBB197_241:
	s_or_b32 exec_lo, exec_lo, s0
	s_and_saveexec_b32 s0, s14
	s_cbranch_execnz .LBB197_262
.LBB197_242:
	s_or_b32 exec_lo, exec_lo, s0
	s_and_saveexec_b32 s0, s15
.LBB197_243:
	s_or_b32 s25, s25, exec_lo
.LBB197_244:
	s_or_b32 exec_lo, exec_lo, s0
.LBB197_245:
	s_and_saveexec_b32 s0, s25
	s_cbranch_execnz .LBB197_247
; %bb.246:
	s_nop 0
	s_sendmsg sendmsg(MSG_DEALLOC_VGPRS)
	s_endpgm
.LBB197_247:
	global_store_b8 v[1:2], v3, off offset:960
	s_nop 0
	s_sendmsg sendmsg(MSG_DEALLOC_VGPRS)
	s_endpgm
.LBB197_248:
	global_store_b8 v[1:2], v7, off
	s_or_b32 exec_lo, exec_lo, s0
	s_and_saveexec_b32 s0, s1
	s_cbranch_execz .LBB197_229
.LBB197_249:
	global_store_b8 v[1:2], v8, off offset:64
	s_or_b32 exec_lo, exec_lo, s0
	s_and_saveexec_b32 s0, s2
	s_cbranch_execz .LBB197_230
.LBB197_250:
	global_store_b8 v[1:2], v9, off offset:128
	s_or_b32 exec_lo, exec_lo, s0
	s_and_saveexec_b32 s0, s3
	s_cbranch_execz .LBB197_231
.LBB197_251:
	global_store_b8 v[1:2], v10, off offset:192
	s_or_b32 exec_lo, exec_lo, s0
	s_and_saveexec_b32 s0, s4
	s_cbranch_execz .LBB197_232
.LBB197_252:
	global_store_b8 v[1:2], v11, off offset:256
	s_or_b32 exec_lo, exec_lo, s0
	s_and_saveexec_b32 s0, s5
	s_cbranch_execz .LBB197_233
.LBB197_253:
	global_store_b8 v[1:2], v12, off offset:320
	s_or_b32 exec_lo, exec_lo, s0
	s_and_saveexec_b32 s0, s6
	s_cbranch_execz .LBB197_234
.LBB197_254:
	global_store_b8 v[1:2], v13, off offset:384
	s_or_b32 exec_lo, exec_lo, s0
	s_and_saveexec_b32 s0, s7
	s_cbranch_execz .LBB197_235
.LBB197_255:
	global_store_b8 v[1:2], v14, off offset:448
	s_or_b32 exec_lo, exec_lo, s0
	s_and_saveexec_b32 s0, s8
	s_cbranch_execz .LBB197_236
.LBB197_256:
	global_store_b8 v[1:2], v15, off offset:512
	s_or_b32 exec_lo, exec_lo, s0
	s_and_saveexec_b32 s0, s9
	s_cbranch_execz .LBB197_237
.LBB197_257:
	global_store_b8 v[1:2], v16, off offset:576
	s_or_b32 exec_lo, exec_lo, s0
	s_and_saveexec_b32 s0, s10
	s_cbranch_execz .LBB197_238
.LBB197_258:
	global_store_b8 v[1:2], v17, off offset:640
	s_or_b32 exec_lo, exec_lo, s0
	s_and_saveexec_b32 s0, s11
	s_cbranch_execz .LBB197_239
.LBB197_259:
	global_store_b8 v[1:2], v18, off offset:704
	s_or_b32 exec_lo, exec_lo, s0
	s_and_saveexec_b32 s0, s12
	s_cbranch_execz .LBB197_240
.LBB197_260:
	global_store_b8 v[1:2], v19, off offset:768
	s_or_b32 exec_lo, exec_lo, s0
	s_and_saveexec_b32 s0, s13
	s_cbranch_execz .LBB197_241
.LBB197_261:
	global_store_b8 v[1:2], v20, off offset:832
	s_or_b32 exec_lo, exec_lo, s0
	s_and_saveexec_b32 s0, s14
	s_cbranch_execz .LBB197_242
.LBB197_262:
	global_store_b8 v[1:2], v21, off offset:896
	s_or_b32 exec_lo, exec_lo, s0
	s_and_saveexec_b32 s0, s15
	s_cbranch_execnz .LBB197_243
	s_branch .LBB197_244
	.section	.rodata,"a",@progbits
	.p2align	6, 0x0
	.amdhsa_kernel _ZN7rocprim17ROCPRIM_400000_NS6detail17trampoline_kernelINS0_14default_configENS1_29binary_search_config_selectorIybEEZNS1_14transform_implILb0ES3_S5_N6thrust23THRUST_200600_302600_NS17counting_iteratorIyNS8_11use_defaultESA_SA_EEPbZNS1_13binary_searchIS3_S5_PySB_SC_NS1_16binary_search_opENS8_6detail16wrapped_functionINS0_4lessIvEEbEEEE10hipError_tPvRmT1_T2_T3_mmT4_T5_P12ihipStream_tbEUlRKyE_EESL_SP_SQ_mSR_SU_bEUlT_E_NS1_11comp_targetILNS1_3genE9ELNS1_11target_archE1100ELNS1_3gpuE3ELNS1_3repE0EEENS1_30default_config_static_selectorELNS0_4arch9wavefront6targetE0EEEvSO_
		.amdhsa_group_segment_fixed_size 0
		.amdhsa_private_segment_fixed_size 0
		.amdhsa_kernarg_size 312
		.amdhsa_user_sgpr_count 15
		.amdhsa_user_sgpr_dispatch_ptr 0
		.amdhsa_user_sgpr_queue_ptr 0
		.amdhsa_user_sgpr_kernarg_segment_ptr 1
		.amdhsa_user_sgpr_dispatch_id 0
		.amdhsa_user_sgpr_private_segment_size 0
		.amdhsa_wavefront_size32 1
		.amdhsa_uses_dynamic_stack 0
		.amdhsa_enable_private_segment 0
		.amdhsa_system_sgpr_workgroup_id_x 1
		.amdhsa_system_sgpr_workgroup_id_y 0
		.amdhsa_system_sgpr_workgroup_id_z 0
		.amdhsa_system_sgpr_workgroup_info 0
		.amdhsa_system_vgpr_workitem_id 0
		.amdhsa_next_free_vgpr 27
		.amdhsa_next_free_sgpr 30
		.amdhsa_reserve_vcc 1
		.amdhsa_float_round_mode_32 0
		.amdhsa_float_round_mode_16_64 0
		.amdhsa_float_denorm_mode_32 3
		.amdhsa_float_denorm_mode_16_64 3
		.amdhsa_dx10_clamp 1
		.amdhsa_ieee_mode 1
		.amdhsa_fp16_overflow 0
		.amdhsa_workgroup_processor_mode 1
		.amdhsa_memory_ordered 1
		.amdhsa_forward_progress 0
		.amdhsa_shared_vgpr_count 0
		.amdhsa_exception_fp_ieee_invalid_op 0
		.amdhsa_exception_fp_denorm_src 0
		.amdhsa_exception_fp_ieee_div_zero 0
		.amdhsa_exception_fp_ieee_overflow 0
		.amdhsa_exception_fp_ieee_underflow 0
		.amdhsa_exception_fp_ieee_inexact 0
		.amdhsa_exception_int_div_zero 0
	.end_amdhsa_kernel
	.section	.text._ZN7rocprim17ROCPRIM_400000_NS6detail17trampoline_kernelINS0_14default_configENS1_29binary_search_config_selectorIybEEZNS1_14transform_implILb0ES3_S5_N6thrust23THRUST_200600_302600_NS17counting_iteratorIyNS8_11use_defaultESA_SA_EEPbZNS1_13binary_searchIS3_S5_PySB_SC_NS1_16binary_search_opENS8_6detail16wrapped_functionINS0_4lessIvEEbEEEE10hipError_tPvRmT1_T2_T3_mmT4_T5_P12ihipStream_tbEUlRKyE_EESL_SP_SQ_mSR_SU_bEUlT_E_NS1_11comp_targetILNS1_3genE9ELNS1_11target_archE1100ELNS1_3gpuE3ELNS1_3repE0EEENS1_30default_config_static_selectorELNS0_4arch9wavefront6targetE0EEEvSO_,"axG",@progbits,_ZN7rocprim17ROCPRIM_400000_NS6detail17trampoline_kernelINS0_14default_configENS1_29binary_search_config_selectorIybEEZNS1_14transform_implILb0ES3_S5_N6thrust23THRUST_200600_302600_NS17counting_iteratorIyNS8_11use_defaultESA_SA_EEPbZNS1_13binary_searchIS3_S5_PySB_SC_NS1_16binary_search_opENS8_6detail16wrapped_functionINS0_4lessIvEEbEEEE10hipError_tPvRmT1_T2_T3_mmT4_T5_P12ihipStream_tbEUlRKyE_EESL_SP_SQ_mSR_SU_bEUlT_E_NS1_11comp_targetILNS1_3genE9ELNS1_11target_archE1100ELNS1_3gpuE3ELNS1_3repE0EEENS1_30default_config_static_selectorELNS0_4arch9wavefront6targetE0EEEvSO_,comdat
.Lfunc_end197:
	.size	_ZN7rocprim17ROCPRIM_400000_NS6detail17trampoline_kernelINS0_14default_configENS1_29binary_search_config_selectorIybEEZNS1_14transform_implILb0ES3_S5_N6thrust23THRUST_200600_302600_NS17counting_iteratorIyNS8_11use_defaultESA_SA_EEPbZNS1_13binary_searchIS3_S5_PySB_SC_NS1_16binary_search_opENS8_6detail16wrapped_functionINS0_4lessIvEEbEEEE10hipError_tPvRmT1_T2_T3_mmT4_T5_P12ihipStream_tbEUlRKyE_EESL_SP_SQ_mSR_SU_bEUlT_E_NS1_11comp_targetILNS1_3genE9ELNS1_11target_archE1100ELNS1_3gpuE3ELNS1_3repE0EEENS1_30default_config_static_selectorELNS0_4arch9wavefront6targetE0EEEvSO_, .Lfunc_end197-_ZN7rocprim17ROCPRIM_400000_NS6detail17trampoline_kernelINS0_14default_configENS1_29binary_search_config_selectorIybEEZNS1_14transform_implILb0ES3_S5_N6thrust23THRUST_200600_302600_NS17counting_iteratorIyNS8_11use_defaultESA_SA_EEPbZNS1_13binary_searchIS3_S5_PySB_SC_NS1_16binary_search_opENS8_6detail16wrapped_functionINS0_4lessIvEEbEEEE10hipError_tPvRmT1_T2_T3_mmT4_T5_P12ihipStream_tbEUlRKyE_EESL_SP_SQ_mSR_SU_bEUlT_E_NS1_11comp_targetILNS1_3genE9ELNS1_11target_archE1100ELNS1_3gpuE3ELNS1_3repE0EEENS1_30default_config_static_selectorELNS0_4arch9wavefront6targetE0EEEvSO_
                                        ; -- End function
	.section	.AMDGPU.csdata,"",@progbits
; Kernel info:
; codeLenInByte = 11472
; NumSgprs: 32
; NumVgprs: 27
; ScratchSize: 0
; MemoryBound: 0
; FloatMode: 240
; IeeeMode: 1
; LDSByteSize: 0 bytes/workgroup (compile time only)
; SGPRBlocks: 3
; VGPRBlocks: 3
; NumSGPRsForWavesPerEU: 32
; NumVGPRsForWavesPerEU: 27
; Occupancy: 16
; WaveLimiterHint : 0
; COMPUTE_PGM_RSRC2:SCRATCH_EN: 0
; COMPUTE_PGM_RSRC2:USER_SGPR: 15
; COMPUTE_PGM_RSRC2:TRAP_HANDLER: 0
; COMPUTE_PGM_RSRC2:TGID_X_EN: 1
; COMPUTE_PGM_RSRC2:TGID_Y_EN: 0
; COMPUTE_PGM_RSRC2:TGID_Z_EN: 0
; COMPUTE_PGM_RSRC2:TIDIG_COMP_CNT: 0
	.section	.text._ZN7rocprim17ROCPRIM_400000_NS6detail17trampoline_kernelINS0_14default_configENS1_29binary_search_config_selectorIybEEZNS1_14transform_implILb0ES3_S5_N6thrust23THRUST_200600_302600_NS17counting_iteratorIyNS8_11use_defaultESA_SA_EEPbZNS1_13binary_searchIS3_S5_PySB_SC_NS1_16binary_search_opENS8_6detail16wrapped_functionINS0_4lessIvEEbEEEE10hipError_tPvRmT1_T2_T3_mmT4_T5_P12ihipStream_tbEUlRKyE_EESL_SP_SQ_mSR_SU_bEUlT_E_NS1_11comp_targetILNS1_3genE8ELNS1_11target_archE1030ELNS1_3gpuE2ELNS1_3repE0EEENS1_30default_config_static_selectorELNS0_4arch9wavefront6targetE0EEEvSO_,"axG",@progbits,_ZN7rocprim17ROCPRIM_400000_NS6detail17trampoline_kernelINS0_14default_configENS1_29binary_search_config_selectorIybEEZNS1_14transform_implILb0ES3_S5_N6thrust23THRUST_200600_302600_NS17counting_iteratorIyNS8_11use_defaultESA_SA_EEPbZNS1_13binary_searchIS3_S5_PySB_SC_NS1_16binary_search_opENS8_6detail16wrapped_functionINS0_4lessIvEEbEEEE10hipError_tPvRmT1_T2_T3_mmT4_T5_P12ihipStream_tbEUlRKyE_EESL_SP_SQ_mSR_SU_bEUlT_E_NS1_11comp_targetILNS1_3genE8ELNS1_11target_archE1030ELNS1_3gpuE2ELNS1_3repE0EEENS1_30default_config_static_selectorELNS0_4arch9wavefront6targetE0EEEvSO_,comdat
	.protected	_ZN7rocprim17ROCPRIM_400000_NS6detail17trampoline_kernelINS0_14default_configENS1_29binary_search_config_selectorIybEEZNS1_14transform_implILb0ES3_S5_N6thrust23THRUST_200600_302600_NS17counting_iteratorIyNS8_11use_defaultESA_SA_EEPbZNS1_13binary_searchIS3_S5_PySB_SC_NS1_16binary_search_opENS8_6detail16wrapped_functionINS0_4lessIvEEbEEEE10hipError_tPvRmT1_T2_T3_mmT4_T5_P12ihipStream_tbEUlRKyE_EESL_SP_SQ_mSR_SU_bEUlT_E_NS1_11comp_targetILNS1_3genE8ELNS1_11target_archE1030ELNS1_3gpuE2ELNS1_3repE0EEENS1_30default_config_static_selectorELNS0_4arch9wavefront6targetE0EEEvSO_ ; -- Begin function _ZN7rocprim17ROCPRIM_400000_NS6detail17trampoline_kernelINS0_14default_configENS1_29binary_search_config_selectorIybEEZNS1_14transform_implILb0ES3_S5_N6thrust23THRUST_200600_302600_NS17counting_iteratorIyNS8_11use_defaultESA_SA_EEPbZNS1_13binary_searchIS3_S5_PySB_SC_NS1_16binary_search_opENS8_6detail16wrapped_functionINS0_4lessIvEEbEEEE10hipError_tPvRmT1_T2_T3_mmT4_T5_P12ihipStream_tbEUlRKyE_EESL_SP_SQ_mSR_SU_bEUlT_E_NS1_11comp_targetILNS1_3genE8ELNS1_11target_archE1030ELNS1_3gpuE2ELNS1_3repE0EEENS1_30default_config_static_selectorELNS0_4arch9wavefront6targetE0EEEvSO_
	.globl	_ZN7rocprim17ROCPRIM_400000_NS6detail17trampoline_kernelINS0_14default_configENS1_29binary_search_config_selectorIybEEZNS1_14transform_implILb0ES3_S5_N6thrust23THRUST_200600_302600_NS17counting_iteratorIyNS8_11use_defaultESA_SA_EEPbZNS1_13binary_searchIS3_S5_PySB_SC_NS1_16binary_search_opENS8_6detail16wrapped_functionINS0_4lessIvEEbEEEE10hipError_tPvRmT1_T2_T3_mmT4_T5_P12ihipStream_tbEUlRKyE_EESL_SP_SQ_mSR_SU_bEUlT_E_NS1_11comp_targetILNS1_3genE8ELNS1_11target_archE1030ELNS1_3gpuE2ELNS1_3repE0EEENS1_30default_config_static_selectorELNS0_4arch9wavefront6targetE0EEEvSO_
	.p2align	8
	.type	_ZN7rocprim17ROCPRIM_400000_NS6detail17trampoline_kernelINS0_14default_configENS1_29binary_search_config_selectorIybEEZNS1_14transform_implILb0ES3_S5_N6thrust23THRUST_200600_302600_NS17counting_iteratorIyNS8_11use_defaultESA_SA_EEPbZNS1_13binary_searchIS3_S5_PySB_SC_NS1_16binary_search_opENS8_6detail16wrapped_functionINS0_4lessIvEEbEEEE10hipError_tPvRmT1_T2_T3_mmT4_T5_P12ihipStream_tbEUlRKyE_EESL_SP_SQ_mSR_SU_bEUlT_E_NS1_11comp_targetILNS1_3genE8ELNS1_11target_archE1030ELNS1_3gpuE2ELNS1_3repE0EEENS1_30default_config_static_selectorELNS0_4arch9wavefront6targetE0EEEvSO_,@function
_ZN7rocprim17ROCPRIM_400000_NS6detail17trampoline_kernelINS0_14default_configENS1_29binary_search_config_selectorIybEEZNS1_14transform_implILb0ES3_S5_N6thrust23THRUST_200600_302600_NS17counting_iteratorIyNS8_11use_defaultESA_SA_EEPbZNS1_13binary_searchIS3_S5_PySB_SC_NS1_16binary_search_opENS8_6detail16wrapped_functionINS0_4lessIvEEbEEEE10hipError_tPvRmT1_T2_T3_mmT4_T5_P12ihipStream_tbEUlRKyE_EESL_SP_SQ_mSR_SU_bEUlT_E_NS1_11comp_targetILNS1_3genE8ELNS1_11target_archE1030ELNS1_3gpuE2ELNS1_3repE0EEENS1_30default_config_static_selectorELNS0_4arch9wavefront6targetE0EEEvSO_: ; @_ZN7rocprim17ROCPRIM_400000_NS6detail17trampoline_kernelINS0_14default_configENS1_29binary_search_config_selectorIybEEZNS1_14transform_implILb0ES3_S5_N6thrust23THRUST_200600_302600_NS17counting_iteratorIyNS8_11use_defaultESA_SA_EEPbZNS1_13binary_searchIS3_S5_PySB_SC_NS1_16binary_search_opENS8_6detail16wrapped_functionINS0_4lessIvEEbEEEE10hipError_tPvRmT1_T2_T3_mmT4_T5_P12ihipStream_tbEUlRKyE_EESL_SP_SQ_mSR_SU_bEUlT_E_NS1_11comp_targetILNS1_3genE8ELNS1_11target_archE1030ELNS1_3gpuE2ELNS1_3repE0EEENS1_30default_config_static_selectorELNS0_4arch9wavefront6targetE0EEEvSO_
; %bb.0:
	.section	.rodata,"a",@progbits
	.p2align	6, 0x0
	.amdhsa_kernel _ZN7rocprim17ROCPRIM_400000_NS6detail17trampoline_kernelINS0_14default_configENS1_29binary_search_config_selectorIybEEZNS1_14transform_implILb0ES3_S5_N6thrust23THRUST_200600_302600_NS17counting_iteratorIyNS8_11use_defaultESA_SA_EEPbZNS1_13binary_searchIS3_S5_PySB_SC_NS1_16binary_search_opENS8_6detail16wrapped_functionINS0_4lessIvEEbEEEE10hipError_tPvRmT1_T2_T3_mmT4_T5_P12ihipStream_tbEUlRKyE_EESL_SP_SQ_mSR_SU_bEUlT_E_NS1_11comp_targetILNS1_3genE8ELNS1_11target_archE1030ELNS1_3gpuE2ELNS1_3repE0EEENS1_30default_config_static_selectorELNS0_4arch9wavefront6targetE0EEEvSO_
		.amdhsa_group_segment_fixed_size 0
		.amdhsa_private_segment_fixed_size 0
		.amdhsa_kernarg_size 56
		.amdhsa_user_sgpr_count 15
		.amdhsa_user_sgpr_dispatch_ptr 0
		.amdhsa_user_sgpr_queue_ptr 0
		.amdhsa_user_sgpr_kernarg_segment_ptr 1
		.amdhsa_user_sgpr_dispatch_id 0
		.amdhsa_user_sgpr_private_segment_size 0
		.amdhsa_wavefront_size32 1
		.amdhsa_uses_dynamic_stack 0
		.amdhsa_enable_private_segment 0
		.amdhsa_system_sgpr_workgroup_id_x 1
		.amdhsa_system_sgpr_workgroup_id_y 0
		.amdhsa_system_sgpr_workgroup_id_z 0
		.amdhsa_system_sgpr_workgroup_info 0
		.amdhsa_system_vgpr_workitem_id 0
		.amdhsa_next_free_vgpr 1
		.amdhsa_next_free_sgpr 1
		.amdhsa_reserve_vcc 0
		.amdhsa_float_round_mode_32 0
		.amdhsa_float_round_mode_16_64 0
		.amdhsa_float_denorm_mode_32 3
		.amdhsa_float_denorm_mode_16_64 3
		.amdhsa_dx10_clamp 1
		.amdhsa_ieee_mode 1
		.amdhsa_fp16_overflow 0
		.amdhsa_workgroup_processor_mode 1
		.amdhsa_memory_ordered 1
		.amdhsa_forward_progress 0
		.amdhsa_shared_vgpr_count 0
		.amdhsa_exception_fp_ieee_invalid_op 0
		.amdhsa_exception_fp_denorm_src 0
		.amdhsa_exception_fp_ieee_div_zero 0
		.amdhsa_exception_fp_ieee_overflow 0
		.amdhsa_exception_fp_ieee_underflow 0
		.amdhsa_exception_fp_ieee_inexact 0
		.amdhsa_exception_int_div_zero 0
	.end_amdhsa_kernel
	.section	.text._ZN7rocprim17ROCPRIM_400000_NS6detail17trampoline_kernelINS0_14default_configENS1_29binary_search_config_selectorIybEEZNS1_14transform_implILb0ES3_S5_N6thrust23THRUST_200600_302600_NS17counting_iteratorIyNS8_11use_defaultESA_SA_EEPbZNS1_13binary_searchIS3_S5_PySB_SC_NS1_16binary_search_opENS8_6detail16wrapped_functionINS0_4lessIvEEbEEEE10hipError_tPvRmT1_T2_T3_mmT4_T5_P12ihipStream_tbEUlRKyE_EESL_SP_SQ_mSR_SU_bEUlT_E_NS1_11comp_targetILNS1_3genE8ELNS1_11target_archE1030ELNS1_3gpuE2ELNS1_3repE0EEENS1_30default_config_static_selectorELNS0_4arch9wavefront6targetE0EEEvSO_,"axG",@progbits,_ZN7rocprim17ROCPRIM_400000_NS6detail17trampoline_kernelINS0_14default_configENS1_29binary_search_config_selectorIybEEZNS1_14transform_implILb0ES3_S5_N6thrust23THRUST_200600_302600_NS17counting_iteratorIyNS8_11use_defaultESA_SA_EEPbZNS1_13binary_searchIS3_S5_PySB_SC_NS1_16binary_search_opENS8_6detail16wrapped_functionINS0_4lessIvEEbEEEE10hipError_tPvRmT1_T2_T3_mmT4_T5_P12ihipStream_tbEUlRKyE_EESL_SP_SQ_mSR_SU_bEUlT_E_NS1_11comp_targetILNS1_3genE8ELNS1_11target_archE1030ELNS1_3gpuE2ELNS1_3repE0EEENS1_30default_config_static_selectorELNS0_4arch9wavefront6targetE0EEEvSO_,comdat
.Lfunc_end198:
	.size	_ZN7rocprim17ROCPRIM_400000_NS6detail17trampoline_kernelINS0_14default_configENS1_29binary_search_config_selectorIybEEZNS1_14transform_implILb0ES3_S5_N6thrust23THRUST_200600_302600_NS17counting_iteratorIyNS8_11use_defaultESA_SA_EEPbZNS1_13binary_searchIS3_S5_PySB_SC_NS1_16binary_search_opENS8_6detail16wrapped_functionINS0_4lessIvEEbEEEE10hipError_tPvRmT1_T2_T3_mmT4_T5_P12ihipStream_tbEUlRKyE_EESL_SP_SQ_mSR_SU_bEUlT_E_NS1_11comp_targetILNS1_3genE8ELNS1_11target_archE1030ELNS1_3gpuE2ELNS1_3repE0EEENS1_30default_config_static_selectorELNS0_4arch9wavefront6targetE0EEEvSO_, .Lfunc_end198-_ZN7rocprim17ROCPRIM_400000_NS6detail17trampoline_kernelINS0_14default_configENS1_29binary_search_config_selectorIybEEZNS1_14transform_implILb0ES3_S5_N6thrust23THRUST_200600_302600_NS17counting_iteratorIyNS8_11use_defaultESA_SA_EEPbZNS1_13binary_searchIS3_S5_PySB_SC_NS1_16binary_search_opENS8_6detail16wrapped_functionINS0_4lessIvEEbEEEE10hipError_tPvRmT1_T2_T3_mmT4_T5_P12ihipStream_tbEUlRKyE_EESL_SP_SQ_mSR_SU_bEUlT_E_NS1_11comp_targetILNS1_3genE8ELNS1_11target_archE1030ELNS1_3gpuE2ELNS1_3repE0EEENS1_30default_config_static_selectorELNS0_4arch9wavefront6targetE0EEEvSO_
                                        ; -- End function
	.section	.AMDGPU.csdata,"",@progbits
; Kernel info:
; codeLenInByte = 0
; NumSgprs: 0
; NumVgprs: 0
; ScratchSize: 0
; MemoryBound: 0
; FloatMode: 240
; IeeeMode: 1
; LDSByteSize: 0 bytes/workgroup (compile time only)
; SGPRBlocks: 0
; VGPRBlocks: 0
; NumSGPRsForWavesPerEU: 1
; NumVGPRsForWavesPerEU: 1
; Occupancy: 16
; WaveLimiterHint : 0
; COMPUTE_PGM_RSRC2:SCRATCH_EN: 0
; COMPUTE_PGM_RSRC2:USER_SGPR: 15
; COMPUTE_PGM_RSRC2:TRAP_HANDLER: 0
; COMPUTE_PGM_RSRC2:TGID_X_EN: 1
; COMPUTE_PGM_RSRC2:TGID_Y_EN: 0
; COMPUTE_PGM_RSRC2:TGID_Z_EN: 0
; COMPUTE_PGM_RSRC2:TIDIG_COMP_CNT: 0
	.section	.text._Z20binary_search_kernelIjEvmPT_Pb,"axG",@progbits,_Z20binary_search_kernelIjEvmPT_Pb,comdat
	.protected	_Z20binary_search_kernelIjEvmPT_Pb ; -- Begin function _Z20binary_search_kernelIjEvmPT_Pb
	.globl	_Z20binary_search_kernelIjEvmPT_Pb
	.p2align	8
	.type	_Z20binary_search_kernelIjEvmPT_Pb,@function
_Z20binary_search_kernelIjEvmPT_Pb:     ; @_Z20binary_search_kernelIjEvmPT_Pb
; %bb.0:
	s_clause 0x1
	s_load_b128 s[4:7], s[0:1], 0x0
	s_load_b64 s[2:3], s[0:1], 0x10
	s_mov_b64 s[0:1], 0
	s_waitcnt lgkmcnt(0)
	s_cmp_eq_u64 s[4:5], 0
	s_cbranch_scc1 .LBB199_2
; %bb.1:
	s_load_b32 s8, s[6:7], 0x0
	s_waitcnt lgkmcnt(0)
	s_cmp_eq_u32 s8, 0
	s_cselect_b32 s10, -1, 0
	s_branch .LBB199_3
.LBB199_2:
	s_mov_b32 s10, 0
.LBB199_3:
	s_lshl_b64 s[8:9], s[4:5], 2
	v_mov_b32_e32 v0, 0
	s_ashr_i64 s[8:9], s[8:9], 2
	v_cndmask_b32_e64 v1, 0, 1, s10
	v_cmp_lt_i64_e64 s11, s[8:9], 1
	global_store_b8 v0, v1, s[2:3]
	s_and_b32 vcc_lo, exec_lo, s11
	s_cbranch_vccnz .LBB199_6
; %bb.4:
	s_mov_b64 s[10:11], s[8:9]
	.p2align	6
.LBB199_5:                              ; =>This Inner Loop Header: Depth=1
	s_delay_alu instid0(SALU_CYCLE_1) | instskip(SKIP_1) | instid1(SALU_CYCLE_1)
	s_sub_u32 s12, s10, s0
	s_subb_u32 s13, s11, s1
	s_lshr_b32 s14, s13, 31
	s_delay_alu instid0(SALU_CYCLE_1) | instskip(SKIP_1) | instid1(SALU_CYCLE_1)
	s_add_u32 s12, s12, s14
	s_addc_u32 s13, s13, 0
	s_ashr_i64 s[12:13], s[12:13], 1
	s_delay_alu instid0(SALU_CYCLE_1) | instskip(SKIP_1) | instid1(SALU_CYCLE_1)
	s_add_u32 s12, s12, s0
	s_addc_u32 s13, s13, s1
	s_lshl_b64 s[14:15], s[12:13], 2
	s_delay_alu instid0(SALU_CYCLE_1)
	s_add_u32 s14, s6, s14
	s_addc_u32 s15, s7, s15
	s_load_b32 s14, s[14:15], 0x0
	s_add_u32 s15, s12, 1
	s_addc_u32 s16, s13, 0
	s_waitcnt lgkmcnt(0)
	s_cmp_eq_u32 s14, 0
	s_cselect_b32 s1, s16, s1
	s_cselect_b32 s0, s15, s0
	;; [unrolled: 1-line block ×4, first 2 shown]
	s_delay_alu instid0(SALU_CYCLE_1) | instskip(NEXT) | instid1(VALU_DEP_1)
	v_cmp_lt_i64_e64 s12, s[0:1], s[10:11]
	s_and_b32 vcc_lo, exec_lo, s12
	s_cbranch_vccnz .LBB199_5
.LBB199_6:
	v_cmp_gt_i64_e64 s10, s[8:9], 0
	s_cmp_eq_u64 s[0:1], s[4:5]
	s_mov_b32 s11, 0
	s_cbranch_scc1 .LBB199_8
; %bb.7:
	s_lshl_b64 s[0:1], s[0:1], 2
	s_delay_alu instid0(SALU_CYCLE_1)
	s_add_u32 s0, s6, s0
	s_addc_u32 s1, s7, s1
	s_load_b32 s0, s[0:1], 0x0
	s_waitcnt lgkmcnt(0)
	s_cmp_lt_u32 s0, 2
	s_cselect_b32 s11, -1, 0
.LBB199_8:
	s_delay_alu instid0(VALU_DEP_1) | instskip(SKIP_2) | instid1(VALU_DEP_2)
	v_cndmask_b32_e64 v0, 0, 1, s10
	v_mov_b32_e32 v1, 0
	s_and_not1_b32 vcc_lo, exec_lo, s10
	v_cmp_ne_u32_e64 s0, 1, v0
	v_cndmask_b32_e64 v0, 0, 1, s11
	s_mov_b64 s[10:11], 0
	global_store_b8 v1, v0, s[2:3] offset:1
	s_cbranch_vccnz .LBB199_11
; %bb.9:
	s_mov_b64 s[12:13], s[8:9]
	.p2align	6
.LBB199_10:                             ; =>This Inner Loop Header: Depth=1
	s_delay_alu instid0(SALU_CYCLE_1) | instskip(SKIP_1) | instid1(SALU_CYCLE_1)
	s_sub_u32 s1, s12, s10
	s_subb_u32 s15, s13, s11
	s_lshr_b32 s14, s15, 31
	s_delay_alu instid0(SALU_CYCLE_1) | instskip(SKIP_1) | instid1(SALU_CYCLE_1)
	s_add_u32 s14, s1, s14
	s_addc_u32 s15, s15, 0
	s_ashr_i64 s[14:15], s[14:15], 1
	s_delay_alu instid0(SALU_CYCLE_1) | instskip(SKIP_1) | instid1(SALU_CYCLE_1)
	s_add_u32 s14, s14, s10
	s_addc_u32 s15, s15, s11
	s_lshl_b64 s[16:17], s[14:15], 2
	s_delay_alu instid0(SALU_CYCLE_1)
	s_add_u32 s16, s6, s16
	s_addc_u32 s17, s7, s17
	s_load_b32 s1, s[16:17], 0x0
	s_add_u32 s16, s14, 1
	s_addc_u32 s17, s15, 0
	s_waitcnt lgkmcnt(0)
	s_cmp_lt_u32 s1, 2
	s_cselect_b32 s11, s17, s11
	s_cselect_b32 s10, s16, s10
	;; [unrolled: 1-line block ×4, first 2 shown]
	s_delay_alu instid0(SALU_CYCLE_1) | instskip(NEXT) | instid1(VALU_DEP_1)
	v_cmp_lt_i64_e64 s1, s[10:11], s[12:13]
	s_and_b32 vcc_lo, exec_lo, s1
	s_cbranch_vccnz .LBB199_10
.LBB199_11:
	s_cmp_eq_u64 s[10:11], s[4:5]
	s_mov_b32 s1, 0
	s_cbranch_scc1 .LBB199_13
; %bb.12:
	s_lshl_b64 s[10:11], s[10:11], 2
	s_delay_alu instid0(SALU_CYCLE_1)
	s_add_u32 s10, s6, s10
	s_addc_u32 s11, s7, s11
	s_load_b32 s1, s[10:11], 0x0
	s_waitcnt lgkmcnt(0)
	s_cmp_lt_u32 s1, 3
	s_cselect_b32 s1, -1, 0
.LBB199_13:
	s_delay_alu instid0(SALU_CYCLE_1)
	v_cndmask_b32_e64 v0, 0, 1, s1
	v_mov_b32_e32 v1, 0
	s_and_b32 vcc_lo, exec_lo, s0
	s_mov_b64 s[10:11], 0
	global_store_b8 v1, v0, s[2:3] offset:2
	s_cbranch_vccnz .LBB199_16
; %bb.14:
	s_mov_b64 s[12:13], s[8:9]
	.p2align	6
.LBB199_15:                             ; =>This Inner Loop Header: Depth=1
	s_delay_alu instid0(SALU_CYCLE_1) | instskip(SKIP_1) | instid1(SALU_CYCLE_1)
	s_sub_u32 s1, s12, s10
	s_subb_u32 s15, s13, s11
	s_lshr_b32 s14, s15, 31
	s_delay_alu instid0(SALU_CYCLE_1) | instskip(SKIP_1) | instid1(SALU_CYCLE_1)
	s_add_u32 s14, s1, s14
	s_addc_u32 s15, s15, 0
	s_ashr_i64 s[14:15], s[14:15], 1
	s_delay_alu instid0(SALU_CYCLE_1) | instskip(SKIP_1) | instid1(SALU_CYCLE_1)
	s_add_u32 s14, s14, s10
	s_addc_u32 s15, s15, s11
	s_lshl_b64 s[16:17], s[14:15], 2
	s_delay_alu instid0(SALU_CYCLE_1)
	s_add_u32 s16, s6, s16
	s_addc_u32 s17, s7, s17
	s_load_b32 s1, s[16:17], 0x0
	s_add_u32 s16, s14, 1
	s_addc_u32 s17, s15, 0
	s_waitcnt lgkmcnt(0)
	s_cmp_lt_u32 s1, 3
	s_cselect_b32 s11, s17, s11
	s_cselect_b32 s10, s16, s10
	;; [unrolled: 1-line block ×4, first 2 shown]
	s_delay_alu instid0(SALU_CYCLE_1) | instskip(NEXT) | instid1(VALU_DEP_1)
	v_cmp_lt_i64_e64 s1, s[10:11], s[12:13]
	s_and_b32 vcc_lo, exec_lo, s1
	s_cbranch_vccnz .LBB199_15
.LBB199_16:
	s_cmp_eq_u64 s[10:11], s[4:5]
	s_mov_b32 s1, 0
	s_cbranch_scc1 .LBB199_18
; %bb.17:
	s_lshl_b64 s[10:11], s[10:11], 2
	s_delay_alu instid0(SALU_CYCLE_1)
	s_add_u32 s10, s6, s10
	s_addc_u32 s11, s7, s11
	s_load_b32 s1, s[10:11], 0x0
	s_waitcnt lgkmcnt(0)
	s_cmp_lt_u32 s1, 4
	s_cselect_b32 s1, -1, 0
.LBB199_18:
	s_delay_alu instid0(SALU_CYCLE_1)
	v_cndmask_b32_e64 v0, 0, 1, s1
	v_mov_b32_e32 v1, 0
	s_and_b32 vcc_lo, exec_lo, s0
	s_mov_b64 s[10:11], 0
	global_store_b8 v1, v0, s[2:3] offset:3
	s_cbranch_vccnz .LBB199_21
; %bb.19:
	s_mov_b64 s[12:13], s[8:9]
	.p2align	6
.LBB199_20:                             ; =>This Inner Loop Header: Depth=1
	s_delay_alu instid0(SALU_CYCLE_1) | instskip(SKIP_1) | instid1(SALU_CYCLE_1)
	s_sub_u32 s1, s12, s10
	s_subb_u32 s15, s13, s11
	s_lshr_b32 s14, s15, 31
	s_delay_alu instid0(SALU_CYCLE_1) | instskip(SKIP_1) | instid1(SALU_CYCLE_1)
	s_add_u32 s14, s1, s14
	s_addc_u32 s15, s15, 0
	s_ashr_i64 s[14:15], s[14:15], 1
	s_delay_alu instid0(SALU_CYCLE_1) | instskip(SKIP_1) | instid1(SALU_CYCLE_1)
	s_add_u32 s14, s14, s10
	s_addc_u32 s15, s15, s11
	s_lshl_b64 s[16:17], s[14:15], 2
	s_delay_alu instid0(SALU_CYCLE_1)
	s_add_u32 s16, s6, s16
	s_addc_u32 s17, s7, s17
	s_load_b32 s1, s[16:17], 0x0
	s_add_u32 s16, s14, 1
	s_addc_u32 s17, s15, 0
	s_waitcnt lgkmcnt(0)
	s_cmp_lt_u32 s1, 4
	s_cselect_b32 s11, s17, s11
	s_cselect_b32 s10, s16, s10
	;; [unrolled: 1-line block ×4, first 2 shown]
	s_delay_alu instid0(SALU_CYCLE_1) | instskip(NEXT) | instid1(VALU_DEP_1)
	v_cmp_lt_i64_e64 s1, s[10:11], s[12:13]
	s_and_b32 vcc_lo, exec_lo, s1
	s_cbranch_vccnz .LBB199_20
.LBB199_21:
	s_cmp_eq_u64 s[10:11], s[4:5]
	s_mov_b32 s1, 0
	s_cbranch_scc1 .LBB199_23
; %bb.22:
	s_lshl_b64 s[10:11], s[10:11], 2
	s_delay_alu instid0(SALU_CYCLE_1)
	s_add_u32 s10, s6, s10
	s_addc_u32 s11, s7, s11
	s_load_b32 s1, s[10:11], 0x0
	s_waitcnt lgkmcnt(0)
	s_cmp_lt_u32 s1, 5
	s_cselect_b32 s1, -1, 0
.LBB199_23:
	s_delay_alu instid0(SALU_CYCLE_1)
	v_cndmask_b32_e64 v0, 0, 1, s1
	v_mov_b32_e32 v1, 0
	s_and_b32 vcc_lo, exec_lo, s0
	s_mov_b64 s[10:11], 0
	global_store_b8 v1, v0, s[2:3] offset:4
	s_cbranch_vccnz .LBB199_26
; %bb.24:
	s_mov_b64 s[12:13], s[8:9]
	.p2align	6
.LBB199_25:                             ; =>This Inner Loop Header: Depth=1
	s_delay_alu instid0(SALU_CYCLE_1) | instskip(SKIP_1) | instid1(SALU_CYCLE_1)
	s_sub_u32 s1, s12, s10
	s_subb_u32 s15, s13, s11
	s_lshr_b32 s14, s15, 31
	s_delay_alu instid0(SALU_CYCLE_1) | instskip(SKIP_1) | instid1(SALU_CYCLE_1)
	s_add_u32 s14, s1, s14
	s_addc_u32 s15, s15, 0
	s_ashr_i64 s[14:15], s[14:15], 1
	s_delay_alu instid0(SALU_CYCLE_1) | instskip(SKIP_1) | instid1(SALU_CYCLE_1)
	s_add_u32 s14, s14, s10
	s_addc_u32 s15, s15, s11
	s_lshl_b64 s[16:17], s[14:15], 2
	s_delay_alu instid0(SALU_CYCLE_1)
	s_add_u32 s16, s6, s16
	s_addc_u32 s17, s7, s17
	s_load_b32 s1, s[16:17], 0x0
	s_add_u32 s16, s14, 1
	s_addc_u32 s17, s15, 0
	s_waitcnt lgkmcnt(0)
	s_cmp_lt_u32 s1, 5
	s_cselect_b32 s11, s17, s11
	s_cselect_b32 s10, s16, s10
	;; [unrolled: 1-line block ×4, first 2 shown]
	s_delay_alu instid0(SALU_CYCLE_1) | instskip(NEXT) | instid1(VALU_DEP_1)
	v_cmp_lt_i64_e64 s1, s[10:11], s[12:13]
	s_and_b32 vcc_lo, exec_lo, s1
	s_cbranch_vccnz .LBB199_25
.LBB199_26:
	s_cmp_eq_u64 s[10:11], s[4:5]
	s_mov_b32 s1, 0
	s_cbranch_scc1 .LBB199_28
; %bb.27:
	s_lshl_b64 s[10:11], s[10:11], 2
	s_delay_alu instid0(SALU_CYCLE_1)
	s_add_u32 s10, s6, s10
	s_addc_u32 s11, s7, s11
	s_load_b32 s1, s[10:11], 0x0
	s_waitcnt lgkmcnt(0)
	s_cmp_lt_u32 s1, 6
	s_cselect_b32 s1, -1, 0
.LBB199_28:
	s_delay_alu instid0(SALU_CYCLE_1)
	v_cndmask_b32_e64 v0, 0, 1, s1
	v_mov_b32_e32 v1, 0
	s_and_b32 vcc_lo, exec_lo, s0
	s_mov_b64 s[10:11], 0
	global_store_b8 v1, v0, s[2:3] offset:5
	s_cbranch_vccnz .LBB199_31
; %bb.29:
	s_mov_b64 s[12:13], s[8:9]
	.p2align	6
.LBB199_30:                             ; =>This Inner Loop Header: Depth=1
	s_delay_alu instid0(SALU_CYCLE_1) | instskip(SKIP_1) | instid1(SALU_CYCLE_1)
	s_sub_u32 s1, s12, s10
	s_subb_u32 s15, s13, s11
	s_lshr_b32 s14, s15, 31
	s_delay_alu instid0(SALU_CYCLE_1) | instskip(SKIP_1) | instid1(SALU_CYCLE_1)
	s_add_u32 s14, s1, s14
	s_addc_u32 s15, s15, 0
	s_ashr_i64 s[14:15], s[14:15], 1
	s_delay_alu instid0(SALU_CYCLE_1) | instskip(SKIP_1) | instid1(SALU_CYCLE_1)
	s_add_u32 s14, s14, s10
	s_addc_u32 s15, s15, s11
	s_lshl_b64 s[16:17], s[14:15], 2
	s_delay_alu instid0(SALU_CYCLE_1)
	s_add_u32 s16, s6, s16
	s_addc_u32 s17, s7, s17
	s_load_b32 s1, s[16:17], 0x0
	s_add_u32 s16, s14, 1
	s_addc_u32 s17, s15, 0
	s_waitcnt lgkmcnt(0)
	s_cmp_lt_u32 s1, 6
	s_cselect_b32 s11, s17, s11
	s_cselect_b32 s10, s16, s10
	;; [unrolled: 1-line block ×4, first 2 shown]
	s_delay_alu instid0(SALU_CYCLE_1) | instskip(NEXT) | instid1(VALU_DEP_1)
	v_cmp_lt_i64_e64 s1, s[10:11], s[12:13]
	s_and_b32 vcc_lo, exec_lo, s1
	s_cbranch_vccnz .LBB199_30
.LBB199_31:
	s_cmp_eq_u64 s[10:11], s[4:5]
	s_mov_b32 s1, 0
	s_cbranch_scc1 .LBB199_33
; %bb.32:
	s_lshl_b64 s[10:11], s[10:11], 2
	s_delay_alu instid0(SALU_CYCLE_1)
	s_add_u32 s10, s6, s10
	s_addc_u32 s11, s7, s11
	s_load_b32 s1, s[10:11], 0x0
	s_waitcnt lgkmcnt(0)
	s_cmp_lt_u32 s1, 7
	s_cselect_b32 s1, -1, 0
.LBB199_33:
	s_delay_alu instid0(SALU_CYCLE_1)
	v_cndmask_b32_e64 v0, 0, 1, s1
	v_mov_b32_e32 v1, 0
	s_and_b32 vcc_lo, exec_lo, s0
	s_mov_b64 s[10:11], 0
	global_store_b8 v1, v0, s[2:3] offset:6
	s_cbranch_vccnz .LBB199_36
; %bb.34:
	s_mov_b64 s[12:13], s[8:9]
	.p2align	6
.LBB199_35:                             ; =>This Inner Loop Header: Depth=1
	s_delay_alu instid0(SALU_CYCLE_1) | instskip(SKIP_1) | instid1(SALU_CYCLE_1)
	s_sub_u32 s1, s12, s10
	s_subb_u32 s15, s13, s11
	s_lshr_b32 s14, s15, 31
	s_delay_alu instid0(SALU_CYCLE_1) | instskip(SKIP_1) | instid1(SALU_CYCLE_1)
	s_add_u32 s14, s1, s14
	s_addc_u32 s15, s15, 0
	s_ashr_i64 s[14:15], s[14:15], 1
	s_delay_alu instid0(SALU_CYCLE_1) | instskip(SKIP_1) | instid1(SALU_CYCLE_1)
	s_add_u32 s14, s14, s10
	s_addc_u32 s15, s15, s11
	s_lshl_b64 s[16:17], s[14:15], 2
	s_delay_alu instid0(SALU_CYCLE_1)
	s_add_u32 s16, s6, s16
	s_addc_u32 s17, s7, s17
	s_load_b32 s1, s[16:17], 0x0
	s_add_u32 s16, s14, 1
	s_addc_u32 s17, s15, 0
	s_waitcnt lgkmcnt(0)
	s_cmp_lt_u32 s1, 7
	s_cselect_b32 s11, s17, s11
	s_cselect_b32 s10, s16, s10
	;; [unrolled: 1-line block ×4, first 2 shown]
	s_delay_alu instid0(SALU_CYCLE_1) | instskip(NEXT) | instid1(VALU_DEP_1)
	v_cmp_lt_i64_e64 s1, s[10:11], s[12:13]
	s_and_b32 vcc_lo, exec_lo, s1
	s_cbranch_vccnz .LBB199_35
.LBB199_36:
	s_cmp_eq_u64 s[10:11], s[4:5]
	s_mov_b32 s1, 0
	s_cbranch_scc1 .LBB199_38
; %bb.37:
	s_lshl_b64 s[10:11], s[10:11], 2
	s_delay_alu instid0(SALU_CYCLE_1)
	s_add_u32 s10, s6, s10
	s_addc_u32 s11, s7, s11
	s_load_b32 s1, s[10:11], 0x0
	s_waitcnt lgkmcnt(0)
	s_cmp_lt_u32 s1, 8
	s_cselect_b32 s1, -1, 0
.LBB199_38:
	s_delay_alu instid0(SALU_CYCLE_1)
	v_cndmask_b32_e64 v0, 0, 1, s1
	v_mov_b32_e32 v1, 0
	s_and_b32 vcc_lo, exec_lo, s0
	s_mov_b64 s[10:11], 0
	global_store_b8 v1, v0, s[2:3] offset:7
	s_cbranch_vccnz .LBB199_41
; %bb.39:
	s_mov_b64 s[12:13], s[8:9]
	.p2align	6
.LBB199_40:                             ; =>This Inner Loop Header: Depth=1
	s_delay_alu instid0(SALU_CYCLE_1) | instskip(SKIP_1) | instid1(SALU_CYCLE_1)
	s_sub_u32 s1, s12, s10
	s_subb_u32 s15, s13, s11
	s_lshr_b32 s14, s15, 31
	s_delay_alu instid0(SALU_CYCLE_1) | instskip(SKIP_1) | instid1(SALU_CYCLE_1)
	s_add_u32 s14, s1, s14
	s_addc_u32 s15, s15, 0
	s_ashr_i64 s[14:15], s[14:15], 1
	s_delay_alu instid0(SALU_CYCLE_1) | instskip(SKIP_1) | instid1(SALU_CYCLE_1)
	s_add_u32 s14, s14, s10
	s_addc_u32 s15, s15, s11
	s_lshl_b64 s[16:17], s[14:15], 2
	s_delay_alu instid0(SALU_CYCLE_1)
	s_add_u32 s16, s6, s16
	s_addc_u32 s17, s7, s17
	s_load_b32 s1, s[16:17], 0x0
	s_add_u32 s16, s14, 1
	s_addc_u32 s17, s15, 0
	s_waitcnt lgkmcnt(0)
	s_cmp_lt_u32 s1, 8
	s_cselect_b32 s11, s17, s11
	s_cselect_b32 s10, s16, s10
	;; [unrolled: 1-line block ×4, first 2 shown]
	s_delay_alu instid0(SALU_CYCLE_1) | instskip(NEXT) | instid1(VALU_DEP_1)
	v_cmp_lt_i64_e64 s1, s[10:11], s[12:13]
	s_and_b32 vcc_lo, exec_lo, s1
	s_cbranch_vccnz .LBB199_40
.LBB199_41:
	s_cmp_eq_u64 s[10:11], s[4:5]
	s_mov_b32 s1, 0
	s_cbranch_scc1 .LBB199_43
; %bb.42:
	s_lshl_b64 s[10:11], s[10:11], 2
	s_delay_alu instid0(SALU_CYCLE_1)
	s_add_u32 s10, s6, s10
	s_addc_u32 s11, s7, s11
	s_load_b32 s1, s[10:11], 0x0
	s_waitcnt lgkmcnt(0)
	s_cmp_lt_u32 s1, 9
	s_cselect_b32 s1, -1, 0
.LBB199_43:
	s_delay_alu instid0(SALU_CYCLE_1)
	v_cndmask_b32_e64 v0, 0, 1, s1
	v_mov_b32_e32 v1, 0
	s_and_b32 vcc_lo, exec_lo, s0
	s_mov_b64 s[0:1], 0
	global_store_b8 v1, v0, s[2:3] offset:8
	s_cbranch_vccnz .LBB199_45
	.p2align	6
.LBB199_44:                             ; =>This Inner Loop Header: Depth=1
	s_sub_u32 s10, s8, s0
	s_subb_u32 s11, s9, s1
	s_delay_alu instid0(SALU_CYCLE_1) | instskip(NEXT) | instid1(SALU_CYCLE_1)
	s_lshr_b32 s12, s11, 31
	s_add_u32 s10, s10, s12
	s_addc_u32 s11, s11, 0
	s_delay_alu instid0(SALU_CYCLE_1) | instskip(NEXT) | instid1(SALU_CYCLE_1)
	s_ashr_i64 s[10:11], s[10:11], 1
	s_add_u32 s10, s10, s0
	s_addc_u32 s11, s11, s1
	s_delay_alu instid0(SALU_CYCLE_1) | instskip(NEXT) | instid1(SALU_CYCLE_1)
	s_lshl_b64 s[12:13], s[10:11], 2
	s_add_u32 s12, s6, s12
	s_addc_u32 s13, s7, s13
	s_load_b32 s12, s[12:13], 0x0
	s_add_u32 s13, s10, 1
	s_addc_u32 s14, s11, 0
	s_waitcnt lgkmcnt(0)
	s_cmp_lt_u32 s12, 9
	s_cselect_b32 s1, s14, s1
	s_cselect_b32 s0, s13, s0
	;; [unrolled: 1-line block ×4, first 2 shown]
	s_delay_alu instid0(SALU_CYCLE_1) | instskip(NEXT) | instid1(VALU_DEP_1)
	v_cmp_lt_i64_e64 s10, s[0:1], s[8:9]
	s_and_b32 vcc_lo, exec_lo, s10
	s_cbranch_vccnz .LBB199_44
.LBB199_45:
	s_cmp_eq_u64 s[0:1], s[4:5]
	s_mov_b32 s4, 0
	s_cbranch_scc1 .LBB199_47
; %bb.46:
	s_lshl_b64 s[0:1], s[0:1], 2
	s_delay_alu instid0(SALU_CYCLE_1)
	s_add_u32 s0, s6, s0
	s_addc_u32 s1, s7, s1
	s_load_b32 s0, s[0:1], 0x0
	s_waitcnt lgkmcnt(0)
	s_cmp_lt_u32 s0, 10
	s_cselect_b32 s4, -1, 0
.LBB199_47:
	v_mov_b32_e32 v0, 0
	v_cndmask_b32_e64 v1, 0, 1, s4
	global_store_b8 v0, v1, s[2:3] offset:9
	s_nop 0
	s_sendmsg sendmsg(MSG_DEALLOC_VGPRS)
	s_endpgm
	.section	.rodata,"a",@progbits
	.p2align	6, 0x0
	.amdhsa_kernel _Z20binary_search_kernelIjEvmPT_Pb
		.amdhsa_group_segment_fixed_size 0
		.amdhsa_private_segment_fixed_size 0
		.amdhsa_kernarg_size 24
		.amdhsa_user_sgpr_count 15
		.amdhsa_user_sgpr_dispatch_ptr 0
		.amdhsa_user_sgpr_queue_ptr 0
		.amdhsa_user_sgpr_kernarg_segment_ptr 1
		.amdhsa_user_sgpr_dispatch_id 0
		.amdhsa_user_sgpr_private_segment_size 0
		.amdhsa_wavefront_size32 1
		.amdhsa_uses_dynamic_stack 0
		.amdhsa_enable_private_segment 0
		.amdhsa_system_sgpr_workgroup_id_x 1
		.amdhsa_system_sgpr_workgroup_id_y 0
		.amdhsa_system_sgpr_workgroup_id_z 0
		.amdhsa_system_sgpr_workgroup_info 0
		.amdhsa_system_vgpr_workitem_id 0
		.amdhsa_next_free_vgpr 2
		.amdhsa_next_free_sgpr 18
		.amdhsa_reserve_vcc 1
		.amdhsa_float_round_mode_32 0
		.amdhsa_float_round_mode_16_64 0
		.amdhsa_float_denorm_mode_32 3
		.amdhsa_float_denorm_mode_16_64 3
		.amdhsa_dx10_clamp 1
		.amdhsa_ieee_mode 1
		.amdhsa_fp16_overflow 0
		.amdhsa_workgroup_processor_mode 1
		.amdhsa_memory_ordered 1
		.amdhsa_forward_progress 0
		.amdhsa_shared_vgpr_count 0
		.amdhsa_exception_fp_ieee_invalid_op 0
		.amdhsa_exception_fp_denorm_src 0
		.amdhsa_exception_fp_ieee_div_zero 0
		.amdhsa_exception_fp_ieee_overflow 0
		.amdhsa_exception_fp_ieee_underflow 0
		.amdhsa_exception_fp_ieee_inexact 0
		.amdhsa_exception_int_div_zero 0
	.end_amdhsa_kernel
	.section	.text._Z20binary_search_kernelIjEvmPT_Pb,"axG",@progbits,_Z20binary_search_kernelIjEvmPT_Pb,comdat
.Lfunc_end199:
	.size	_Z20binary_search_kernelIjEvmPT_Pb, .Lfunc_end199-_Z20binary_search_kernelIjEvmPT_Pb
                                        ; -- End function
	.section	.AMDGPU.csdata,"",@progbits
; Kernel info:
; codeLenInByte = 1992
; NumSgprs: 20
; NumVgprs: 2
; ScratchSize: 0
; MemoryBound: 0
; FloatMode: 240
; IeeeMode: 1
; LDSByteSize: 0 bytes/workgroup (compile time only)
; SGPRBlocks: 2
; VGPRBlocks: 0
; NumSGPRsForWavesPerEU: 20
; NumVGPRsForWavesPerEU: 2
; Occupancy: 16
; WaveLimiterHint : 0
; COMPUTE_PGM_RSRC2:SCRATCH_EN: 0
; COMPUTE_PGM_RSRC2:USER_SGPR: 15
; COMPUTE_PGM_RSRC2:TRAP_HANDLER: 0
; COMPUTE_PGM_RSRC2:TGID_X_EN: 1
; COMPUTE_PGM_RSRC2:TGID_Y_EN: 0
; COMPUTE_PGM_RSRC2:TGID_Z_EN: 0
; COMPUTE_PGM_RSRC2:TIDIG_COMP_CNT: 0
	.section	.text._ZN7rocprim17ROCPRIM_400000_NS6detail17trampoline_kernelINS0_14default_configENS1_29binary_search_config_selectorIjbEEZNS1_14transform_implILb0ES3_S5_N6thrust23THRUST_200600_302600_NS17counting_iteratorIjNS8_11use_defaultESA_SA_EEPbZNS1_13binary_searchIS3_S5_PjSB_SC_NS1_16binary_search_opENS8_6detail16wrapped_functionINS0_4lessIvEEbEEEE10hipError_tPvRmT1_T2_T3_mmT4_T5_P12ihipStream_tbEUlRKjE_EESL_SP_SQ_mSR_SU_bEUlT_E_NS1_11comp_targetILNS1_3genE0ELNS1_11target_archE4294967295ELNS1_3gpuE0ELNS1_3repE0EEENS1_30default_config_static_selectorELNS0_4arch9wavefront6targetE0EEEvSO_,"axG",@progbits,_ZN7rocprim17ROCPRIM_400000_NS6detail17trampoline_kernelINS0_14default_configENS1_29binary_search_config_selectorIjbEEZNS1_14transform_implILb0ES3_S5_N6thrust23THRUST_200600_302600_NS17counting_iteratorIjNS8_11use_defaultESA_SA_EEPbZNS1_13binary_searchIS3_S5_PjSB_SC_NS1_16binary_search_opENS8_6detail16wrapped_functionINS0_4lessIvEEbEEEE10hipError_tPvRmT1_T2_T3_mmT4_T5_P12ihipStream_tbEUlRKjE_EESL_SP_SQ_mSR_SU_bEUlT_E_NS1_11comp_targetILNS1_3genE0ELNS1_11target_archE4294967295ELNS1_3gpuE0ELNS1_3repE0EEENS1_30default_config_static_selectorELNS0_4arch9wavefront6targetE0EEEvSO_,comdat
	.protected	_ZN7rocprim17ROCPRIM_400000_NS6detail17trampoline_kernelINS0_14default_configENS1_29binary_search_config_selectorIjbEEZNS1_14transform_implILb0ES3_S5_N6thrust23THRUST_200600_302600_NS17counting_iteratorIjNS8_11use_defaultESA_SA_EEPbZNS1_13binary_searchIS3_S5_PjSB_SC_NS1_16binary_search_opENS8_6detail16wrapped_functionINS0_4lessIvEEbEEEE10hipError_tPvRmT1_T2_T3_mmT4_T5_P12ihipStream_tbEUlRKjE_EESL_SP_SQ_mSR_SU_bEUlT_E_NS1_11comp_targetILNS1_3genE0ELNS1_11target_archE4294967295ELNS1_3gpuE0ELNS1_3repE0EEENS1_30default_config_static_selectorELNS0_4arch9wavefront6targetE0EEEvSO_ ; -- Begin function _ZN7rocprim17ROCPRIM_400000_NS6detail17trampoline_kernelINS0_14default_configENS1_29binary_search_config_selectorIjbEEZNS1_14transform_implILb0ES3_S5_N6thrust23THRUST_200600_302600_NS17counting_iteratorIjNS8_11use_defaultESA_SA_EEPbZNS1_13binary_searchIS3_S5_PjSB_SC_NS1_16binary_search_opENS8_6detail16wrapped_functionINS0_4lessIvEEbEEEE10hipError_tPvRmT1_T2_T3_mmT4_T5_P12ihipStream_tbEUlRKjE_EESL_SP_SQ_mSR_SU_bEUlT_E_NS1_11comp_targetILNS1_3genE0ELNS1_11target_archE4294967295ELNS1_3gpuE0ELNS1_3repE0EEENS1_30default_config_static_selectorELNS0_4arch9wavefront6targetE0EEEvSO_
	.globl	_ZN7rocprim17ROCPRIM_400000_NS6detail17trampoline_kernelINS0_14default_configENS1_29binary_search_config_selectorIjbEEZNS1_14transform_implILb0ES3_S5_N6thrust23THRUST_200600_302600_NS17counting_iteratorIjNS8_11use_defaultESA_SA_EEPbZNS1_13binary_searchIS3_S5_PjSB_SC_NS1_16binary_search_opENS8_6detail16wrapped_functionINS0_4lessIvEEbEEEE10hipError_tPvRmT1_T2_T3_mmT4_T5_P12ihipStream_tbEUlRKjE_EESL_SP_SQ_mSR_SU_bEUlT_E_NS1_11comp_targetILNS1_3genE0ELNS1_11target_archE4294967295ELNS1_3gpuE0ELNS1_3repE0EEENS1_30default_config_static_selectorELNS0_4arch9wavefront6targetE0EEEvSO_
	.p2align	8
	.type	_ZN7rocprim17ROCPRIM_400000_NS6detail17trampoline_kernelINS0_14default_configENS1_29binary_search_config_selectorIjbEEZNS1_14transform_implILb0ES3_S5_N6thrust23THRUST_200600_302600_NS17counting_iteratorIjNS8_11use_defaultESA_SA_EEPbZNS1_13binary_searchIS3_S5_PjSB_SC_NS1_16binary_search_opENS8_6detail16wrapped_functionINS0_4lessIvEEbEEEE10hipError_tPvRmT1_T2_T3_mmT4_T5_P12ihipStream_tbEUlRKjE_EESL_SP_SQ_mSR_SU_bEUlT_E_NS1_11comp_targetILNS1_3genE0ELNS1_11target_archE4294967295ELNS1_3gpuE0ELNS1_3repE0EEENS1_30default_config_static_selectorELNS0_4arch9wavefront6targetE0EEEvSO_,@function
_ZN7rocprim17ROCPRIM_400000_NS6detail17trampoline_kernelINS0_14default_configENS1_29binary_search_config_selectorIjbEEZNS1_14transform_implILb0ES3_S5_N6thrust23THRUST_200600_302600_NS17counting_iteratorIjNS8_11use_defaultESA_SA_EEPbZNS1_13binary_searchIS3_S5_PjSB_SC_NS1_16binary_search_opENS8_6detail16wrapped_functionINS0_4lessIvEEbEEEE10hipError_tPvRmT1_T2_T3_mmT4_T5_P12ihipStream_tbEUlRKjE_EESL_SP_SQ_mSR_SU_bEUlT_E_NS1_11comp_targetILNS1_3genE0ELNS1_11target_archE4294967295ELNS1_3gpuE0ELNS1_3repE0EEENS1_30default_config_static_selectorELNS0_4arch9wavefront6targetE0EEEvSO_: ; @_ZN7rocprim17ROCPRIM_400000_NS6detail17trampoline_kernelINS0_14default_configENS1_29binary_search_config_selectorIjbEEZNS1_14transform_implILb0ES3_S5_N6thrust23THRUST_200600_302600_NS17counting_iteratorIjNS8_11use_defaultESA_SA_EEPbZNS1_13binary_searchIS3_S5_PjSB_SC_NS1_16binary_search_opENS8_6detail16wrapped_functionINS0_4lessIvEEbEEEE10hipError_tPvRmT1_T2_T3_mmT4_T5_P12ihipStream_tbEUlRKjE_EESL_SP_SQ_mSR_SU_bEUlT_E_NS1_11comp_targetILNS1_3genE0ELNS1_11target_archE4294967295ELNS1_3gpuE0ELNS1_3repE0EEENS1_30default_config_static_selectorELNS0_4arch9wavefront6targetE0EEEvSO_
; %bb.0:
	.section	.rodata,"a",@progbits
	.p2align	6, 0x0
	.amdhsa_kernel _ZN7rocprim17ROCPRIM_400000_NS6detail17trampoline_kernelINS0_14default_configENS1_29binary_search_config_selectorIjbEEZNS1_14transform_implILb0ES3_S5_N6thrust23THRUST_200600_302600_NS17counting_iteratorIjNS8_11use_defaultESA_SA_EEPbZNS1_13binary_searchIS3_S5_PjSB_SC_NS1_16binary_search_opENS8_6detail16wrapped_functionINS0_4lessIvEEbEEEE10hipError_tPvRmT1_T2_T3_mmT4_T5_P12ihipStream_tbEUlRKjE_EESL_SP_SQ_mSR_SU_bEUlT_E_NS1_11comp_targetILNS1_3genE0ELNS1_11target_archE4294967295ELNS1_3gpuE0ELNS1_3repE0EEENS1_30default_config_static_selectorELNS0_4arch9wavefront6targetE0EEEvSO_
		.amdhsa_group_segment_fixed_size 0
		.amdhsa_private_segment_fixed_size 0
		.amdhsa_kernarg_size 56
		.amdhsa_user_sgpr_count 15
		.amdhsa_user_sgpr_dispatch_ptr 0
		.amdhsa_user_sgpr_queue_ptr 0
		.amdhsa_user_sgpr_kernarg_segment_ptr 1
		.amdhsa_user_sgpr_dispatch_id 0
		.amdhsa_user_sgpr_private_segment_size 0
		.amdhsa_wavefront_size32 1
		.amdhsa_uses_dynamic_stack 0
		.amdhsa_enable_private_segment 0
		.amdhsa_system_sgpr_workgroup_id_x 1
		.amdhsa_system_sgpr_workgroup_id_y 0
		.amdhsa_system_sgpr_workgroup_id_z 0
		.amdhsa_system_sgpr_workgroup_info 0
		.amdhsa_system_vgpr_workitem_id 0
		.amdhsa_next_free_vgpr 1
		.amdhsa_next_free_sgpr 1
		.amdhsa_reserve_vcc 0
		.amdhsa_float_round_mode_32 0
		.amdhsa_float_round_mode_16_64 0
		.amdhsa_float_denorm_mode_32 3
		.amdhsa_float_denorm_mode_16_64 3
		.amdhsa_dx10_clamp 1
		.amdhsa_ieee_mode 1
		.amdhsa_fp16_overflow 0
		.amdhsa_workgroup_processor_mode 1
		.amdhsa_memory_ordered 1
		.amdhsa_forward_progress 0
		.amdhsa_shared_vgpr_count 0
		.amdhsa_exception_fp_ieee_invalid_op 0
		.amdhsa_exception_fp_denorm_src 0
		.amdhsa_exception_fp_ieee_div_zero 0
		.amdhsa_exception_fp_ieee_overflow 0
		.amdhsa_exception_fp_ieee_underflow 0
		.amdhsa_exception_fp_ieee_inexact 0
		.amdhsa_exception_int_div_zero 0
	.end_amdhsa_kernel
	.section	.text._ZN7rocprim17ROCPRIM_400000_NS6detail17trampoline_kernelINS0_14default_configENS1_29binary_search_config_selectorIjbEEZNS1_14transform_implILb0ES3_S5_N6thrust23THRUST_200600_302600_NS17counting_iteratorIjNS8_11use_defaultESA_SA_EEPbZNS1_13binary_searchIS3_S5_PjSB_SC_NS1_16binary_search_opENS8_6detail16wrapped_functionINS0_4lessIvEEbEEEE10hipError_tPvRmT1_T2_T3_mmT4_T5_P12ihipStream_tbEUlRKjE_EESL_SP_SQ_mSR_SU_bEUlT_E_NS1_11comp_targetILNS1_3genE0ELNS1_11target_archE4294967295ELNS1_3gpuE0ELNS1_3repE0EEENS1_30default_config_static_selectorELNS0_4arch9wavefront6targetE0EEEvSO_,"axG",@progbits,_ZN7rocprim17ROCPRIM_400000_NS6detail17trampoline_kernelINS0_14default_configENS1_29binary_search_config_selectorIjbEEZNS1_14transform_implILb0ES3_S5_N6thrust23THRUST_200600_302600_NS17counting_iteratorIjNS8_11use_defaultESA_SA_EEPbZNS1_13binary_searchIS3_S5_PjSB_SC_NS1_16binary_search_opENS8_6detail16wrapped_functionINS0_4lessIvEEbEEEE10hipError_tPvRmT1_T2_T3_mmT4_T5_P12ihipStream_tbEUlRKjE_EESL_SP_SQ_mSR_SU_bEUlT_E_NS1_11comp_targetILNS1_3genE0ELNS1_11target_archE4294967295ELNS1_3gpuE0ELNS1_3repE0EEENS1_30default_config_static_selectorELNS0_4arch9wavefront6targetE0EEEvSO_,comdat
.Lfunc_end200:
	.size	_ZN7rocprim17ROCPRIM_400000_NS6detail17trampoline_kernelINS0_14default_configENS1_29binary_search_config_selectorIjbEEZNS1_14transform_implILb0ES3_S5_N6thrust23THRUST_200600_302600_NS17counting_iteratorIjNS8_11use_defaultESA_SA_EEPbZNS1_13binary_searchIS3_S5_PjSB_SC_NS1_16binary_search_opENS8_6detail16wrapped_functionINS0_4lessIvEEbEEEE10hipError_tPvRmT1_T2_T3_mmT4_T5_P12ihipStream_tbEUlRKjE_EESL_SP_SQ_mSR_SU_bEUlT_E_NS1_11comp_targetILNS1_3genE0ELNS1_11target_archE4294967295ELNS1_3gpuE0ELNS1_3repE0EEENS1_30default_config_static_selectorELNS0_4arch9wavefront6targetE0EEEvSO_, .Lfunc_end200-_ZN7rocprim17ROCPRIM_400000_NS6detail17trampoline_kernelINS0_14default_configENS1_29binary_search_config_selectorIjbEEZNS1_14transform_implILb0ES3_S5_N6thrust23THRUST_200600_302600_NS17counting_iteratorIjNS8_11use_defaultESA_SA_EEPbZNS1_13binary_searchIS3_S5_PjSB_SC_NS1_16binary_search_opENS8_6detail16wrapped_functionINS0_4lessIvEEbEEEE10hipError_tPvRmT1_T2_T3_mmT4_T5_P12ihipStream_tbEUlRKjE_EESL_SP_SQ_mSR_SU_bEUlT_E_NS1_11comp_targetILNS1_3genE0ELNS1_11target_archE4294967295ELNS1_3gpuE0ELNS1_3repE0EEENS1_30default_config_static_selectorELNS0_4arch9wavefront6targetE0EEEvSO_
                                        ; -- End function
	.section	.AMDGPU.csdata,"",@progbits
; Kernel info:
; codeLenInByte = 0
; NumSgprs: 0
; NumVgprs: 0
; ScratchSize: 0
; MemoryBound: 0
; FloatMode: 240
; IeeeMode: 1
; LDSByteSize: 0 bytes/workgroup (compile time only)
; SGPRBlocks: 0
; VGPRBlocks: 0
; NumSGPRsForWavesPerEU: 1
; NumVGPRsForWavesPerEU: 1
; Occupancy: 16
; WaveLimiterHint : 0
; COMPUTE_PGM_RSRC2:SCRATCH_EN: 0
; COMPUTE_PGM_RSRC2:USER_SGPR: 15
; COMPUTE_PGM_RSRC2:TRAP_HANDLER: 0
; COMPUTE_PGM_RSRC2:TGID_X_EN: 1
; COMPUTE_PGM_RSRC2:TGID_Y_EN: 0
; COMPUTE_PGM_RSRC2:TGID_Z_EN: 0
; COMPUTE_PGM_RSRC2:TIDIG_COMP_CNT: 0
	.section	.text._ZN7rocprim17ROCPRIM_400000_NS6detail17trampoline_kernelINS0_14default_configENS1_29binary_search_config_selectorIjbEEZNS1_14transform_implILb0ES3_S5_N6thrust23THRUST_200600_302600_NS17counting_iteratorIjNS8_11use_defaultESA_SA_EEPbZNS1_13binary_searchIS3_S5_PjSB_SC_NS1_16binary_search_opENS8_6detail16wrapped_functionINS0_4lessIvEEbEEEE10hipError_tPvRmT1_T2_T3_mmT4_T5_P12ihipStream_tbEUlRKjE_EESL_SP_SQ_mSR_SU_bEUlT_E_NS1_11comp_targetILNS1_3genE5ELNS1_11target_archE942ELNS1_3gpuE9ELNS1_3repE0EEENS1_30default_config_static_selectorELNS0_4arch9wavefront6targetE0EEEvSO_,"axG",@progbits,_ZN7rocprim17ROCPRIM_400000_NS6detail17trampoline_kernelINS0_14default_configENS1_29binary_search_config_selectorIjbEEZNS1_14transform_implILb0ES3_S5_N6thrust23THRUST_200600_302600_NS17counting_iteratorIjNS8_11use_defaultESA_SA_EEPbZNS1_13binary_searchIS3_S5_PjSB_SC_NS1_16binary_search_opENS8_6detail16wrapped_functionINS0_4lessIvEEbEEEE10hipError_tPvRmT1_T2_T3_mmT4_T5_P12ihipStream_tbEUlRKjE_EESL_SP_SQ_mSR_SU_bEUlT_E_NS1_11comp_targetILNS1_3genE5ELNS1_11target_archE942ELNS1_3gpuE9ELNS1_3repE0EEENS1_30default_config_static_selectorELNS0_4arch9wavefront6targetE0EEEvSO_,comdat
	.protected	_ZN7rocprim17ROCPRIM_400000_NS6detail17trampoline_kernelINS0_14default_configENS1_29binary_search_config_selectorIjbEEZNS1_14transform_implILb0ES3_S5_N6thrust23THRUST_200600_302600_NS17counting_iteratorIjNS8_11use_defaultESA_SA_EEPbZNS1_13binary_searchIS3_S5_PjSB_SC_NS1_16binary_search_opENS8_6detail16wrapped_functionINS0_4lessIvEEbEEEE10hipError_tPvRmT1_T2_T3_mmT4_T5_P12ihipStream_tbEUlRKjE_EESL_SP_SQ_mSR_SU_bEUlT_E_NS1_11comp_targetILNS1_3genE5ELNS1_11target_archE942ELNS1_3gpuE9ELNS1_3repE0EEENS1_30default_config_static_selectorELNS0_4arch9wavefront6targetE0EEEvSO_ ; -- Begin function _ZN7rocprim17ROCPRIM_400000_NS6detail17trampoline_kernelINS0_14default_configENS1_29binary_search_config_selectorIjbEEZNS1_14transform_implILb0ES3_S5_N6thrust23THRUST_200600_302600_NS17counting_iteratorIjNS8_11use_defaultESA_SA_EEPbZNS1_13binary_searchIS3_S5_PjSB_SC_NS1_16binary_search_opENS8_6detail16wrapped_functionINS0_4lessIvEEbEEEE10hipError_tPvRmT1_T2_T3_mmT4_T5_P12ihipStream_tbEUlRKjE_EESL_SP_SQ_mSR_SU_bEUlT_E_NS1_11comp_targetILNS1_3genE5ELNS1_11target_archE942ELNS1_3gpuE9ELNS1_3repE0EEENS1_30default_config_static_selectorELNS0_4arch9wavefront6targetE0EEEvSO_
	.globl	_ZN7rocprim17ROCPRIM_400000_NS6detail17trampoline_kernelINS0_14default_configENS1_29binary_search_config_selectorIjbEEZNS1_14transform_implILb0ES3_S5_N6thrust23THRUST_200600_302600_NS17counting_iteratorIjNS8_11use_defaultESA_SA_EEPbZNS1_13binary_searchIS3_S5_PjSB_SC_NS1_16binary_search_opENS8_6detail16wrapped_functionINS0_4lessIvEEbEEEE10hipError_tPvRmT1_T2_T3_mmT4_T5_P12ihipStream_tbEUlRKjE_EESL_SP_SQ_mSR_SU_bEUlT_E_NS1_11comp_targetILNS1_3genE5ELNS1_11target_archE942ELNS1_3gpuE9ELNS1_3repE0EEENS1_30default_config_static_selectorELNS0_4arch9wavefront6targetE0EEEvSO_
	.p2align	8
	.type	_ZN7rocprim17ROCPRIM_400000_NS6detail17trampoline_kernelINS0_14default_configENS1_29binary_search_config_selectorIjbEEZNS1_14transform_implILb0ES3_S5_N6thrust23THRUST_200600_302600_NS17counting_iteratorIjNS8_11use_defaultESA_SA_EEPbZNS1_13binary_searchIS3_S5_PjSB_SC_NS1_16binary_search_opENS8_6detail16wrapped_functionINS0_4lessIvEEbEEEE10hipError_tPvRmT1_T2_T3_mmT4_T5_P12ihipStream_tbEUlRKjE_EESL_SP_SQ_mSR_SU_bEUlT_E_NS1_11comp_targetILNS1_3genE5ELNS1_11target_archE942ELNS1_3gpuE9ELNS1_3repE0EEENS1_30default_config_static_selectorELNS0_4arch9wavefront6targetE0EEEvSO_,@function
_ZN7rocprim17ROCPRIM_400000_NS6detail17trampoline_kernelINS0_14default_configENS1_29binary_search_config_selectorIjbEEZNS1_14transform_implILb0ES3_S5_N6thrust23THRUST_200600_302600_NS17counting_iteratorIjNS8_11use_defaultESA_SA_EEPbZNS1_13binary_searchIS3_S5_PjSB_SC_NS1_16binary_search_opENS8_6detail16wrapped_functionINS0_4lessIvEEbEEEE10hipError_tPvRmT1_T2_T3_mmT4_T5_P12ihipStream_tbEUlRKjE_EESL_SP_SQ_mSR_SU_bEUlT_E_NS1_11comp_targetILNS1_3genE5ELNS1_11target_archE942ELNS1_3gpuE9ELNS1_3repE0EEENS1_30default_config_static_selectorELNS0_4arch9wavefront6targetE0EEEvSO_: ; @_ZN7rocprim17ROCPRIM_400000_NS6detail17trampoline_kernelINS0_14default_configENS1_29binary_search_config_selectorIjbEEZNS1_14transform_implILb0ES3_S5_N6thrust23THRUST_200600_302600_NS17counting_iteratorIjNS8_11use_defaultESA_SA_EEPbZNS1_13binary_searchIS3_S5_PjSB_SC_NS1_16binary_search_opENS8_6detail16wrapped_functionINS0_4lessIvEEbEEEE10hipError_tPvRmT1_T2_T3_mmT4_T5_P12ihipStream_tbEUlRKjE_EESL_SP_SQ_mSR_SU_bEUlT_E_NS1_11comp_targetILNS1_3genE5ELNS1_11target_archE942ELNS1_3gpuE9ELNS1_3repE0EEENS1_30default_config_static_selectorELNS0_4arch9wavefront6targetE0EEEvSO_
; %bb.0:
	.section	.rodata,"a",@progbits
	.p2align	6, 0x0
	.amdhsa_kernel _ZN7rocprim17ROCPRIM_400000_NS6detail17trampoline_kernelINS0_14default_configENS1_29binary_search_config_selectorIjbEEZNS1_14transform_implILb0ES3_S5_N6thrust23THRUST_200600_302600_NS17counting_iteratorIjNS8_11use_defaultESA_SA_EEPbZNS1_13binary_searchIS3_S5_PjSB_SC_NS1_16binary_search_opENS8_6detail16wrapped_functionINS0_4lessIvEEbEEEE10hipError_tPvRmT1_T2_T3_mmT4_T5_P12ihipStream_tbEUlRKjE_EESL_SP_SQ_mSR_SU_bEUlT_E_NS1_11comp_targetILNS1_3genE5ELNS1_11target_archE942ELNS1_3gpuE9ELNS1_3repE0EEENS1_30default_config_static_selectorELNS0_4arch9wavefront6targetE0EEEvSO_
		.amdhsa_group_segment_fixed_size 0
		.amdhsa_private_segment_fixed_size 0
		.amdhsa_kernarg_size 56
		.amdhsa_user_sgpr_count 15
		.amdhsa_user_sgpr_dispatch_ptr 0
		.amdhsa_user_sgpr_queue_ptr 0
		.amdhsa_user_sgpr_kernarg_segment_ptr 1
		.amdhsa_user_sgpr_dispatch_id 0
		.amdhsa_user_sgpr_private_segment_size 0
		.amdhsa_wavefront_size32 1
		.amdhsa_uses_dynamic_stack 0
		.amdhsa_enable_private_segment 0
		.amdhsa_system_sgpr_workgroup_id_x 1
		.amdhsa_system_sgpr_workgroup_id_y 0
		.amdhsa_system_sgpr_workgroup_id_z 0
		.amdhsa_system_sgpr_workgroup_info 0
		.amdhsa_system_vgpr_workitem_id 0
		.amdhsa_next_free_vgpr 1
		.amdhsa_next_free_sgpr 1
		.amdhsa_reserve_vcc 0
		.amdhsa_float_round_mode_32 0
		.amdhsa_float_round_mode_16_64 0
		.amdhsa_float_denorm_mode_32 3
		.amdhsa_float_denorm_mode_16_64 3
		.amdhsa_dx10_clamp 1
		.amdhsa_ieee_mode 1
		.amdhsa_fp16_overflow 0
		.amdhsa_workgroup_processor_mode 1
		.amdhsa_memory_ordered 1
		.amdhsa_forward_progress 0
		.amdhsa_shared_vgpr_count 0
		.amdhsa_exception_fp_ieee_invalid_op 0
		.amdhsa_exception_fp_denorm_src 0
		.amdhsa_exception_fp_ieee_div_zero 0
		.amdhsa_exception_fp_ieee_overflow 0
		.amdhsa_exception_fp_ieee_underflow 0
		.amdhsa_exception_fp_ieee_inexact 0
		.amdhsa_exception_int_div_zero 0
	.end_amdhsa_kernel
	.section	.text._ZN7rocprim17ROCPRIM_400000_NS6detail17trampoline_kernelINS0_14default_configENS1_29binary_search_config_selectorIjbEEZNS1_14transform_implILb0ES3_S5_N6thrust23THRUST_200600_302600_NS17counting_iteratorIjNS8_11use_defaultESA_SA_EEPbZNS1_13binary_searchIS3_S5_PjSB_SC_NS1_16binary_search_opENS8_6detail16wrapped_functionINS0_4lessIvEEbEEEE10hipError_tPvRmT1_T2_T3_mmT4_T5_P12ihipStream_tbEUlRKjE_EESL_SP_SQ_mSR_SU_bEUlT_E_NS1_11comp_targetILNS1_3genE5ELNS1_11target_archE942ELNS1_3gpuE9ELNS1_3repE0EEENS1_30default_config_static_selectorELNS0_4arch9wavefront6targetE0EEEvSO_,"axG",@progbits,_ZN7rocprim17ROCPRIM_400000_NS6detail17trampoline_kernelINS0_14default_configENS1_29binary_search_config_selectorIjbEEZNS1_14transform_implILb0ES3_S5_N6thrust23THRUST_200600_302600_NS17counting_iteratorIjNS8_11use_defaultESA_SA_EEPbZNS1_13binary_searchIS3_S5_PjSB_SC_NS1_16binary_search_opENS8_6detail16wrapped_functionINS0_4lessIvEEbEEEE10hipError_tPvRmT1_T2_T3_mmT4_T5_P12ihipStream_tbEUlRKjE_EESL_SP_SQ_mSR_SU_bEUlT_E_NS1_11comp_targetILNS1_3genE5ELNS1_11target_archE942ELNS1_3gpuE9ELNS1_3repE0EEENS1_30default_config_static_selectorELNS0_4arch9wavefront6targetE0EEEvSO_,comdat
.Lfunc_end201:
	.size	_ZN7rocprim17ROCPRIM_400000_NS6detail17trampoline_kernelINS0_14default_configENS1_29binary_search_config_selectorIjbEEZNS1_14transform_implILb0ES3_S5_N6thrust23THRUST_200600_302600_NS17counting_iteratorIjNS8_11use_defaultESA_SA_EEPbZNS1_13binary_searchIS3_S5_PjSB_SC_NS1_16binary_search_opENS8_6detail16wrapped_functionINS0_4lessIvEEbEEEE10hipError_tPvRmT1_T2_T3_mmT4_T5_P12ihipStream_tbEUlRKjE_EESL_SP_SQ_mSR_SU_bEUlT_E_NS1_11comp_targetILNS1_3genE5ELNS1_11target_archE942ELNS1_3gpuE9ELNS1_3repE0EEENS1_30default_config_static_selectorELNS0_4arch9wavefront6targetE0EEEvSO_, .Lfunc_end201-_ZN7rocprim17ROCPRIM_400000_NS6detail17trampoline_kernelINS0_14default_configENS1_29binary_search_config_selectorIjbEEZNS1_14transform_implILb0ES3_S5_N6thrust23THRUST_200600_302600_NS17counting_iteratorIjNS8_11use_defaultESA_SA_EEPbZNS1_13binary_searchIS3_S5_PjSB_SC_NS1_16binary_search_opENS8_6detail16wrapped_functionINS0_4lessIvEEbEEEE10hipError_tPvRmT1_T2_T3_mmT4_T5_P12ihipStream_tbEUlRKjE_EESL_SP_SQ_mSR_SU_bEUlT_E_NS1_11comp_targetILNS1_3genE5ELNS1_11target_archE942ELNS1_3gpuE9ELNS1_3repE0EEENS1_30default_config_static_selectorELNS0_4arch9wavefront6targetE0EEEvSO_
                                        ; -- End function
	.section	.AMDGPU.csdata,"",@progbits
; Kernel info:
; codeLenInByte = 0
; NumSgprs: 0
; NumVgprs: 0
; ScratchSize: 0
; MemoryBound: 0
; FloatMode: 240
; IeeeMode: 1
; LDSByteSize: 0 bytes/workgroup (compile time only)
; SGPRBlocks: 0
; VGPRBlocks: 0
; NumSGPRsForWavesPerEU: 1
; NumVGPRsForWavesPerEU: 1
; Occupancy: 16
; WaveLimiterHint : 0
; COMPUTE_PGM_RSRC2:SCRATCH_EN: 0
; COMPUTE_PGM_RSRC2:USER_SGPR: 15
; COMPUTE_PGM_RSRC2:TRAP_HANDLER: 0
; COMPUTE_PGM_RSRC2:TGID_X_EN: 1
; COMPUTE_PGM_RSRC2:TGID_Y_EN: 0
; COMPUTE_PGM_RSRC2:TGID_Z_EN: 0
; COMPUTE_PGM_RSRC2:TIDIG_COMP_CNT: 0
	.section	.text._ZN7rocprim17ROCPRIM_400000_NS6detail17trampoline_kernelINS0_14default_configENS1_29binary_search_config_selectorIjbEEZNS1_14transform_implILb0ES3_S5_N6thrust23THRUST_200600_302600_NS17counting_iteratorIjNS8_11use_defaultESA_SA_EEPbZNS1_13binary_searchIS3_S5_PjSB_SC_NS1_16binary_search_opENS8_6detail16wrapped_functionINS0_4lessIvEEbEEEE10hipError_tPvRmT1_T2_T3_mmT4_T5_P12ihipStream_tbEUlRKjE_EESL_SP_SQ_mSR_SU_bEUlT_E_NS1_11comp_targetILNS1_3genE4ELNS1_11target_archE910ELNS1_3gpuE8ELNS1_3repE0EEENS1_30default_config_static_selectorELNS0_4arch9wavefront6targetE0EEEvSO_,"axG",@progbits,_ZN7rocprim17ROCPRIM_400000_NS6detail17trampoline_kernelINS0_14default_configENS1_29binary_search_config_selectorIjbEEZNS1_14transform_implILb0ES3_S5_N6thrust23THRUST_200600_302600_NS17counting_iteratorIjNS8_11use_defaultESA_SA_EEPbZNS1_13binary_searchIS3_S5_PjSB_SC_NS1_16binary_search_opENS8_6detail16wrapped_functionINS0_4lessIvEEbEEEE10hipError_tPvRmT1_T2_T3_mmT4_T5_P12ihipStream_tbEUlRKjE_EESL_SP_SQ_mSR_SU_bEUlT_E_NS1_11comp_targetILNS1_3genE4ELNS1_11target_archE910ELNS1_3gpuE8ELNS1_3repE0EEENS1_30default_config_static_selectorELNS0_4arch9wavefront6targetE0EEEvSO_,comdat
	.protected	_ZN7rocprim17ROCPRIM_400000_NS6detail17trampoline_kernelINS0_14default_configENS1_29binary_search_config_selectorIjbEEZNS1_14transform_implILb0ES3_S5_N6thrust23THRUST_200600_302600_NS17counting_iteratorIjNS8_11use_defaultESA_SA_EEPbZNS1_13binary_searchIS3_S5_PjSB_SC_NS1_16binary_search_opENS8_6detail16wrapped_functionINS0_4lessIvEEbEEEE10hipError_tPvRmT1_T2_T3_mmT4_T5_P12ihipStream_tbEUlRKjE_EESL_SP_SQ_mSR_SU_bEUlT_E_NS1_11comp_targetILNS1_3genE4ELNS1_11target_archE910ELNS1_3gpuE8ELNS1_3repE0EEENS1_30default_config_static_selectorELNS0_4arch9wavefront6targetE0EEEvSO_ ; -- Begin function _ZN7rocprim17ROCPRIM_400000_NS6detail17trampoline_kernelINS0_14default_configENS1_29binary_search_config_selectorIjbEEZNS1_14transform_implILb0ES3_S5_N6thrust23THRUST_200600_302600_NS17counting_iteratorIjNS8_11use_defaultESA_SA_EEPbZNS1_13binary_searchIS3_S5_PjSB_SC_NS1_16binary_search_opENS8_6detail16wrapped_functionINS0_4lessIvEEbEEEE10hipError_tPvRmT1_T2_T3_mmT4_T5_P12ihipStream_tbEUlRKjE_EESL_SP_SQ_mSR_SU_bEUlT_E_NS1_11comp_targetILNS1_3genE4ELNS1_11target_archE910ELNS1_3gpuE8ELNS1_3repE0EEENS1_30default_config_static_selectorELNS0_4arch9wavefront6targetE0EEEvSO_
	.globl	_ZN7rocprim17ROCPRIM_400000_NS6detail17trampoline_kernelINS0_14default_configENS1_29binary_search_config_selectorIjbEEZNS1_14transform_implILb0ES3_S5_N6thrust23THRUST_200600_302600_NS17counting_iteratorIjNS8_11use_defaultESA_SA_EEPbZNS1_13binary_searchIS3_S5_PjSB_SC_NS1_16binary_search_opENS8_6detail16wrapped_functionINS0_4lessIvEEbEEEE10hipError_tPvRmT1_T2_T3_mmT4_T5_P12ihipStream_tbEUlRKjE_EESL_SP_SQ_mSR_SU_bEUlT_E_NS1_11comp_targetILNS1_3genE4ELNS1_11target_archE910ELNS1_3gpuE8ELNS1_3repE0EEENS1_30default_config_static_selectorELNS0_4arch9wavefront6targetE0EEEvSO_
	.p2align	8
	.type	_ZN7rocprim17ROCPRIM_400000_NS6detail17trampoline_kernelINS0_14default_configENS1_29binary_search_config_selectorIjbEEZNS1_14transform_implILb0ES3_S5_N6thrust23THRUST_200600_302600_NS17counting_iteratorIjNS8_11use_defaultESA_SA_EEPbZNS1_13binary_searchIS3_S5_PjSB_SC_NS1_16binary_search_opENS8_6detail16wrapped_functionINS0_4lessIvEEbEEEE10hipError_tPvRmT1_T2_T3_mmT4_T5_P12ihipStream_tbEUlRKjE_EESL_SP_SQ_mSR_SU_bEUlT_E_NS1_11comp_targetILNS1_3genE4ELNS1_11target_archE910ELNS1_3gpuE8ELNS1_3repE0EEENS1_30default_config_static_selectorELNS0_4arch9wavefront6targetE0EEEvSO_,@function
_ZN7rocprim17ROCPRIM_400000_NS6detail17trampoline_kernelINS0_14default_configENS1_29binary_search_config_selectorIjbEEZNS1_14transform_implILb0ES3_S5_N6thrust23THRUST_200600_302600_NS17counting_iteratorIjNS8_11use_defaultESA_SA_EEPbZNS1_13binary_searchIS3_S5_PjSB_SC_NS1_16binary_search_opENS8_6detail16wrapped_functionINS0_4lessIvEEbEEEE10hipError_tPvRmT1_T2_T3_mmT4_T5_P12ihipStream_tbEUlRKjE_EESL_SP_SQ_mSR_SU_bEUlT_E_NS1_11comp_targetILNS1_3genE4ELNS1_11target_archE910ELNS1_3gpuE8ELNS1_3repE0EEENS1_30default_config_static_selectorELNS0_4arch9wavefront6targetE0EEEvSO_: ; @_ZN7rocprim17ROCPRIM_400000_NS6detail17trampoline_kernelINS0_14default_configENS1_29binary_search_config_selectorIjbEEZNS1_14transform_implILb0ES3_S5_N6thrust23THRUST_200600_302600_NS17counting_iteratorIjNS8_11use_defaultESA_SA_EEPbZNS1_13binary_searchIS3_S5_PjSB_SC_NS1_16binary_search_opENS8_6detail16wrapped_functionINS0_4lessIvEEbEEEE10hipError_tPvRmT1_T2_T3_mmT4_T5_P12ihipStream_tbEUlRKjE_EESL_SP_SQ_mSR_SU_bEUlT_E_NS1_11comp_targetILNS1_3genE4ELNS1_11target_archE910ELNS1_3gpuE8ELNS1_3repE0EEENS1_30default_config_static_selectorELNS0_4arch9wavefront6targetE0EEEvSO_
; %bb.0:
	.section	.rodata,"a",@progbits
	.p2align	6, 0x0
	.amdhsa_kernel _ZN7rocprim17ROCPRIM_400000_NS6detail17trampoline_kernelINS0_14default_configENS1_29binary_search_config_selectorIjbEEZNS1_14transform_implILb0ES3_S5_N6thrust23THRUST_200600_302600_NS17counting_iteratorIjNS8_11use_defaultESA_SA_EEPbZNS1_13binary_searchIS3_S5_PjSB_SC_NS1_16binary_search_opENS8_6detail16wrapped_functionINS0_4lessIvEEbEEEE10hipError_tPvRmT1_T2_T3_mmT4_T5_P12ihipStream_tbEUlRKjE_EESL_SP_SQ_mSR_SU_bEUlT_E_NS1_11comp_targetILNS1_3genE4ELNS1_11target_archE910ELNS1_3gpuE8ELNS1_3repE0EEENS1_30default_config_static_selectorELNS0_4arch9wavefront6targetE0EEEvSO_
		.amdhsa_group_segment_fixed_size 0
		.amdhsa_private_segment_fixed_size 0
		.amdhsa_kernarg_size 56
		.amdhsa_user_sgpr_count 15
		.amdhsa_user_sgpr_dispatch_ptr 0
		.amdhsa_user_sgpr_queue_ptr 0
		.amdhsa_user_sgpr_kernarg_segment_ptr 1
		.amdhsa_user_sgpr_dispatch_id 0
		.amdhsa_user_sgpr_private_segment_size 0
		.amdhsa_wavefront_size32 1
		.amdhsa_uses_dynamic_stack 0
		.amdhsa_enable_private_segment 0
		.amdhsa_system_sgpr_workgroup_id_x 1
		.amdhsa_system_sgpr_workgroup_id_y 0
		.amdhsa_system_sgpr_workgroup_id_z 0
		.amdhsa_system_sgpr_workgroup_info 0
		.amdhsa_system_vgpr_workitem_id 0
		.amdhsa_next_free_vgpr 1
		.amdhsa_next_free_sgpr 1
		.amdhsa_reserve_vcc 0
		.amdhsa_float_round_mode_32 0
		.amdhsa_float_round_mode_16_64 0
		.amdhsa_float_denorm_mode_32 3
		.amdhsa_float_denorm_mode_16_64 3
		.amdhsa_dx10_clamp 1
		.amdhsa_ieee_mode 1
		.amdhsa_fp16_overflow 0
		.amdhsa_workgroup_processor_mode 1
		.amdhsa_memory_ordered 1
		.amdhsa_forward_progress 0
		.amdhsa_shared_vgpr_count 0
		.amdhsa_exception_fp_ieee_invalid_op 0
		.amdhsa_exception_fp_denorm_src 0
		.amdhsa_exception_fp_ieee_div_zero 0
		.amdhsa_exception_fp_ieee_overflow 0
		.amdhsa_exception_fp_ieee_underflow 0
		.amdhsa_exception_fp_ieee_inexact 0
		.amdhsa_exception_int_div_zero 0
	.end_amdhsa_kernel
	.section	.text._ZN7rocprim17ROCPRIM_400000_NS6detail17trampoline_kernelINS0_14default_configENS1_29binary_search_config_selectorIjbEEZNS1_14transform_implILb0ES3_S5_N6thrust23THRUST_200600_302600_NS17counting_iteratorIjNS8_11use_defaultESA_SA_EEPbZNS1_13binary_searchIS3_S5_PjSB_SC_NS1_16binary_search_opENS8_6detail16wrapped_functionINS0_4lessIvEEbEEEE10hipError_tPvRmT1_T2_T3_mmT4_T5_P12ihipStream_tbEUlRKjE_EESL_SP_SQ_mSR_SU_bEUlT_E_NS1_11comp_targetILNS1_3genE4ELNS1_11target_archE910ELNS1_3gpuE8ELNS1_3repE0EEENS1_30default_config_static_selectorELNS0_4arch9wavefront6targetE0EEEvSO_,"axG",@progbits,_ZN7rocprim17ROCPRIM_400000_NS6detail17trampoline_kernelINS0_14default_configENS1_29binary_search_config_selectorIjbEEZNS1_14transform_implILb0ES3_S5_N6thrust23THRUST_200600_302600_NS17counting_iteratorIjNS8_11use_defaultESA_SA_EEPbZNS1_13binary_searchIS3_S5_PjSB_SC_NS1_16binary_search_opENS8_6detail16wrapped_functionINS0_4lessIvEEbEEEE10hipError_tPvRmT1_T2_T3_mmT4_T5_P12ihipStream_tbEUlRKjE_EESL_SP_SQ_mSR_SU_bEUlT_E_NS1_11comp_targetILNS1_3genE4ELNS1_11target_archE910ELNS1_3gpuE8ELNS1_3repE0EEENS1_30default_config_static_selectorELNS0_4arch9wavefront6targetE0EEEvSO_,comdat
.Lfunc_end202:
	.size	_ZN7rocprim17ROCPRIM_400000_NS6detail17trampoline_kernelINS0_14default_configENS1_29binary_search_config_selectorIjbEEZNS1_14transform_implILb0ES3_S5_N6thrust23THRUST_200600_302600_NS17counting_iteratorIjNS8_11use_defaultESA_SA_EEPbZNS1_13binary_searchIS3_S5_PjSB_SC_NS1_16binary_search_opENS8_6detail16wrapped_functionINS0_4lessIvEEbEEEE10hipError_tPvRmT1_T2_T3_mmT4_T5_P12ihipStream_tbEUlRKjE_EESL_SP_SQ_mSR_SU_bEUlT_E_NS1_11comp_targetILNS1_3genE4ELNS1_11target_archE910ELNS1_3gpuE8ELNS1_3repE0EEENS1_30default_config_static_selectorELNS0_4arch9wavefront6targetE0EEEvSO_, .Lfunc_end202-_ZN7rocprim17ROCPRIM_400000_NS6detail17trampoline_kernelINS0_14default_configENS1_29binary_search_config_selectorIjbEEZNS1_14transform_implILb0ES3_S5_N6thrust23THRUST_200600_302600_NS17counting_iteratorIjNS8_11use_defaultESA_SA_EEPbZNS1_13binary_searchIS3_S5_PjSB_SC_NS1_16binary_search_opENS8_6detail16wrapped_functionINS0_4lessIvEEbEEEE10hipError_tPvRmT1_T2_T3_mmT4_T5_P12ihipStream_tbEUlRKjE_EESL_SP_SQ_mSR_SU_bEUlT_E_NS1_11comp_targetILNS1_3genE4ELNS1_11target_archE910ELNS1_3gpuE8ELNS1_3repE0EEENS1_30default_config_static_selectorELNS0_4arch9wavefront6targetE0EEEvSO_
                                        ; -- End function
	.section	.AMDGPU.csdata,"",@progbits
; Kernel info:
; codeLenInByte = 0
; NumSgprs: 0
; NumVgprs: 0
; ScratchSize: 0
; MemoryBound: 0
; FloatMode: 240
; IeeeMode: 1
; LDSByteSize: 0 bytes/workgroup (compile time only)
; SGPRBlocks: 0
; VGPRBlocks: 0
; NumSGPRsForWavesPerEU: 1
; NumVGPRsForWavesPerEU: 1
; Occupancy: 16
; WaveLimiterHint : 0
; COMPUTE_PGM_RSRC2:SCRATCH_EN: 0
; COMPUTE_PGM_RSRC2:USER_SGPR: 15
; COMPUTE_PGM_RSRC2:TRAP_HANDLER: 0
; COMPUTE_PGM_RSRC2:TGID_X_EN: 1
; COMPUTE_PGM_RSRC2:TGID_Y_EN: 0
; COMPUTE_PGM_RSRC2:TGID_Z_EN: 0
; COMPUTE_PGM_RSRC2:TIDIG_COMP_CNT: 0
	.section	.text._ZN7rocprim17ROCPRIM_400000_NS6detail17trampoline_kernelINS0_14default_configENS1_29binary_search_config_selectorIjbEEZNS1_14transform_implILb0ES3_S5_N6thrust23THRUST_200600_302600_NS17counting_iteratorIjNS8_11use_defaultESA_SA_EEPbZNS1_13binary_searchIS3_S5_PjSB_SC_NS1_16binary_search_opENS8_6detail16wrapped_functionINS0_4lessIvEEbEEEE10hipError_tPvRmT1_T2_T3_mmT4_T5_P12ihipStream_tbEUlRKjE_EESL_SP_SQ_mSR_SU_bEUlT_E_NS1_11comp_targetILNS1_3genE3ELNS1_11target_archE908ELNS1_3gpuE7ELNS1_3repE0EEENS1_30default_config_static_selectorELNS0_4arch9wavefront6targetE0EEEvSO_,"axG",@progbits,_ZN7rocprim17ROCPRIM_400000_NS6detail17trampoline_kernelINS0_14default_configENS1_29binary_search_config_selectorIjbEEZNS1_14transform_implILb0ES3_S5_N6thrust23THRUST_200600_302600_NS17counting_iteratorIjNS8_11use_defaultESA_SA_EEPbZNS1_13binary_searchIS3_S5_PjSB_SC_NS1_16binary_search_opENS8_6detail16wrapped_functionINS0_4lessIvEEbEEEE10hipError_tPvRmT1_T2_T3_mmT4_T5_P12ihipStream_tbEUlRKjE_EESL_SP_SQ_mSR_SU_bEUlT_E_NS1_11comp_targetILNS1_3genE3ELNS1_11target_archE908ELNS1_3gpuE7ELNS1_3repE0EEENS1_30default_config_static_selectorELNS0_4arch9wavefront6targetE0EEEvSO_,comdat
	.protected	_ZN7rocprim17ROCPRIM_400000_NS6detail17trampoline_kernelINS0_14default_configENS1_29binary_search_config_selectorIjbEEZNS1_14transform_implILb0ES3_S5_N6thrust23THRUST_200600_302600_NS17counting_iteratorIjNS8_11use_defaultESA_SA_EEPbZNS1_13binary_searchIS3_S5_PjSB_SC_NS1_16binary_search_opENS8_6detail16wrapped_functionINS0_4lessIvEEbEEEE10hipError_tPvRmT1_T2_T3_mmT4_T5_P12ihipStream_tbEUlRKjE_EESL_SP_SQ_mSR_SU_bEUlT_E_NS1_11comp_targetILNS1_3genE3ELNS1_11target_archE908ELNS1_3gpuE7ELNS1_3repE0EEENS1_30default_config_static_selectorELNS0_4arch9wavefront6targetE0EEEvSO_ ; -- Begin function _ZN7rocprim17ROCPRIM_400000_NS6detail17trampoline_kernelINS0_14default_configENS1_29binary_search_config_selectorIjbEEZNS1_14transform_implILb0ES3_S5_N6thrust23THRUST_200600_302600_NS17counting_iteratorIjNS8_11use_defaultESA_SA_EEPbZNS1_13binary_searchIS3_S5_PjSB_SC_NS1_16binary_search_opENS8_6detail16wrapped_functionINS0_4lessIvEEbEEEE10hipError_tPvRmT1_T2_T3_mmT4_T5_P12ihipStream_tbEUlRKjE_EESL_SP_SQ_mSR_SU_bEUlT_E_NS1_11comp_targetILNS1_3genE3ELNS1_11target_archE908ELNS1_3gpuE7ELNS1_3repE0EEENS1_30default_config_static_selectorELNS0_4arch9wavefront6targetE0EEEvSO_
	.globl	_ZN7rocprim17ROCPRIM_400000_NS6detail17trampoline_kernelINS0_14default_configENS1_29binary_search_config_selectorIjbEEZNS1_14transform_implILb0ES3_S5_N6thrust23THRUST_200600_302600_NS17counting_iteratorIjNS8_11use_defaultESA_SA_EEPbZNS1_13binary_searchIS3_S5_PjSB_SC_NS1_16binary_search_opENS8_6detail16wrapped_functionINS0_4lessIvEEbEEEE10hipError_tPvRmT1_T2_T3_mmT4_T5_P12ihipStream_tbEUlRKjE_EESL_SP_SQ_mSR_SU_bEUlT_E_NS1_11comp_targetILNS1_3genE3ELNS1_11target_archE908ELNS1_3gpuE7ELNS1_3repE0EEENS1_30default_config_static_selectorELNS0_4arch9wavefront6targetE0EEEvSO_
	.p2align	8
	.type	_ZN7rocprim17ROCPRIM_400000_NS6detail17trampoline_kernelINS0_14default_configENS1_29binary_search_config_selectorIjbEEZNS1_14transform_implILb0ES3_S5_N6thrust23THRUST_200600_302600_NS17counting_iteratorIjNS8_11use_defaultESA_SA_EEPbZNS1_13binary_searchIS3_S5_PjSB_SC_NS1_16binary_search_opENS8_6detail16wrapped_functionINS0_4lessIvEEbEEEE10hipError_tPvRmT1_T2_T3_mmT4_T5_P12ihipStream_tbEUlRKjE_EESL_SP_SQ_mSR_SU_bEUlT_E_NS1_11comp_targetILNS1_3genE3ELNS1_11target_archE908ELNS1_3gpuE7ELNS1_3repE0EEENS1_30default_config_static_selectorELNS0_4arch9wavefront6targetE0EEEvSO_,@function
_ZN7rocprim17ROCPRIM_400000_NS6detail17trampoline_kernelINS0_14default_configENS1_29binary_search_config_selectorIjbEEZNS1_14transform_implILb0ES3_S5_N6thrust23THRUST_200600_302600_NS17counting_iteratorIjNS8_11use_defaultESA_SA_EEPbZNS1_13binary_searchIS3_S5_PjSB_SC_NS1_16binary_search_opENS8_6detail16wrapped_functionINS0_4lessIvEEbEEEE10hipError_tPvRmT1_T2_T3_mmT4_T5_P12ihipStream_tbEUlRKjE_EESL_SP_SQ_mSR_SU_bEUlT_E_NS1_11comp_targetILNS1_3genE3ELNS1_11target_archE908ELNS1_3gpuE7ELNS1_3repE0EEENS1_30default_config_static_selectorELNS0_4arch9wavefront6targetE0EEEvSO_: ; @_ZN7rocprim17ROCPRIM_400000_NS6detail17trampoline_kernelINS0_14default_configENS1_29binary_search_config_selectorIjbEEZNS1_14transform_implILb0ES3_S5_N6thrust23THRUST_200600_302600_NS17counting_iteratorIjNS8_11use_defaultESA_SA_EEPbZNS1_13binary_searchIS3_S5_PjSB_SC_NS1_16binary_search_opENS8_6detail16wrapped_functionINS0_4lessIvEEbEEEE10hipError_tPvRmT1_T2_T3_mmT4_T5_P12ihipStream_tbEUlRKjE_EESL_SP_SQ_mSR_SU_bEUlT_E_NS1_11comp_targetILNS1_3genE3ELNS1_11target_archE908ELNS1_3gpuE7ELNS1_3repE0EEENS1_30default_config_static_selectorELNS0_4arch9wavefront6targetE0EEEvSO_
; %bb.0:
	.section	.rodata,"a",@progbits
	.p2align	6, 0x0
	.amdhsa_kernel _ZN7rocprim17ROCPRIM_400000_NS6detail17trampoline_kernelINS0_14default_configENS1_29binary_search_config_selectorIjbEEZNS1_14transform_implILb0ES3_S5_N6thrust23THRUST_200600_302600_NS17counting_iteratorIjNS8_11use_defaultESA_SA_EEPbZNS1_13binary_searchIS3_S5_PjSB_SC_NS1_16binary_search_opENS8_6detail16wrapped_functionINS0_4lessIvEEbEEEE10hipError_tPvRmT1_T2_T3_mmT4_T5_P12ihipStream_tbEUlRKjE_EESL_SP_SQ_mSR_SU_bEUlT_E_NS1_11comp_targetILNS1_3genE3ELNS1_11target_archE908ELNS1_3gpuE7ELNS1_3repE0EEENS1_30default_config_static_selectorELNS0_4arch9wavefront6targetE0EEEvSO_
		.amdhsa_group_segment_fixed_size 0
		.amdhsa_private_segment_fixed_size 0
		.amdhsa_kernarg_size 56
		.amdhsa_user_sgpr_count 15
		.amdhsa_user_sgpr_dispatch_ptr 0
		.amdhsa_user_sgpr_queue_ptr 0
		.amdhsa_user_sgpr_kernarg_segment_ptr 1
		.amdhsa_user_sgpr_dispatch_id 0
		.amdhsa_user_sgpr_private_segment_size 0
		.amdhsa_wavefront_size32 1
		.amdhsa_uses_dynamic_stack 0
		.amdhsa_enable_private_segment 0
		.amdhsa_system_sgpr_workgroup_id_x 1
		.amdhsa_system_sgpr_workgroup_id_y 0
		.amdhsa_system_sgpr_workgroup_id_z 0
		.amdhsa_system_sgpr_workgroup_info 0
		.amdhsa_system_vgpr_workitem_id 0
		.amdhsa_next_free_vgpr 1
		.amdhsa_next_free_sgpr 1
		.amdhsa_reserve_vcc 0
		.amdhsa_float_round_mode_32 0
		.amdhsa_float_round_mode_16_64 0
		.amdhsa_float_denorm_mode_32 3
		.amdhsa_float_denorm_mode_16_64 3
		.amdhsa_dx10_clamp 1
		.amdhsa_ieee_mode 1
		.amdhsa_fp16_overflow 0
		.amdhsa_workgroup_processor_mode 1
		.amdhsa_memory_ordered 1
		.amdhsa_forward_progress 0
		.amdhsa_shared_vgpr_count 0
		.amdhsa_exception_fp_ieee_invalid_op 0
		.amdhsa_exception_fp_denorm_src 0
		.amdhsa_exception_fp_ieee_div_zero 0
		.amdhsa_exception_fp_ieee_overflow 0
		.amdhsa_exception_fp_ieee_underflow 0
		.amdhsa_exception_fp_ieee_inexact 0
		.amdhsa_exception_int_div_zero 0
	.end_amdhsa_kernel
	.section	.text._ZN7rocprim17ROCPRIM_400000_NS6detail17trampoline_kernelINS0_14default_configENS1_29binary_search_config_selectorIjbEEZNS1_14transform_implILb0ES3_S5_N6thrust23THRUST_200600_302600_NS17counting_iteratorIjNS8_11use_defaultESA_SA_EEPbZNS1_13binary_searchIS3_S5_PjSB_SC_NS1_16binary_search_opENS8_6detail16wrapped_functionINS0_4lessIvEEbEEEE10hipError_tPvRmT1_T2_T3_mmT4_T5_P12ihipStream_tbEUlRKjE_EESL_SP_SQ_mSR_SU_bEUlT_E_NS1_11comp_targetILNS1_3genE3ELNS1_11target_archE908ELNS1_3gpuE7ELNS1_3repE0EEENS1_30default_config_static_selectorELNS0_4arch9wavefront6targetE0EEEvSO_,"axG",@progbits,_ZN7rocprim17ROCPRIM_400000_NS6detail17trampoline_kernelINS0_14default_configENS1_29binary_search_config_selectorIjbEEZNS1_14transform_implILb0ES3_S5_N6thrust23THRUST_200600_302600_NS17counting_iteratorIjNS8_11use_defaultESA_SA_EEPbZNS1_13binary_searchIS3_S5_PjSB_SC_NS1_16binary_search_opENS8_6detail16wrapped_functionINS0_4lessIvEEbEEEE10hipError_tPvRmT1_T2_T3_mmT4_T5_P12ihipStream_tbEUlRKjE_EESL_SP_SQ_mSR_SU_bEUlT_E_NS1_11comp_targetILNS1_3genE3ELNS1_11target_archE908ELNS1_3gpuE7ELNS1_3repE0EEENS1_30default_config_static_selectorELNS0_4arch9wavefront6targetE0EEEvSO_,comdat
.Lfunc_end203:
	.size	_ZN7rocprim17ROCPRIM_400000_NS6detail17trampoline_kernelINS0_14default_configENS1_29binary_search_config_selectorIjbEEZNS1_14transform_implILb0ES3_S5_N6thrust23THRUST_200600_302600_NS17counting_iteratorIjNS8_11use_defaultESA_SA_EEPbZNS1_13binary_searchIS3_S5_PjSB_SC_NS1_16binary_search_opENS8_6detail16wrapped_functionINS0_4lessIvEEbEEEE10hipError_tPvRmT1_T2_T3_mmT4_T5_P12ihipStream_tbEUlRKjE_EESL_SP_SQ_mSR_SU_bEUlT_E_NS1_11comp_targetILNS1_3genE3ELNS1_11target_archE908ELNS1_3gpuE7ELNS1_3repE0EEENS1_30default_config_static_selectorELNS0_4arch9wavefront6targetE0EEEvSO_, .Lfunc_end203-_ZN7rocprim17ROCPRIM_400000_NS6detail17trampoline_kernelINS0_14default_configENS1_29binary_search_config_selectorIjbEEZNS1_14transform_implILb0ES3_S5_N6thrust23THRUST_200600_302600_NS17counting_iteratorIjNS8_11use_defaultESA_SA_EEPbZNS1_13binary_searchIS3_S5_PjSB_SC_NS1_16binary_search_opENS8_6detail16wrapped_functionINS0_4lessIvEEbEEEE10hipError_tPvRmT1_T2_T3_mmT4_T5_P12ihipStream_tbEUlRKjE_EESL_SP_SQ_mSR_SU_bEUlT_E_NS1_11comp_targetILNS1_3genE3ELNS1_11target_archE908ELNS1_3gpuE7ELNS1_3repE0EEENS1_30default_config_static_selectorELNS0_4arch9wavefront6targetE0EEEvSO_
                                        ; -- End function
	.section	.AMDGPU.csdata,"",@progbits
; Kernel info:
; codeLenInByte = 0
; NumSgprs: 0
; NumVgprs: 0
; ScratchSize: 0
; MemoryBound: 0
; FloatMode: 240
; IeeeMode: 1
; LDSByteSize: 0 bytes/workgroup (compile time only)
; SGPRBlocks: 0
; VGPRBlocks: 0
; NumSGPRsForWavesPerEU: 1
; NumVGPRsForWavesPerEU: 1
; Occupancy: 16
; WaveLimiterHint : 0
; COMPUTE_PGM_RSRC2:SCRATCH_EN: 0
; COMPUTE_PGM_RSRC2:USER_SGPR: 15
; COMPUTE_PGM_RSRC2:TRAP_HANDLER: 0
; COMPUTE_PGM_RSRC2:TGID_X_EN: 1
; COMPUTE_PGM_RSRC2:TGID_Y_EN: 0
; COMPUTE_PGM_RSRC2:TGID_Z_EN: 0
; COMPUTE_PGM_RSRC2:TIDIG_COMP_CNT: 0
	.section	.text._ZN7rocprim17ROCPRIM_400000_NS6detail17trampoline_kernelINS0_14default_configENS1_29binary_search_config_selectorIjbEEZNS1_14transform_implILb0ES3_S5_N6thrust23THRUST_200600_302600_NS17counting_iteratorIjNS8_11use_defaultESA_SA_EEPbZNS1_13binary_searchIS3_S5_PjSB_SC_NS1_16binary_search_opENS8_6detail16wrapped_functionINS0_4lessIvEEbEEEE10hipError_tPvRmT1_T2_T3_mmT4_T5_P12ihipStream_tbEUlRKjE_EESL_SP_SQ_mSR_SU_bEUlT_E_NS1_11comp_targetILNS1_3genE2ELNS1_11target_archE906ELNS1_3gpuE6ELNS1_3repE0EEENS1_30default_config_static_selectorELNS0_4arch9wavefront6targetE0EEEvSO_,"axG",@progbits,_ZN7rocprim17ROCPRIM_400000_NS6detail17trampoline_kernelINS0_14default_configENS1_29binary_search_config_selectorIjbEEZNS1_14transform_implILb0ES3_S5_N6thrust23THRUST_200600_302600_NS17counting_iteratorIjNS8_11use_defaultESA_SA_EEPbZNS1_13binary_searchIS3_S5_PjSB_SC_NS1_16binary_search_opENS8_6detail16wrapped_functionINS0_4lessIvEEbEEEE10hipError_tPvRmT1_T2_T3_mmT4_T5_P12ihipStream_tbEUlRKjE_EESL_SP_SQ_mSR_SU_bEUlT_E_NS1_11comp_targetILNS1_3genE2ELNS1_11target_archE906ELNS1_3gpuE6ELNS1_3repE0EEENS1_30default_config_static_selectorELNS0_4arch9wavefront6targetE0EEEvSO_,comdat
	.protected	_ZN7rocprim17ROCPRIM_400000_NS6detail17trampoline_kernelINS0_14default_configENS1_29binary_search_config_selectorIjbEEZNS1_14transform_implILb0ES3_S5_N6thrust23THRUST_200600_302600_NS17counting_iteratorIjNS8_11use_defaultESA_SA_EEPbZNS1_13binary_searchIS3_S5_PjSB_SC_NS1_16binary_search_opENS8_6detail16wrapped_functionINS0_4lessIvEEbEEEE10hipError_tPvRmT1_T2_T3_mmT4_T5_P12ihipStream_tbEUlRKjE_EESL_SP_SQ_mSR_SU_bEUlT_E_NS1_11comp_targetILNS1_3genE2ELNS1_11target_archE906ELNS1_3gpuE6ELNS1_3repE0EEENS1_30default_config_static_selectorELNS0_4arch9wavefront6targetE0EEEvSO_ ; -- Begin function _ZN7rocprim17ROCPRIM_400000_NS6detail17trampoline_kernelINS0_14default_configENS1_29binary_search_config_selectorIjbEEZNS1_14transform_implILb0ES3_S5_N6thrust23THRUST_200600_302600_NS17counting_iteratorIjNS8_11use_defaultESA_SA_EEPbZNS1_13binary_searchIS3_S5_PjSB_SC_NS1_16binary_search_opENS8_6detail16wrapped_functionINS0_4lessIvEEbEEEE10hipError_tPvRmT1_T2_T3_mmT4_T5_P12ihipStream_tbEUlRKjE_EESL_SP_SQ_mSR_SU_bEUlT_E_NS1_11comp_targetILNS1_3genE2ELNS1_11target_archE906ELNS1_3gpuE6ELNS1_3repE0EEENS1_30default_config_static_selectorELNS0_4arch9wavefront6targetE0EEEvSO_
	.globl	_ZN7rocprim17ROCPRIM_400000_NS6detail17trampoline_kernelINS0_14default_configENS1_29binary_search_config_selectorIjbEEZNS1_14transform_implILb0ES3_S5_N6thrust23THRUST_200600_302600_NS17counting_iteratorIjNS8_11use_defaultESA_SA_EEPbZNS1_13binary_searchIS3_S5_PjSB_SC_NS1_16binary_search_opENS8_6detail16wrapped_functionINS0_4lessIvEEbEEEE10hipError_tPvRmT1_T2_T3_mmT4_T5_P12ihipStream_tbEUlRKjE_EESL_SP_SQ_mSR_SU_bEUlT_E_NS1_11comp_targetILNS1_3genE2ELNS1_11target_archE906ELNS1_3gpuE6ELNS1_3repE0EEENS1_30default_config_static_selectorELNS0_4arch9wavefront6targetE0EEEvSO_
	.p2align	8
	.type	_ZN7rocprim17ROCPRIM_400000_NS6detail17trampoline_kernelINS0_14default_configENS1_29binary_search_config_selectorIjbEEZNS1_14transform_implILb0ES3_S5_N6thrust23THRUST_200600_302600_NS17counting_iteratorIjNS8_11use_defaultESA_SA_EEPbZNS1_13binary_searchIS3_S5_PjSB_SC_NS1_16binary_search_opENS8_6detail16wrapped_functionINS0_4lessIvEEbEEEE10hipError_tPvRmT1_T2_T3_mmT4_T5_P12ihipStream_tbEUlRKjE_EESL_SP_SQ_mSR_SU_bEUlT_E_NS1_11comp_targetILNS1_3genE2ELNS1_11target_archE906ELNS1_3gpuE6ELNS1_3repE0EEENS1_30default_config_static_selectorELNS0_4arch9wavefront6targetE0EEEvSO_,@function
_ZN7rocprim17ROCPRIM_400000_NS6detail17trampoline_kernelINS0_14default_configENS1_29binary_search_config_selectorIjbEEZNS1_14transform_implILb0ES3_S5_N6thrust23THRUST_200600_302600_NS17counting_iteratorIjNS8_11use_defaultESA_SA_EEPbZNS1_13binary_searchIS3_S5_PjSB_SC_NS1_16binary_search_opENS8_6detail16wrapped_functionINS0_4lessIvEEbEEEE10hipError_tPvRmT1_T2_T3_mmT4_T5_P12ihipStream_tbEUlRKjE_EESL_SP_SQ_mSR_SU_bEUlT_E_NS1_11comp_targetILNS1_3genE2ELNS1_11target_archE906ELNS1_3gpuE6ELNS1_3repE0EEENS1_30default_config_static_selectorELNS0_4arch9wavefront6targetE0EEEvSO_: ; @_ZN7rocprim17ROCPRIM_400000_NS6detail17trampoline_kernelINS0_14default_configENS1_29binary_search_config_selectorIjbEEZNS1_14transform_implILb0ES3_S5_N6thrust23THRUST_200600_302600_NS17counting_iteratorIjNS8_11use_defaultESA_SA_EEPbZNS1_13binary_searchIS3_S5_PjSB_SC_NS1_16binary_search_opENS8_6detail16wrapped_functionINS0_4lessIvEEbEEEE10hipError_tPvRmT1_T2_T3_mmT4_T5_P12ihipStream_tbEUlRKjE_EESL_SP_SQ_mSR_SU_bEUlT_E_NS1_11comp_targetILNS1_3genE2ELNS1_11target_archE906ELNS1_3gpuE6ELNS1_3repE0EEENS1_30default_config_static_selectorELNS0_4arch9wavefront6targetE0EEEvSO_
; %bb.0:
	.section	.rodata,"a",@progbits
	.p2align	6, 0x0
	.amdhsa_kernel _ZN7rocprim17ROCPRIM_400000_NS6detail17trampoline_kernelINS0_14default_configENS1_29binary_search_config_selectorIjbEEZNS1_14transform_implILb0ES3_S5_N6thrust23THRUST_200600_302600_NS17counting_iteratorIjNS8_11use_defaultESA_SA_EEPbZNS1_13binary_searchIS3_S5_PjSB_SC_NS1_16binary_search_opENS8_6detail16wrapped_functionINS0_4lessIvEEbEEEE10hipError_tPvRmT1_T2_T3_mmT4_T5_P12ihipStream_tbEUlRKjE_EESL_SP_SQ_mSR_SU_bEUlT_E_NS1_11comp_targetILNS1_3genE2ELNS1_11target_archE906ELNS1_3gpuE6ELNS1_3repE0EEENS1_30default_config_static_selectorELNS0_4arch9wavefront6targetE0EEEvSO_
		.amdhsa_group_segment_fixed_size 0
		.amdhsa_private_segment_fixed_size 0
		.amdhsa_kernarg_size 56
		.amdhsa_user_sgpr_count 15
		.amdhsa_user_sgpr_dispatch_ptr 0
		.amdhsa_user_sgpr_queue_ptr 0
		.amdhsa_user_sgpr_kernarg_segment_ptr 1
		.amdhsa_user_sgpr_dispatch_id 0
		.amdhsa_user_sgpr_private_segment_size 0
		.amdhsa_wavefront_size32 1
		.amdhsa_uses_dynamic_stack 0
		.amdhsa_enable_private_segment 0
		.amdhsa_system_sgpr_workgroup_id_x 1
		.amdhsa_system_sgpr_workgroup_id_y 0
		.amdhsa_system_sgpr_workgroup_id_z 0
		.amdhsa_system_sgpr_workgroup_info 0
		.amdhsa_system_vgpr_workitem_id 0
		.amdhsa_next_free_vgpr 1
		.amdhsa_next_free_sgpr 1
		.amdhsa_reserve_vcc 0
		.amdhsa_float_round_mode_32 0
		.amdhsa_float_round_mode_16_64 0
		.amdhsa_float_denorm_mode_32 3
		.amdhsa_float_denorm_mode_16_64 3
		.amdhsa_dx10_clamp 1
		.amdhsa_ieee_mode 1
		.amdhsa_fp16_overflow 0
		.amdhsa_workgroup_processor_mode 1
		.amdhsa_memory_ordered 1
		.amdhsa_forward_progress 0
		.amdhsa_shared_vgpr_count 0
		.amdhsa_exception_fp_ieee_invalid_op 0
		.amdhsa_exception_fp_denorm_src 0
		.amdhsa_exception_fp_ieee_div_zero 0
		.amdhsa_exception_fp_ieee_overflow 0
		.amdhsa_exception_fp_ieee_underflow 0
		.amdhsa_exception_fp_ieee_inexact 0
		.amdhsa_exception_int_div_zero 0
	.end_amdhsa_kernel
	.section	.text._ZN7rocprim17ROCPRIM_400000_NS6detail17trampoline_kernelINS0_14default_configENS1_29binary_search_config_selectorIjbEEZNS1_14transform_implILb0ES3_S5_N6thrust23THRUST_200600_302600_NS17counting_iteratorIjNS8_11use_defaultESA_SA_EEPbZNS1_13binary_searchIS3_S5_PjSB_SC_NS1_16binary_search_opENS8_6detail16wrapped_functionINS0_4lessIvEEbEEEE10hipError_tPvRmT1_T2_T3_mmT4_T5_P12ihipStream_tbEUlRKjE_EESL_SP_SQ_mSR_SU_bEUlT_E_NS1_11comp_targetILNS1_3genE2ELNS1_11target_archE906ELNS1_3gpuE6ELNS1_3repE0EEENS1_30default_config_static_selectorELNS0_4arch9wavefront6targetE0EEEvSO_,"axG",@progbits,_ZN7rocprim17ROCPRIM_400000_NS6detail17trampoline_kernelINS0_14default_configENS1_29binary_search_config_selectorIjbEEZNS1_14transform_implILb0ES3_S5_N6thrust23THRUST_200600_302600_NS17counting_iteratorIjNS8_11use_defaultESA_SA_EEPbZNS1_13binary_searchIS3_S5_PjSB_SC_NS1_16binary_search_opENS8_6detail16wrapped_functionINS0_4lessIvEEbEEEE10hipError_tPvRmT1_T2_T3_mmT4_T5_P12ihipStream_tbEUlRKjE_EESL_SP_SQ_mSR_SU_bEUlT_E_NS1_11comp_targetILNS1_3genE2ELNS1_11target_archE906ELNS1_3gpuE6ELNS1_3repE0EEENS1_30default_config_static_selectorELNS0_4arch9wavefront6targetE0EEEvSO_,comdat
.Lfunc_end204:
	.size	_ZN7rocprim17ROCPRIM_400000_NS6detail17trampoline_kernelINS0_14default_configENS1_29binary_search_config_selectorIjbEEZNS1_14transform_implILb0ES3_S5_N6thrust23THRUST_200600_302600_NS17counting_iteratorIjNS8_11use_defaultESA_SA_EEPbZNS1_13binary_searchIS3_S5_PjSB_SC_NS1_16binary_search_opENS8_6detail16wrapped_functionINS0_4lessIvEEbEEEE10hipError_tPvRmT1_T2_T3_mmT4_T5_P12ihipStream_tbEUlRKjE_EESL_SP_SQ_mSR_SU_bEUlT_E_NS1_11comp_targetILNS1_3genE2ELNS1_11target_archE906ELNS1_3gpuE6ELNS1_3repE0EEENS1_30default_config_static_selectorELNS0_4arch9wavefront6targetE0EEEvSO_, .Lfunc_end204-_ZN7rocprim17ROCPRIM_400000_NS6detail17trampoline_kernelINS0_14default_configENS1_29binary_search_config_selectorIjbEEZNS1_14transform_implILb0ES3_S5_N6thrust23THRUST_200600_302600_NS17counting_iteratorIjNS8_11use_defaultESA_SA_EEPbZNS1_13binary_searchIS3_S5_PjSB_SC_NS1_16binary_search_opENS8_6detail16wrapped_functionINS0_4lessIvEEbEEEE10hipError_tPvRmT1_T2_T3_mmT4_T5_P12ihipStream_tbEUlRKjE_EESL_SP_SQ_mSR_SU_bEUlT_E_NS1_11comp_targetILNS1_3genE2ELNS1_11target_archE906ELNS1_3gpuE6ELNS1_3repE0EEENS1_30default_config_static_selectorELNS0_4arch9wavefront6targetE0EEEvSO_
                                        ; -- End function
	.section	.AMDGPU.csdata,"",@progbits
; Kernel info:
; codeLenInByte = 0
; NumSgprs: 0
; NumVgprs: 0
; ScratchSize: 0
; MemoryBound: 0
; FloatMode: 240
; IeeeMode: 1
; LDSByteSize: 0 bytes/workgroup (compile time only)
; SGPRBlocks: 0
; VGPRBlocks: 0
; NumSGPRsForWavesPerEU: 1
; NumVGPRsForWavesPerEU: 1
; Occupancy: 16
; WaveLimiterHint : 0
; COMPUTE_PGM_RSRC2:SCRATCH_EN: 0
; COMPUTE_PGM_RSRC2:USER_SGPR: 15
; COMPUTE_PGM_RSRC2:TRAP_HANDLER: 0
; COMPUTE_PGM_RSRC2:TGID_X_EN: 1
; COMPUTE_PGM_RSRC2:TGID_Y_EN: 0
; COMPUTE_PGM_RSRC2:TGID_Z_EN: 0
; COMPUTE_PGM_RSRC2:TIDIG_COMP_CNT: 0
	.section	.text._ZN7rocprim17ROCPRIM_400000_NS6detail17trampoline_kernelINS0_14default_configENS1_29binary_search_config_selectorIjbEEZNS1_14transform_implILb0ES3_S5_N6thrust23THRUST_200600_302600_NS17counting_iteratorIjNS8_11use_defaultESA_SA_EEPbZNS1_13binary_searchIS3_S5_PjSB_SC_NS1_16binary_search_opENS8_6detail16wrapped_functionINS0_4lessIvEEbEEEE10hipError_tPvRmT1_T2_T3_mmT4_T5_P12ihipStream_tbEUlRKjE_EESL_SP_SQ_mSR_SU_bEUlT_E_NS1_11comp_targetILNS1_3genE10ELNS1_11target_archE1201ELNS1_3gpuE5ELNS1_3repE0EEENS1_30default_config_static_selectorELNS0_4arch9wavefront6targetE0EEEvSO_,"axG",@progbits,_ZN7rocprim17ROCPRIM_400000_NS6detail17trampoline_kernelINS0_14default_configENS1_29binary_search_config_selectorIjbEEZNS1_14transform_implILb0ES3_S5_N6thrust23THRUST_200600_302600_NS17counting_iteratorIjNS8_11use_defaultESA_SA_EEPbZNS1_13binary_searchIS3_S5_PjSB_SC_NS1_16binary_search_opENS8_6detail16wrapped_functionINS0_4lessIvEEbEEEE10hipError_tPvRmT1_T2_T3_mmT4_T5_P12ihipStream_tbEUlRKjE_EESL_SP_SQ_mSR_SU_bEUlT_E_NS1_11comp_targetILNS1_3genE10ELNS1_11target_archE1201ELNS1_3gpuE5ELNS1_3repE0EEENS1_30default_config_static_selectorELNS0_4arch9wavefront6targetE0EEEvSO_,comdat
	.protected	_ZN7rocprim17ROCPRIM_400000_NS6detail17trampoline_kernelINS0_14default_configENS1_29binary_search_config_selectorIjbEEZNS1_14transform_implILb0ES3_S5_N6thrust23THRUST_200600_302600_NS17counting_iteratorIjNS8_11use_defaultESA_SA_EEPbZNS1_13binary_searchIS3_S5_PjSB_SC_NS1_16binary_search_opENS8_6detail16wrapped_functionINS0_4lessIvEEbEEEE10hipError_tPvRmT1_T2_T3_mmT4_T5_P12ihipStream_tbEUlRKjE_EESL_SP_SQ_mSR_SU_bEUlT_E_NS1_11comp_targetILNS1_3genE10ELNS1_11target_archE1201ELNS1_3gpuE5ELNS1_3repE0EEENS1_30default_config_static_selectorELNS0_4arch9wavefront6targetE0EEEvSO_ ; -- Begin function _ZN7rocprim17ROCPRIM_400000_NS6detail17trampoline_kernelINS0_14default_configENS1_29binary_search_config_selectorIjbEEZNS1_14transform_implILb0ES3_S5_N6thrust23THRUST_200600_302600_NS17counting_iteratorIjNS8_11use_defaultESA_SA_EEPbZNS1_13binary_searchIS3_S5_PjSB_SC_NS1_16binary_search_opENS8_6detail16wrapped_functionINS0_4lessIvEEbEEEE10hipError_tPvRmT1_T2_T3_mmT4_T5_P12ihipStream_tbEUlRKjE_EESL_SP_SQ_mSR_SU_bEUlT_E_NS1_11comp_targetILNS1_3genE10ELNS1_11target_archE1201ELNS1_3gpuE5ELNS1_3repE0EEENS1_30default_config_static_selectorELNS0_4arch9wavefront6targetE0EEEvSO_
	.globl	_ZN7rocprim17ROCPRIM_400000_NS6detail17trampoline_kernelINS0_14default_configENS1_29binary_search_config_selectorIjbEEZNS1_14transform_implILb0ES3_S5_N6thrust23THRUST_200600_302600_NS17counting_iteratorIjNS8_11use_defaultESA_SA_EEPbZNS1_13binary_searchIS3_S5_PjSB_SC_NS1_16binary_search_opENS8_6detail16wrapped_functionINS0_4lessIvEEbEEEE10hipError_tPvRmT1_T2_T3_mmT4_T5_P12ihipStream_tbEUlRKjE_EESL_SP_SQ_mSR_SU_bEUlT_E_NS1_11comp_targetILNS1_3genE10ELNS1_11target_archE1201ELNS1_3gpuE5ELNS1_3repE0EEENS1_30default_config_static_selectorELNS0_4arch9wavefront6targetE0EEEvSO_
	.p2align	8
	.type	_ZN7rocprim17ROCPRIM_400000_NS6detail17trampoline_kernelINS0_14default_configENS1_29binary_search_config_selectorIjbEEZNS1_14transform_implILb0ES3_S5_N6thrust23THRUST_200600_302600_NS17counting_iteratorIjNS8_11use_defaultESA_SA_EEPbZNS1_13binary_searchIS3_S5_PjSB_SC_NS1_16binary_search_opENS8_6detail16wrapped_functionINS0_4lessIvEEbEEEE10hipError_tPvRmT1_T2_T3_mmT4_T5_P12ihipStream_tbEUlRKjE_EESL_SP_SQ_mSR_SU_bEUlT_E_NS1_11comp_targetILNS1_3genE10ELNS1_11target_archE1201ELNS1_3gpuE5ELNS1_3repE0EEENS1_30default_config_static_selectorELNS0_4arch9wavefront6targetE0EEEvSO_,@function
_ZN7rocprim17ROCPRIM_400000_NS6detail17trampoline_kernelINS0_14default_configENS1_29binary_search_config_selectorIjbEEZNS1_14transform_implILb0ES3_S5_N6thrust23THRUST_200600_302600_NS17counting_iteratorIjNS8_11use_defaultESA_SA_EEPbZNS1_13binary_searchIS3_S5_PjSB_SC_NS1_16binary_search_opENS8_6detail16wrapped_functionINS0_4lessIvEEbEEEE10hipError_tPvRmT1_T2_T3_mmT4_T5_P12ihipStream_tbEUlRKjE_EESL_SP_SQ_mSR_SU_bEUlT_E_NS1_11comp_targetILNS1_3genE10ELNS1_11target_archE1201ELNS1_3gpuE5ELNS1_3repE0EEENS1_30default_config_static_selectorELNS0_4arch9wavefront6targetE0EEEvSO_: ; @_ZN7rocprim17ROCPRIM_400000_NS6detail17trampoline_kernelINS0_14default_configENS1_29binary_search_config_selectorIjbEEZNS1_14transform_implILb0ES3_S5_N6thrust23THRUST_200600_302600_NS17counting_iteratorIjNS8_11use_defaultESA_SA_EEPbZNS1_13binary_searchIS3_S5_PjSB_SC_NS1_16binary_search_opENS8_6detail16wrapped_functionINS0_4lessIvEEbEEEE10hipError_tPvRmT1_T2_T3_mmT4_T5_P12ihipStream_tbEUlRKjE_EESL_SP_SQ_mSR_SU_bEUlT_E_NS1_11comp_targetILNS1_3genE10ELNS1_11target_archE1201ELNS1_3gpuE5ELNS1_3repE0EEENS1_30default_config_static_selectorELNS0_4arch9wavefront6targetE0EEEvSO_
; %bb.0:
	.section	.rodata,"a",@progbits
	.p2align	6, 0x0
	.amdhsa_kernel _ZN7rocprim17ROCPRIM_400000_NS6detail17trampoline_kernelINS0_14default_configENS1_29binary_search_config_selectorIjbEEZNS1_14transform_implILb0ES3_S5_N6thrust23THRUST_200600_302600_NS17counting_iteratorIjNS8_11use_defaultESA_SA_EEPbZNS1_13binary_searchIS3_S5_PjSB_SC_NS1_16binary_search_opENS8_6detail16wrapped_functionINS0_4lessIvEEbEEEE10hipError_tPvRmT1_T2_T3_mmT4_T5_P12ihipStream_tbEUlRKjE_EESL_SP_SQ_mSR_SU_bEUlT_E_NS1_11comp_targetILNS1_3genE10ELNS1_11target_archE1201ELNS1_3gpuE5ELNS1_3repE0EEENS1_30default_config_static_selectorELNS0_4arch9wavefront6targetE0EEEvSO_
		.amdhsa_group_segment_fixed_size 0
		.amdhsa_private_segment_fixed_size 0
		.amdhsa_kernarg_size 56
		.amdhsa_user_sgpr_count 15
		.amdhsa_user_sgpr_dispatch_ptr 0
		.amdhsa_user_sgpr_queue_ptr 0
		.amdhsa_user_sgpr_kernarg_segment_ptr 1
		.amdhsa_user_sgpr_dispatch_id 0
		.amdhsa_user_sgpr_private_segment_size 0
		.amdhsa_wavefront_size32 1
		.amdhsa_uses_dynamic_stack 0
		.amdhsa_enable_private_segment 0
		.amdhsa_system_sgpr_workgroup_id_x 1
		.amdhsa_system_sgpr_workgroup_id_y 0
		.amdhsa_system_sgpr_workgroup_id_z 0
		.amdhsa_system_sgpr_workgroup_info 0
		.amdhsa_system_vgpr_workitem_id 0
		.amdhsa_next_free_vgpr 1
		.amdhsa_next_free_sgpr 1
		.amdhsa_reserve_vcc 0
		.amdhsa_float_round_mode_32 0
		.amdhsa_float_round_mode_16_64 0
		.amdhsa_float_denorm_mode_32 3
		.amdhsa_float_denorm_mode_16_64 3
		.amdhsa_dx10_clamp 1
		.amdhsa_ieee_mode 1
		.amdhsa_fp16_overflow 0
		.amdhsa_workgroup_processor_mode 1
		.amdhsa_memory_ordered 1
		.amdhsa_forward_progress 0
		.amdhsa_shared_vgpr_count 0
		.amdhsa_exception_fp_ieee_invalid_op 0
		.amdhsa_exception_fp_denorm_src 0
		.amdhsa_exception_fp_ieee_div_zero 0
		.amdhsa_exception_fp_ieee_overflow 0
		.amdhsa_exception_fp_ieee_underflow 0
		.amdhsa_exception_fp_ieee_inexact 0
		.amdhsa_exception_int_div_zero 0
	.end_amdhsa_kernel
	.section	.text._ZN7rocprim17ROCPRIM_400000_NS6detail17trampoline_kernelINS0_14default_configENS1_29binary_search_config_selectorIjbEEZNS1_14transform_implILb0ES3_S5_N6thrust23THRUST_200600_302600_NS17counting_iteratorIjNS8_11use_defaultESA_SA_EEPbZNS1_13binary_searchIS3_S5_PjSB_SC_NS1_16binary_search_opENS8_6detail16wrapped_functionINS0_4lessIvEEbEEEE10hipError_tPvRmT1_T2_T3_mmT4_T5_P12ihipStream_tbEUlRKjE_EESL_SP_SQ_mSR_SU_bEUlT_E_NS1_11comp_targetILNS1_3genE10ELNS1_11target_archE1201ELNS1_3gpuE5ELNS1_3repE0EEENS1_30default_config_static_selectorELNS0_4arch9wavefront6targetE0EEEvSO_,"axG",@progbits,_ZN7rocprim17ROCPRIM_400000_NS6detail17trampoline_kernelINS0_14default_configENS1_29binary_search_config_selectorIjbEEZNS1_14transform_implILb0ES3_S5_N6thrust23THRUST_200600_302600_NS17counting_iteratorIjNS8_11use_defaultESA_SA_EEPbZNS1_13binary_searchIS3_S5_PjSB_SC_NS1_16binary_search_opENS8_6detail16wrapped_functionINS0_4lessIvEEbEEEE10hipError_tPvRmT1_T2_T3_mmT4_T5_P12ihipStream_tbEUlRKjE_EESL_SP_SQ_mSR_SU_bEUlT_E_NS1_11comp_targetILNS1_3genE10ELNS1_11target_archE1201ELNS1_3gpuE5ELNS1_3repE0EEENS1_30default_config_static_selectorELNS0_4arch9wavefront6targetE0EEEvSO_,comdat
.Lfunc_end205:
	.size	_ZN7rocprim17ROCPRIM_400000_NS6detail17trampoline_kernelINS0_14default_configENS1_29binary_search_config_selectorIjbEEZNS1_14transform_implILb0ES3_S5_N6thrust23THRUST_200600_302600_NS17counting_iteratorIjNS8_11use_defaultESA_SA_EEPbZNS1_13binary_searchIS3_S5_PjSB_SC_NS1_16binary_search_opENS8_6detail16wrapped_functionINS0_4lessIvEEbEEEE10hipError_tPvRmT1_T2_T3_mmT4_T5_P12ihipStream_tbEUlRKjE_EESL_SP_SQ_mSR_SU_bEUlT_E_NS1_11comp_targetILNS1_3genE10ELNS1_11target_archE1201ELNS1_3gpuE5ELNS1_3repE0EEENS1_30default_config_static_selectorELNS0_4arch9wavefront6targetE0EEEvSO_, .Lfunc_end205-_ZN7rocprim17ROCPRIM_400000_NS6detail17trampoline_kernelINS0_14default_configENS1_29binary_search_config_selectorIjbEEZNS1_14transform_implILb0ES3_S5_N6thrust23THRUST_200600_302600_NS17counting_iteratorIjNS8_11use_defaultESA_SA_EEPbZNS1_13binary_searchIS3_S5_PjSB_SC_NS1_16binary_search_opENS8_6detail16wrapped_functionINS0_4lessIvEEbEEEE10hipError_tPvRmT1_T2_T3_mmT4_T5_P12ihipStream_tbEUlRKjE_EESL_SP_SQ_mSR_SU_bEUlT_E_NS1_11comp_targetILNS1_3genE10ELNS1_11target_archE1201ELNS1_3gpuE5ELNS1_3repE0EEENS1_30default_config_static_selectorELNS0_4arch9wavefront6targetE0EEEvSO_
                                        ; -- End function
	.section	.AMDGPU.csdata,"",@progbits
; Kernel info:
; codeLenInByte = 0
; NumSgprs: 0
; NumVgprs: 0
; ScratchSize: 0
; MemoryBound: 0
; FloatMode: 240
; IeeeMode: 1
; LDSByteSize: 0 bytes/workgroup (compile time only)
; SGPRBlocks: 0
; VGPRBlocks: 0
; NumSGPRsForWavesPerEU: 1
; NumVGPRsForWavesPerEU: 1
; Occupancy: 16
; WaveLimiterHint : 0
; COMPUTE_PGM_RSRC2:SCRATCH_EN: 0
; COMPUTE_PGM_RSRC2:USER_SGPR: 15
; COMPUTE_PGM_RSRC2:TRAP_HANDLER: 0
; COMPUTE_PGM_RSRC2:TGID_X_EN: 1
; COMPUTE_PGM_RSRC2:TGID_Y_EN: 0
; COMPUTE_PGM_RSRC2:TGID_Z_EN: 0
; COMPUTE_PGM_RSRC2:TIDIG_COMP_CNT: 0
	.section	.text._ZN7rocprim17ROCPRIM_400000_NS6detail17trampoline_kernelINS0_14default_configENS1_29binary_search_config_selectorIjbEEZNS1_14transform_implILb0ES3_S5_N6thrust23THRUST_200600_302600_NS17counting_iteratorIjNS8_11use_defaultESA_SA_EEPbZNS1_13binary_searchIS3_S5_PjSB_SC_NS1_16binary_search_opENS8_6detail16wrapped_functionINS0_4lessIvEEbEEEE10hipError_tPvRmT1_T2_T3_mmT4_T5_P12ihipStream_tbEUlRKjE_EESL_SP_SQ_mSR_SU_bEUlT_E_NS1_11comp_targetILNS1_3genE10ELNS1_11target_archE1200ELNS1_3gpuE4ELNS1_3repE0EEENS1_30default_config_static_selectorELNS0_4arch9wavefront6targetE0EEEvSO_,"axG",@progbits,_ZN7rocprim17ROCPRIM_400000_NS6detail17trampoline_kernelINS0_14default_configENS1_29binary_search_config_selectorIjbEEZNS1_14transform_implILb0ES3_S5_N6thrust23THRUST_200600_302600_NS17counting_iteratorIjNS8_11use_defaultESA_SA_EEPbZNS1_13binary_searchIS3_S5_PjSB_SC_NS1_16binary_search_opENS8_6detail16wrapped_functionINS0_4lessIvEEbEEEE10hipError_tPvRmT1_T2_T3_mmT4_T5_P12ihipStream_tbEUlRKjE_EESL_SP_SQ_mSR_SU_bEUlT_E_NS1_11comp_targetILNS1_3genE10ELNS1_11target_archE1200ELNS1_3gpuE4ELNS1_3repE0EEENS1_30default_config_static_selectorELNS0_4arch9wavefront6targetE0EEEvSO_,comdat
	.protected	_ZN7rocprim17ROCPRIM_400000_NS6detail17trampoline_kernelINS0_14default_configENS1_29binary_search_config_selectorIjbEEZNS1_14transform_implILb0ES3_S5_N6thrust23THRUST_200600_302600_NS17counting_iteratorIjNS8_11use_defaultESA_SA_EEPbZNS1_13binary_searchIS3_S5_PjSB_SC_NS1_16binary_search_opENS8_6detail16wrapped_functionINS0_4lessIvEEbEEEE10hipError_tPvRmT1_T2_T3_mmT4_T5_P12ihipStream_tbEUlRKjE_EESL_SP_SQ_mSR_SU_bEUlT_E_NS1_11comp_targetILNS1_3genE10ELNS1_11target_archE1200ELNS1_3gpuE4ELNS1_3repE0EEENS1_30default_config_static_selectorELNS0_4arch9wavefront6targetE0EEEvSO_ ; -- Begin function _ZN7rocprim17ROCPRIM_400000_NS6detail17trampoline_kernelINS0_14default_configENS1_29binary_search_config_selectorIjbEEZNS1_14transform_implILb0ES3_S5_N6thrust23THRUST_200600_302600_NS17counting_iteratorIjNS8_11use_defaultESA_SA_EEPbZNS1_13binary_searchIS3_S5_PjSB_SC_NS1_16binary_search_opENS8_6detail16wrapped_functionINS0_4lessIvEEbEEEE10hipError_tPvRmT1_T2_T3_mmT4_T5_P12ihipStream_tbEUlRKjE_EESL_SP_SQ_mSR_SU_bEUlT_E_NS1_11comp_targetILNS1_3genE10ELNS1_11target_archE1200ELNS1_3gpuE4ELNS1_3repE0EEENS1_30default_config_static_selectorELNS0_4arch9wavefront6targetE0EEEvSO_
	.globl	_ZN7rocprim17ROCPRIM_400000_NS6detail17trampoline_kernelINS0_14default_configENS1_29binary_search_config_selectorIjbEEZNS1_14transform_implILb0ES3_S5_N6thrust23THRUST_200600_302600_NS17counting_iteratorIjNS8_11use_defaultESA_SA_EEPbZNS1_13binary_searchIS3_S5_PjSB_SC_NS1_16binary_search_opENS8_6detail16wrapped_functionINS0_4lessIvEEbEEEE10hipError_tPvRmT1_T2_T3_mmT4_T5_P12ihipStream_tbEUlRKjE_EESL_SP_SQ_mSR_SU_bEUlT_E_NS1_11comp_targetILNS1_3genE10ELNS1_11target_archE1200ELNS1_3gpuE4ELNS1_3repE0EEENS1_30default_config_static_selectorELNS0_4arch9wavefront6targetE0EEEvSO_
	.p2align	8
	.type	_ZN7rocprim17ROCPRIM_400000_NS6detail17trampoline_kernelINS0_14default_configENS1_29binary_search_config_selectorIjbEEZNS1_14transform_implILb0ES3_S5_N6thrust23THRUST_200600_302600_NS17counting_iteratorIjNS8_11use_defaultESA_SA_EEPbZNS1_13binary_searchIS3_S5_PjSB_SC_NS1_16binary_search_opENS8_6detail16wrapped_functionINS0_4lessIvEEbEEEE10hipError_tPvRmT1_T2_T3_mmT4_T5_P12ihipStream_tbEUlRKjE_EESL_SP_SQ_mSR_SU_bEUlT_E_NS1_11comp_targetILNS1_3genE10ELNS1_11target_archE1200ELNS1_3gpuE4ELNS1_3repE0EEENS1_30default_config_static_selectorELNS0_4arch9wavefront6targetE0EEEvSO_,@function
_ZN7rocprim17ROCPRIM_400000_NS6detail17trampoline_kernelINS0_14default_configENS1_29binary_search_config_selectorIjbEEZNS1_14transform_implILb0ES3_S5_N6thrust23THRUST_200600_302600_NS17counting_iteratorIjNS8_11use_defaultESA_SA_EEPbZNS1_13binary_searchIS3_S5_PjSB_SC_NS1_16binary_search_opENS8_6detail16wrapped_functionINS0_4lessIvEEbEEEE10hipError_tPvRmT1_T2_T3_mmT4_T5_P12ihipStream_tbEUlRKjE_EESL_SP_SQ_mSR_SU_bEUlT_E_NS1_11comp_targetILNS1_3genE10ELNS1_11target_archE1200ELNS1_3gpuE4ELNS1_3repE0EEENS1_30default_config_static_selectorELNS0_4arch9wavefront6targetE0EEEvSO_: ; @_ZN7rocprim17ROCPRIM_400000_NS6detail17trampoline_kernelINS0_14default_configENS1_29binary_search_config_selectorIjbEEZNS1_14transform_implILb0ES3_S5_N6thrust23THRUST_200600_302600_NS17counting_iteratorIjNS8_11use_defaultESA_SA_EEPbZNS1_13binary_searchIS3_S5_PjSB_SC_NS1_16binary_search_opENS8_6detail16wrapped_functionINS0_4lessIvEEbEEEE10hipError_tPvRmT1_T2_T3_mmT4_T5_P12ihipStream_tbEUlRKjE_EESL_SP_SQ_mSR_SU_bEUlT_E_NS1_11comp_targetILNS1_3genE10ELNS1_11target_archE1200ELNS1_3gpuE4ELNS1_3repE0EEENS1_30default_config_static_selectorELNS0_4arch9wavefront6targetE0EEEvSO_
; %bb.0:
	.section	.rodata,"a",@progbits
	.p2align	6, 0x0
	.amdhsa_kernel _ZN7rocprim17ROCPRIM_400000_NS6detail17trampoline_kernelINS0_14default_configENS1_29binary_search_config_selectorIjbEEZNS1_14transform_implILb0ES3_S5_N6thrust23THRUST_200600_302600_NS17counting_iteratorIjNS8_11use_defaultESA_SA_EEPbZNS1_13binary_searchIS3_S5_PjSB_SC_NS1_16binary_search_opENS8_6detail16wrapped_functionINS0_4lessIvEEbEEEE10hipError_tPvRmT1_T2_T3_mmT4_T5_P12ihipStream_tbEUlRKjE_EESL_SP_SQ_mSR_SU_bEUlT_E_NS1_11comp_targetILNS1_3genE10ELNS1_11target_archE1200ELNS1_3gpuE4ELNS1_3repE0EEENS1_30default_config_static_selectorELNS0_4arch9wavefront6targetE0EEEvSO_
		.amdhsa_group_segment_fixed_size 0
		.amdhsa_private_segment_fixed_size 0
		.amdhsa_kernarg_size 56
		.amdhsa_user_sgpr_count 15
		.amdhsa_user_sgpr_dispatch_ptr 0
		.amdhsa_user_sgpr_queue_ptr 0
		.amdhsa_user_sgpr_kernarg_segment_ptr 1
		.amdhsa_user_sgpr_dispatch_id 0
		.amdhsa_user_sgpr_private_segment_size 0
		.amdhsa_wavefront_size32 1
		.amdhsa_uses_dynamic_stack 0
		.amdhsa_enable_private_segment 0
		.amdhsa_system_sgpr_workgroup_id_x 1
		.amdhsa_system_sgpr_workgroup_id_y 0
		.amdhsa_system_sgpr_workgroup_id_z 0
		.amdhsa_system_sgpr_workgroup_info 0
		.amdhsa_system_vgpr_workitem_id 0
		.amdhsa_next_free_vgpr 1
		.amdhsa_next_free_sgpr 1
		.amdhsa_reserve_vcc 0
		.amdhsa_float_round_mode_32 0
		.amdhsa_float_round_mode_16_64 0
		.amdhsa_float_denorm_mode_32 3
		.amdhsa_float_denorm_mode_16_64 3
		.amdhsa_dx10_clamp 1
		.amdhsa_ieee_mode 1
		.amdhsa_fp16_overflow 0
		.amdhsa_workgroup_processor_mode 1
		.amdhsa_memory_ordered 1
		.amdhsa_forward_progress 0
		.amdhsa_shared_vgpr_count 0
		.amdhsa_exception_fp_ieee_invalid_op 0
		.amdhsa_exception_fp_denorm_src 0
		.amdhsa_exception_fp_ieee_div_zero 0
		.amdhsa_exception_fp_ieee_overflow 0
		.amdhsa_exception_fp_ieee_underflow 0
		.amdhsa_exception_fp_ieee_inexact 0
		.amdhsa_exception_int_div_zero 0
	.end_amdhsa_kernel
	.section	.text._ZN7rocprim17ROCPRIM_400000_NS6detail17trampoline_kernelINS0_14default_configENS1_29binary_search_config_selectorIjbEEZNS1_14transform_implILb0ES3_S5_N6thrust23THRUST_200600_302600_NS17counting_iteratorIjNS8_11use_defaultESA_SA_EEPbZNS1_13binary_searchIS3_S5_PjSB_SC_NS1_16binary_search_opENS8_6detail16wrapped_functionINS0_4lessIvEEbEEEE10hipError_tPvRmT1_T2_T3_mmT4_T5_P12ihipStream_tbEUlRKjE_EESL_SP_SQ_mSR_SU_bEUlT_E_NS1_11comp_targetILNS1_3genE10ELNS1_11target_archE1200ELNS1_3gpuE4ELNS1_3repE0EEENS1_30default_config_static_selectorELNS0_4arch9wavefront6targetE0EEEvSO_,"axG",@progbits,_ZN7rocprim17ROCPRIM_400000_NS6detail17trampoline_kernelINS0_14default_configENS1_29binary_search_config_selectorIjbEEZNS1_14transform_implILb0ES3_S5_N6thrust23THRUST_200600_302600_NS17counting_iteratorIjNS8_11use_defaultESA_SA_EEPbZNS1_13binary_searchIS3_S5_PjSB_SC_NS1_16binary_search_opENS8_6detail16wrapped_functionINS0_4lessIvEEbEEEE10hipError_tPvRmT1_T2_T3_mmT4_T5_P12ihipStream_tbEUlRKjE_EESL_SP_SQ_mSR_SU_bEUlT_E_NS1_11comp_targetILNS1_3genE10ELNS1_11target_archE1200ELNS1_3gpuE4ELNS1_3repE0EEENS1_30default_config_static_selectorELNS0_4arch9wavefront6targetE0EEEvSO_,comdat
.Lfunc_end206:
	.size	_ZN7rocprim17ROCPRIM_400000_NS6detail17trampoline_kernelINS0_14default_configENS1_29binary_search_config_selectorIjbEEZNS1_14transform_implILb0ES3_S5_N6thrust23THRUST_200600_302600_NS17counting_iteratorIjNS8_11use_defaultESA_SA_EEPbZNS1_13binary_searchIS3_S5_PjSB_SC_NS1_16binary_search_opENS8_6detail16wrapped_functionINS0_4lessIvEEbEEEE10hipError_tPvRmT1_T2_T3_mmT4_T5_P12ihipStream_tbEUlRKjE_EESL_SP_SQ_mSR_SU_bEUlT_E_NS1_11comp_targetILNS1_3genE10ELNS1_11target_archE1200ELNS1_3gpuE4ELNS1_3repE0EEENS1_30default_config_static_selectorELNS0_4arch9wavefront6targetE0EEEvSO_, .Lfunc_end206-_ZN7rocprim17ROCPRIM_400000_NS6detail17trampoline_kernelINS0_14default_configENS1_29binary_search_config_selectorIjbEEZNS1_14transform_implILb0ES3_S5_N6thrust23THRUST_200600_302600_NS17counting_iteratorIjNS8_11use_defaultESA_SA_EEPbZNS1_13binary_searchIS3_S5_PjSB_SC_NS1_16binary_search_opENS8_6detail16wrapped_functionINS0_4lessIvEEbEEEE10hipError_tPvRmT1_T2_T3_mmT4_T5_P12ihipStream_tbEUlRKjE_EESL_SP_SQ_mSR_SU_bEUlT_E_NS1_11comp_targetILNS1_3genE10ELNS1_11target_archE1200ELNS1_3gpuE4ELNS1_3repE0EEENS1_30default_config_static_selectorELNS0_4arch9wavefront6targetE0EEEvSO_
                                        ; -- End function
	.section	.AMDGPU.csdata,"",@progbits
; Kernel info:
; codeLenInByte = 0
; NumSgprs: 0
; NumVgprs: 0
; ScratchSize: 0
; MemoryBound: 0
; FloatMode: 240
; IeeeMode: 1
; LDSByteSize: 0 bytes/workgroup (compile time only)
; SGPRBlocks: 0
; VGPRBlocks: 0
; NumSGPRsForWavesPerEU: 1
; NumVGPRsForWavesPerEU: 1
; Occupancy: 16
; WaveLimiterHint : 0
; COMPUTE_PGM_RSRC2:SCRATCH_EN: 0
; COMPUTE_PGM_RSRC2:USER_SGPR: 15
; COMPUTE_PGM_RSRC2:TRAP_HANDLER: 0
; COMPUTE_PGM_RSRC2:TGID_X_EN: 1
; COMPUTE_PGM_RSRC2:TGID_Y_EN: 0
; COMPUTE_PGM_RSRC2:TGID_Z_EN: 0
; COMPUTE_PGM_RSRC2:TIDIG_COMP_CNT: 0
	.section	.text._ZN7rocprim17ROCPRIM_400000_NS6detail17trampoline_kernelINS0_14default_configENS1_29binary_search_config_selectorIjbEEZNS1_14transform_implILb0ES3_S5_N6thrust23THRUST_200600_302600_NS17counting_iteratorIjNS8_11use_defaultESA_SA_EEPbZNS1_13binary_searchIS3_S5_PjSB_SC_NS1_16binary_search_opENS8_6detail16wrapped_functionINS0_4lessIvEEbEEEE10hipError_tPvRmT1_T2_T3_mmT4_T5_P12ihipStream_tbEUlRKjE_EESL_SP_SQ_mSR_SU_bEUlT_E_NS1_11comp_targetILNS1_3genE9ELNS1_11target_archE1100ELNS1_3gpuE3ELNS1_3repE0EEENS1_30default_config_static_selectorELNS0_4arch9wavefront6targetE0EEEvSO_,"axG",@progbits,_ZN7rocprim17ROCPRIM_400000_NS6detail17trampoline_kernelINS0_14default_configENS1_29binary_search_config_selectorIjbEEZNS1_14transform_implILb0ES3_S5_N6thrust23THRUST_200600_302600_NS17counting_iteratorIjNS8_11use_defaultESA_SA_EEPbZNS1_13binary_searchIS3_S5_PjSB_SC_NS1_16binary_search_opENS8_6detail16wrapped_functionINS0_4lessIvEEbEEEE10hipError_tPvRmT1_T2_T3_mmT4_T5_P12ihipStream_tbEUlRKjE_EESL_SP_SQ_mSR_SU_bEUlT_E_NS1_11comp_targetILNS1_3genE9ELNS1_11target_archE1100ELNS1_3gpuE3ELNS1_3repE0EEENS1_30default_config_static_selectorELNS0_4arch9wavefront6targetE0EEEvSO_,comdat
	.protected	_ZN7rocprim17ROCPRIM_400000_NS6detail17trampoline_kernelINS0_14default_configENS1_29binary_search_config_selectorIjbEEZNS1_14transform_implILb0ES3_S5_N6thrust23THRUST_200600_302600_NS17counting_iteratorIjNS8_11use_defaultESA_SA_EEPbZNS1_13binary_searchIS3_S5_PjSB_SC_NS1_16binary_search_opENS8_6detail16wrapped_functionINS0_4lessIvEEbEEEE10hipError_tPvRmT1_T2_T3_mmT4_T5_P12ihipStream_tbEUlRKjE_EESL_SP_SQ_mSR_SU_bEUlT_E_NS1_11comp_targetILNS1_3genE9ELNS1_11target_archE1100ELNS1_3gpuE3ELNS1_3repE0EEENS1_30default_config_static_selectorELNS0_4arch9wavefront6targetE0EEEvSO_ ; -- Begin function _ZN7rocprim17ROCPRIM_400000_NS6detail17trampoline_kernelINS0_14default_configENS1_29binary_search_config_selectorIjbEEZNS1_14transform_implILb0ES3_S5_N6thrust23THRUST_200600_302600_NS17counting_iteratorIjNS8_11use_defaultESA_SA_EEPbZNS1_13binary_searchIS3_S5_PjSB_SC_NS1_16binary_search_opENS8_6detail16wrapped_functionINS0_4lessIvEEbEEEE10hipError_tPvRmT1_T2_T3_mmT4_T5_P12ihipStream_tbEUlRKjE_EESL_SP_SQ_mSR_SU_bEUlT_E_NS1_11comp_targetILNS1_3genE9ELNS1_11target_archE1100ELNS1_3gpuE3ELNS1_3repE0EEENS1_30default_config_static_selectorELNS0_4arch9wavefront6targetE0EEEvSO_
	.globl	_ZN7rocprim17ROCPRIM_400000_NS6detail17trampoline_kernelINS0_14default_configENS1_29binary_search_config_selectorIjbEEZNS1_14transform_implILb0ES3_S5_N6thrust23THRUST_200600_302600_NS17counting_iteratorIjNS8_11use_defaultESA_SA_EEPbZNS1_13binary_searchIS3_S5_PjSB_SC_NS1_16binary_search_opENS8_6detail16wrapped_functionINS0_4lessIvEEbEEEE10hipError_tPvRmT1_T2_T3_mmT4_T5_P12ihipStream_tbEUlRKjE_EESL_SP_SQ_mSR_SU_bEUlT_E_NS1_11comp_targetILNS1_3genE9ELNS1_11target_archE1100ELNS1_3gpuE3ELNS1_3repE0EEENS1_30default_config_static_selectorELNS0_4arch9wavefront6targetE0EEEvSO_
	.p2align	8
	.type	_ZN7rocprim17ROCPRIM_400000_NS6detail17trampoline_kernelINS0_14default_configENS1_29binary_search_config_selectorIjbEEZNS1_14transform_implILb0ES3_S5_N6thrust23THRUST_200600_302600_NS17counting_iteratorIjNS8_11use_defaultESA_SA_EEPbZNS1_13binary_searchIS3_S5_PjSB_SC_NS1_16binary_search_opENS8_6detail16wrapped_functionINS0_4lessIvEEbEEEE10hipError_tPvRmT1_T2_T3_mmT4_T5_P12ihipStream_tbEUlRKjE_EESL_SP_SQ_mSR_SU_bEUlT_E_NS1_11comp_targetILNS1_3genE9ELNS1_11target_archE1100ELNS1_3gpuE3ELNS1_3repE0EEENS1_30default_config_static_selectorELNS0_4arch9wavefront6targetE0EEEvSO_,@function
_ZN7rocprim17ROCPRIM_400000_NS6detail17trampoline_kernelINS0_14default_configENS1_29binary_search_config_selectorIjbEEZNS1_14transform_implILb0ES3_S5_N6thrust23THRUST_200600_302600_NS17counting_iteratorIjNS8_11use_defaultESA_SA_EEPbZNS1_13binary_searchIS3_S5_PjSB_SC_NS1_16binary_search_opENS8_6detail16wrapped_functionINS0_4lessIvEEbEEEE10hipError_tPvRmT1_T2_T3_mmT4_T5_P12ihipStream_tbEUlRKjE_EESL_SP_SQ_mSR_SU_bEUlT_E_NS1_11comp_targetILNS1_3genE9ELNS1_11target_archE1100ELNS1_3gpuE3ELNS1_3repE0EEENS1_30default_config_static_selectorELNS0_4arch9wavefront6targetE0EEEvSO_: ; @_ZN7rocprim17ROCPRIM_400000_NS6detail17trampoline_kernelINS0_14default_configENS1_29binary_search_config_selectorIjbEEZNS1_14transform_implILb0ES3_S5_N6thrust23THRUST_200600_302600_NS17counting_iteratorIjNS8_11use_defaultESA_SA_EEPbZNS1_13binary_searchIS3_S5_PjSB_SC_NS1_16binary_search_opENS8_6detail16wrapped_functionINS0_4lessIvEEbEEEE10hipError_tPvRmT1_T2_T3_mmT4_T5_P12ihipStream_tbEUlRKjE_EESL_SP_SQ_mSR_SU_bEUlT_E_NS1_11comp_targetILNS1_3genE9ELNS1_11target_archE1100ELNS1_3gpuE3ELNS1_3repE0EEENS1_30default_config_static_selectorELNS0_4arch9wavefront6targetE0EEEvSO_
; %bb.0:
	s_clause 0x4
	s_load_b32 s12, s[0:1], 0x0
	s_load_b64 s[2:3], s[0:1], 0x8
	s_load_b32 s11, s[0:1], 0x38
	s_load_b128 s[4:7], s[0:1], 0x18
	s_load_b64 s[8:9], s[0:1], 0x28
	s_lshl_b32 s10, s15, 8
	s_waitcnt lgkmcnt(0)
	s_add_i32 s12, s12, s2
	s_add_i32 s13, s11, -1
	s_mov_b32 s11, 0
	s_cmp_lg_u32 s15, s13
	s_mov_b32 s13, -1
	s_cbranch_scc0 .LBB207_8
; %bb.1:
	v_mov_b32_e32 v1, 0
	v_mov_b32_e32 v2, 0
	v_add3_u32 v5, s12, s10, v0
	s_cmp_eq_u64 s[8:9], 0
	s_cbranch_scc1 .LBB207_5
; %bb.2:
	v_mov_b32_e32 v1, 0
	v_dual_mov_b32 v2, 0 :: v_dual_mov_b32 v3, s8
	v_mov_b32_e32 v4, s9
	.p2align	6
.LBB207_3:                              ; =>This Inner Loop Header: Depth=1
	s_delay_alu instid0(VALU_DEP_2) | instskip(NEXT) | instid1(VALU_DEP_2)
	v_sub_co_u32 v6, vcc_lo, v3, v1
	v_sub_co_ci_u32_e32 v7, vcc_lo, v4, v2, vcc_lo
	s_delay_alu instid0(VALU_DEP_1) | instskip(SKIP_1) | instid1(VALU_DEP_2)
	v_lshrrev_b64 v[8:9], 1, v[6:7]
	v_lshrrev_b64 v[6:7], 6, v[6:7]
	v_add_co_u32 v8, vcc_lo, v8, v1
	s_delay_alu instid0(VALU_DEP_3) | instskip(NEXT) | instid1(VALU_DEP_2)
	v_add_co_ci_u32_e32 v9, vcc_lo, v9, v2, vcc_lo
	v_add_co_u32 v6, vcc_lo, v8, v6
	s_delay_alu instid0(VALU_DEP_2) | instskip(NEXT) | instid1(VALU_DEP_1)
	v_add_co_ci_u32_e32 v7, vcc_lo, v9, v7, vcc_lo
	v_lshlrev_b64 v[8:9], 2, v[6:7]
	s_delay_alu instid0(VALU_DEP_1) | instskip(NEXT) | instid1(VALU_DEP_2)
	v_add_co_u32 v8, vcc_lo, s6, v8
	v_add_co_ci_u32_e32 v9, vcc_lo, s7, v9, vcc_lo
	global_load_b32 v8, v[8:9], off
	v_add_co_u32 v9, vcc_lo, v6, 1
	v_add_co_ci_u32_e32 v10, vcc_lo, 0, v7, vcc_lo
	s_waitcnt vmcnt(0)
	v_cmp_lt_u32_e32 vcc_lo, v8, v5
	v_dual_cndmask_b32 v4, v7, v4 :: v_dual_cndmask_b32 v3, v6, v3
	s_delay_alu instid0(VALU_DEP_3) | instskip(NEXT) | instid1(VALU_DEP_1)
	v_dual_cndmask_b32 v2, v2, v10 :: v_dual_cndmask_b32 v1, v1, v9
	v_cmp_ge_u64_e32 vcc_lo, v[1:2], v[3:4]
	s_or_b32 s11, vcc_lo, s11
	s_delay_alu instid0(SALU_CYCLE_1)
	s_and_not1_b32 exec_lo, exec_lo, s11
	s_cbranch_execnz .LBB207_3
; %bb.4:
	s_or_b32 exec_lo, exec_lo, s11
.LBB207_5:
	s_mov_b32 s13, 0
	s_mov_b32 s14, 0
	s_mov_b32 s11, exec_lo
	v_cmpx_ne_u64_e64 s[8:9], v[1:2]
	s_cbranch_execz .LBB207_7
; %bb.6:
	v_lshlrev_b64 v[1:2], 2, v[1:2]
	s_delay_alu instid0(VALU_DEP_1) | instskip(NEXT) | instid1(VALU_DEP_2)
	v_add_co_u32 v1, vcc_lo, s6, v1
	v_add_co_ci_u32_e32 v2, vcc_lo, s7, v2, vcc_lo
	global_load_b32 v1, v[1:2], off
	s_waitcnt vmcnt(0)
	v_cmp_le_u32_e32 vcc_lo, v1, v5
	s_and_b32 s14, vcc_lo, exec_lo
.LBB207_7:
	s_or_b32 exec_lo, exec_lo, s11
	v_cndmask_b32_e64 v1, 0, 1, s14
	s_mov_b32 s11, -1
	s_and_b32 vcc_lo, exec_lo, s13
	s_cbranch_vccnz .LBB207_9
	s_branch .LBB207_18
.LBB207_8:
                                        ; implicit-def: $vgpr1
	s_and_b32 vcc_lo, exec_lo, s13
	s_cbranch_vccz .LBB207_18
.LBB207_9:
	s_load_b32 s0, s[0:1], 0x10
                                        ; implicit-def: $vgpr1
	s_waitcnt lgkmcnt(0)
	s_sub_i32 s0, s0, s10
	s_delay_alu instid0(SALU_CYCLE_1) | instskip(NEXT) | instid1(VALU_DEP_1)
	v_cmp_gt_u32_e64 s11, s0, v0
	s_and_saveexec_b32 s0, s11
	s_cbranch_execz .LBB207_17
; %bb.10:
	v_mov_b32_e32 v1, 0
	v_mov_b32_e32 v2, 0
	v_add3_u32 v5, s12, s10, v0
	s_cmp_eq_u64 s[8:9], 0
	s_cbranch_scc1 .LBB207_14
; %bb.11:
	v_mov_b32_e32 v1, 0
	v_dual_mov_b32 v2, 0 :: v_dual_mov_b32 v3, s8
	v_mov_b32_e32 v4, s9
	s_mov_b32 s1, 0
	.p2align	6
.LBB207_12:                             ; =>This Inner Loop Header: Depth=1
	s_delay_alu instid0(VALU_DEP_2) | instskip(NEXT) | instid1(VALU_DEP_2)
	v_sub_co_u32 v6, vcc_lo, v3, v1
	v_sub_co_ci_u32_e32 v7, vcc_lo, v4, v2, vcc_lo
	s_delay_alu instid0(VALU_DEP_1) | instskip(SKIP_1) | instid1(VALU_DEP_2)
	v_lshrrev_b64 v[8:9], 1, v[6:7]
	v_lshrrev_b64 v[6:7], 6, v[6:7]
	v_add_co_u32 v8, vcc_lo, v8, v1
	s_delay_alu instid0(VALU_DEP_3) | instskip(NEXT) | instid1(VALU_DEP_2)
	v_add_co_ci_u32_e32 v9, vcc_lo, v9, v2, vcc_lo
	v_add_co_u32 v6, vcc_lo, v8, v6
	s_delay_alu instid0(VALU_DEP_2) | instskip(NEXT) | instid1(VALU_DEP_1)
	v_add_co_ci_u32_e32 v7, vcc_lo, v9, v7, vcc_lo
	v_lshlrev_b64 v[8:9], 2, v[6:7]
	s_delay_alu instid0(VALU_DEP_1) | instskip(NEXT) | instid1(VALU_DEP_2)
	v_add_co_u32 v8, vcc_lo, s6, v8
	v_add_co_ci_u32_e32 v9, vcc_lo, s7, v9, vcc_lo
	global_load_b32 v8, v[8:9], off
	v_add_co_u32 v9, vcc_lo, v6, 1
	v_add_co_ci_u32_e32 v10, vcc_lo, 0, v7, vcc_lo
	s_waitcnt vmcnt(0)
	v_cmp_lt_u32_e32 vcc_lo, v8, v5
	v_dual_cndmask_b32 v4, v7, v4 :: v_dual_cndmask_b32 v3, v6, v3
	s_delay_alu instid0(VALU_DEP_3) | instskip(NEXT) | instid1(VALU_DEP_1)
	v_dual_cndmask_b32 v2, v2, v10 :: v_dual_cndmask_b32 v1, v1, v9
	v_cmp_ge_u64_e32 vcc_lo, v[1:2], v[3:4]
	s_or_b32 s1, vcc_lo, s1
	s_delay_alu instid0(SALU_CYCLE_1)
	s_and_not1_b32 exec_lo, exec_lo, s1
	s_cbranch_execnz .LBB207_12
; %bb.13:
	s_or_b32 exec_lo, exec_lo, s1
.LBB207_14:
	s_delay_alu instid0(VALU_DEP_2)
	v_cmp_ne_u64_e32 vcc_lo, s[8:9], v[1:2]
	s_mov_b32 s8, 0
	s_and_saveexec_b32 s1, vcc_lo
	s_cbranch_execz .LBB207_16
; %bb.15:
	v_lshlrev_b64 v[1:2], 2, v[1:2]
	s_delay_alu instid0(VALU_DEP_1) | instskip(NEXT) | instid1(VALU_DEP_2)
	v_add_co_u32 v1, vcc_lo, s6, v1
	v_add_co_ci_u32_e32 v2, vcc_lo, s7, v2, vcc_lo
	global_load_b32 v1, v[1:2], off
	s_waitcnt vmcnt(0)
	v_cmp_le_u32_e32 vcc_lo, v1, v5
	s_and_b32 s8, vcc_lo, exec_lo
.LBB207_16:
	s_or_b32 exec_lo, exec_lo, s1
	v_cndmask_b32_e64 v1, 0, 1, s8
.LBB207_17:
	s_or_b32 exec_lo, exec_lo, s0
.LBB207_18:
	s_and_saveexec_b32 s0, s11
	s_cbranch_execz .LBB207_20
; %bb.19:
	s_add_u32 s0, s4, s2
	s_addc_u32 s1, s5, s3
	s_add_u32 s0, s0, s10
	s_addc_u32 s1, s1, 0
	global_store_b8 v0, v1, s[0:1]
.LBB207_20:
	s_nop 0
	s_sendmsg sendmsg(MSG_DEALLOC_VGPRS)
	s_endpgm
	.section	.rodata,"a",@progbits
	.p2align	6, 0x0
	.amdhsa_kernel _ZN7rocprim17ROCPRIM_400000_NS6detail17trampoline_kernelINS0_14default_configENS1_29binary_search_config_selectorIjbEEZNS1_14transform_implILb0ES3_S5_N6thrust23THRUST_200600_302600_NS17counting_iteratorIjNS8_11use_defaultESA_SA_EEPbZNS1_13binary_searchIS3_S5_PjSB_SC_NS1_16binary_search_opENS8_6detail16wrapped_functionINS0_4lessIvEEbEEEE10hipError_tPvRmT1_T2_T3_mmT4_T5_P12ihipStream_tbEUlRKjE_EESL_SP_SQ_mSR_SU_bEUlT_E_NS1_11comp_targetILNS1_3genE9ELNS1_11target_archE1100ELNS1_3gpuE3ELNS1_3repE0EEENS1_30default_config_static_selectorELNS0_4arch9wavefront6targetE0EEEvSO_
		.amdhsa_group_segment_fixed_size 0
		.amdhsa_private_segment_fixed_size 0
		.amdhsa_kernarg_size 312
		.amdhsa_user_sgpr_count 15
		.amdhsa_user_sgpr_dispatch_ptr 0
		.amdhsa_user_sgpr_queue_ptr 0
		.amdhsa_user_sgpr_kernarg_segment_ptr 1
		.amdhsa_user_sgpr_dispatch_id 0
		.amdhsa_user_sgpr_private_segment_size 0
		.amdhsa_wavefront_size32 1
		.amdhsa_uses_dynamic_stack 0
		.amdhsa_enable_private_segment 0
		.amdhsa_system_sgpr_workgroup_id_x 1
		.amdhsa_system_sgpr_workgroup_id_y 0
		.amdhsa_system_sgpr_workgroup_id_z 0
		.amdhsa_system_sgpr_workgroup_info 0
		.amdhsa_system_vgpr_workitem_id 0
		.amdhsa_next_free_vgpr 11
		.amdhsa_next_free_sgpr 16
		.amdhsa_reserve_vcc 1
		.amdhsa_float_round_mode_32 0
		.amdhsa_float_round_mode_16_64 0
		.amdhsa_float_denorm_mode_32 3
		.amdhsa_float_denorm_mode_16_64 3
		.amdhsa_dx10_clamp 1
		.amdhsa_ieee_mode 1
		.amdhsa_fp16_overflow 0
		.amdhsa_workgroup_processor_mode 1
		.amdhsa_memory_ordered 1
		.amdhsa_forward_progress 0
		.amdhsa_shared_vgpr_count 0
		.amdhsa_exception_fp_ieee_invalid_op 0
		.amdhsa_exception_fp_denorm_src 0
		.amdhsa_exception_fp_ieee_div_zero 0
		.amdhsa_exception_fp_ieee_overflow 0
		.amdhsa_exception_fp_ieee_underflow 0
		.amdhsa_exception_fp_ieee_inexact 0
		.amdhsa_exception_int_div_zero 0
	.end_amdhsa_kernel
	.section	.text._ZN7rocprim17ROCPRIM_400000_NS6detail17trampoline_kernelINS0_14default_configENS1_29binary_search_config_selectorIjbEEZNS1_14transform_implILb0ES3_S5_N6thrust23THRUST_200600_302600_NS17counting_iteratorIjNS8_11use_defaultESA_SA_EEPbZNS1_13binary_searchIS3_S5_PjSB_SC_NS1_16binary_search_opENS8_6detail16wrapped_functionINS0_4lessIvEEbEEEE10hipError_tPvRmT1_T2_T3_mmT4_T5_P12ihipStream_tbEUlRKjE_EESL_SP_SQ_mSR_SU_bEUlT_E_NS1_11comp_targetILNS1_3genE9ELNS1_11target_archE1100ELNS1_3gpuE3ELNS1_3repE0EEENS1_30default_config_static_selectorELNS0_4arch9wavefront6targetE0EEEvSO_,"axG",@progbits,_ZN7rocprim17ROCPRIM_400000_NS6detail17trampoline_kernelINS0_14default_configENS1_29binary_search_config_selectorIjbEEZNS1_14transform_implILb0ES3_S5_N6thrust23THRUST_200600_302600_NS17counting_iteratorIjNS8_11use_defaultESA_SA_EEPbZNS1_13binary_searchIS3_S5_PjSB_SC_NS1_16binary_search_opENS8_6detail16wrapped_functionINS0_4lessIvEEbEEEE10hipError_tPvRmT1_T2_T3_mmT4_T5_P12ihipStream_tbEUlRKjE_EESL_SP_SQ_mSR_SU_bEUlT_E_NS1_11comp_targetILNS1_3genE9ELNS1_11target_archE1100ELNS1_3gpuE3ELNS1_3repE0EEENS1_30default_config_static_selectorELNS0_4arch9wavefront6targetE0EEEvSO_,comdat
.Lfunc_end207:
	.size	_ZN7rocprim17ROCPRIM_400000_NS6detail17trampoline_kernelINS0_14default_configENS1_29binary_search_config_selectorIjbEEZNS1_14transform_implILb0ES3_S5_N6thrust23THRUST_200600_302600_NS17counting_iteratorIjNS8_11use_defaultESA_SA_EEPbZNS1_13binary_searchIS3_S5_PjSB_SC_NS1_16binary_search_opENS8_6detail16wrapped_functionINS0_4lessIvEEbEEEE10hipError_tPvRmT1_T2_T3_mmT4_T5_P12ihipStream_tbEUlRKjE_EESL_SP_SQ_mSR_SU_bEUlT_E_NS1_11comp_targetILNS1_3genE9ELNS1_11target_archE1100ELNS1_3gpuE3ELNS1_3repE0EEENS1_30default_config_static_selectorELNS0_4arch9wavefront6targetE0EEEvSO_, .Lfunc_end207-_ZN7rocprim17ROCPRIM_400000_NS6detail17trampoline_kernelINS0_14default_configENS1_29binary_search_config_selectorIjbEEZNS1_14transform_implILb0ES3_S5_N6thrust23THRUST_200600_302600_NS17counting_iteratorIjNS8_11use_defaultESA_SA_EEPbZNS1_13binary_searchIS3_S5_PjSB_SC_NS1_16binary_search_opENS8_6detail16wrapped_functionINS0_4lessIvEEbEEEE10hipError_tPvRmT1_T2_T3_mmT4_T5_P12ihipStream_tbEUlRKjE_EESL_SP_SQ_mSR_SU_bEUlT_E_NS1_11comp_targetILNS1_3genE9ELNS1_11target_archE1100ELNS1_3gpuE3ELNS1_3repE0EEENS1_30default_config_static_selectorELNS0_4arch9wavefront6targetE0EEEvSO_
                                        ; -- End function
	.section	.AMDGPU.csdata,"",@progbits
; Kernel info:
; codeLenInByte = 752
; NumSgprs: 18
; NumVgprs: 11
; ScratchSize: 0
; MemoryBound: 0
; FloatMode: 240
; IeeeMode: 1
; LDSByteSize: 0 bytes/workgroup (compile time only)
; SGPRBlocks: 2
; VGPRBlocks: 1
; NumSGPRsForWavesPerEU: 18
; NumVGPRsForWavesPerEU: 11
; Occupancy: 16
; WaveLimiterHint : 0
; COMPUTE_PGM_RSRC2:SCRATCH_EN: 0
; COMPUTE_PGM_RSRC2:USER_SGPR: 15
; COMPUTE_PGM_RSRC2:TRAP_HANDLER: 0
; COMPUTE_PGM_RSRC2:TGID_X_EN: 1
; COMPUTE_PGM_RSRC2:TGID_Y_EN: 0
; COMPUTE_PGM_RSRC2:TGID_Z_EN: 0
; COMPUTE_PGM_RSRC2:TIDIG_COMP_CNT: 0
	.section	.text._ZN7rocprim17ROCPRIM_400000_NS6detail17trampoline_kernelINS0_14default_configENS1_29binary_search_config_selectorIjbEEZNS1_14transform_implILb0ES3_S5_N6thrust23THRUST_200600_302600_NS17counting_iteratorIjNS8_11use_defaultESA_SA_EEPbZNS1_13binary_searchIS3_S5_PjSB_SC_NS1_16binary_search_opENS8_6detail16wrapped_functionINS0_4lessIvEEbEEEE10hipError_tPvRmT1_T2_T3_mmT4_T5_P12ihipStream_tbEUlRKjE_EESL_SP_SQ_mSR_SU_bEUlT_E_NS1_11comp_targetILNS1_3genE8ELNS1_11target_archE1030ELNS1_3gpuE2ELNS1_3repE0EEENS1_30default_config_static_selectorELNS0_4arch9wavefront6targetE0EEEvSO_,"axG",@progbits,_ZN7rocprim17ROCPRIM_400000_NS6detail17trampoline_kernelINS0_14default_configENS1_29binary_search_config_selectorIjbEEZNS1_14transform_implILb0ES3_S5_N6thrust23THRUST_200600_302600_NS17counting_iteratorIjNS8_11use_defaultESA_SA_EEPbZNS1_13binary_searchIS3_S5_PjSB_SC_NS1_16binary_search_opENS8_6detail16wrapped_functionINS0_4lessIvEEbEEEE10hipError_tPvRmT1_T2_T3_mmT4_T5_P12ihipStream_tbEUlRKjE_EESL_SP_SQ_mSR_SU_bEUlT_E_NS1_11comp_targetILNS1_3genE8ELNS1_11target_archE1030ELNS1_3gpuE2ELNS1_3repE0EEENS1_30default_config_static_selectorELNS0_4arch9wavefront6targetE0EEEvSO_,comdat
	.protected	_ZN7rocprim17ROCPRIM_400000_NS6detail17trampoline_kernelINS0_14default_configENS1_29binary_search_config_selectorIjbEEZNS1_14transform_implILb0ES3_S5_N6thrust23THRUST_200600_302600_NS17counting_iteratorIjNS8_11use_defaultESA_SA_EEPbZNS1_13binary_searchIS3_S5_PjSB_SC_NS1_16binary_search_opENS8_6detail16wrapped_functionINS0_4lessIvEEbEEEE10hipError_tPvRmT1_T2_T3_mmT4_T5_P12ihipStream_tbEUlRKjE_EESL_SP_SQ_mSR_SU_bEUlT_E_NS1_11comp_targetILNS1_3genE8ELNS1_11target_archE1030ELNS1_3gpuE2ELNS1_3repE0EEENS1_30default_config_static_selectorELNS0_4arch9wavefront6targetE0EEEvSO_ ; -- Begin function _ZN7rocprim17ROCPRIM_400000_NS6detail17trampoline_kernelINS0_14default_configENS1_29binary_search_config_selectorIjbEEZNS1_14transform_implILb0ES3_S5_N6thrust23THRUST_200600_302600_NS17counting_iteratorIjNS8_11use_defaultESA_SA_EEPbZNS1_13binary_searchIS3_S5_PjSB_SC_NS1_16binary_search_opENS8_6detail16wrapped_functionINS0_4lessIvEEbEEEE10hipError_tPvRmT1_T2_T3_mmT4_T5_P12ihipStream_tbEUlRKjE_EESL_SP_SQ_mSR_SU_bEUlT_E_NS1_11comp_targetILNS1_3genE8ELNS1_11target_archE1030ELNS1_3gpuE2ELNS1_3repE0EEENS1_30default_config_static_selectorELNS0_4arch9wavefront6targetE0EEEvSO_
	.globl	_ZN7rocprim17ROCPRIM_400000_NS6detail17trampoline_kernelINS0_14default_configENS1_29binary_search_config_selectorIjbEEZNS1_14transform_implILb0ES3_S5_N6thrust23THRUST_200600_302600_NS17counting_iteratorIjNS8_11use_defaultESA_SA_EEPbZNS1_13binary_searchIS3_S5_PjSB_SC_NS1_16binary_search_opENS8_6detail16wrapped_functionINS0_4lessIvEEbEEEE10hipError_tPvRmT1_T2_T3_mmT4_T5_P12ihipStream_tbEUlRKjE_EESL_SP_SQ_mSR_SU_bEUlT_E_NS1_11comp_targetILNS1_3genE8ELNS1_11target_archE1030ELNS1_3gpuE2ELNS1_3repE0EEENS1_30default_config_static_selectorELNS0_4arch9wavefront6targetE0EEEvSO_
	.p2align	8
	.type	_ZN7rocprim17ROCPRIM_400000_NS6detail17trampoline_kernelINS0_14default_configENS1_29binary_search_config_selectorIjbEEZNS1_14transform_implILb0ES3_S5_N6thrust23THRUST_200600_302600_NS17counting_iteratorIjNS8_11use_defaultESA_SA_EEPbZNS1_13binary_searchIS3_S5_PjSB_SC_NS1_16binary_search_opENS8_6detail16wrapped_functionINS0_4lessIvEEbEEEE10hipError_tPvRmT1_T2_T3_mmT4_T5_P12ihipStream_tbEUlRKjE_EESL_SP_SQ_mSR_SU_bEUlT_E_NS1_11comp_targetILNS1_3genE8ELNS1_11target_archE1030ELNS1_3gpuE2ELNS1_3repE0EEENS1_30default_config_static_selectorELNS0_4arch9wavefront6targetE0EEEvSO_,@function
_ZN7rocprim17ROCPRIM_400000_NS6detail17trampoline_kernelINS0_14default_configENS1_29binary_search_config_selectorIjbEEZNS1_14transform_implILb0ES3_S5_N6thrust23THRUST_200600_302600_NS17counting_iteratorIjNS8_11use_defaultESA_SA_EEPbZNS1_13binary_searchIS3_S5_PjSB_SC_NS1_16binary_search_opENS8_6detail16wrapped_functionINS0_4lessIvEEbEEEE10hipError_tPvRmT1_T2_T3_mmT4_T5_P12ihipStream_tbEUlRKjE_EESL_SP_SQ_mSR_SU_bEUlT_E_NS1_11comp_targetILNS1_3genE8ELNS1_11target_archE1030ELNS1_3gpuE2ELNS1_3repE0EEENS1_30default_config_static_selectorELNS0_4arch9wavefront6targetE0EEEvSO_: ; @_ZN7rocprim17ROCPRIM_400000_NS6detail17trampoline_kernelINS0_14default_configENS1_29binary_search_config_selectorIjbEEZNS1_14transform_implILb0ES3_S5_N6thrust23THRUST_200600_302600_NS17counting_iteratorIjNS8_11use_defaultESA_SA_EEPbZNS1_13binary_searchIS3_S5_PjSB_SC_NS1_16binary_search_opENS8_6detail16wrapped_functionINS0_4lessIvEEbEEEE10hipError_tPvRmT1_T2_T3_mmT4_T5_P12ihipStream_tbEUlRKjE_EESL_SP_SQ_mSR_SU_bEUlT_E_NS1_11comp_targetILNS1_3genE8ELNS1_11target_archE1030ELNS1_3gpuE2ELNS1_3repE0EEENS1_30default_config_static_selectorELNS0_4arch9wavefront6targetE0EEEvSO_
; %bb.0:
	.section	.rodata,"a",@progbits
	.p2align	6, 0x0
	.amdhsa_kernel _ZN7rocprim17ROCPRIM_400000_NS6detail17trampoline_kernelINS0_14default_configENS1_29binary_search_config_selectorIjbEEZNS1_14transform_implILb0ES3_S5_N6thrust23THRUST_200600_302600_NS17counting_iteratorIjNS8_11use_defaultESA_SA_EEPbZNS1_13binary_searchIS3_S5_PjSB_SC_NS1_16binary_search_opENS8_6detail16wrapped_functionINS0_4lessIvEEbEEEE10hipError_tPvRmT1_T2_T3_mmT4_T5_P12ihipStream_tbEUlRKjE_EESL_SP_SQ_mSR_SU_bEUlT_E_NS1_11comp_targetILNS1_3genE8ELNS1_11target_archE1030ELNS1_3gpuE2ELNS1_3repE0EEENS1_30default_config_static_selectorELNS0_4arch9wavefront6targetE0EEEvSO_
		.amdhsa_group_segment_fixed_size 0
		.amdhsa_private_segment_fixed_size 0
		.amdhsa_kernarg_size 56
		.amdhsa_user_sgpr_count 15
		.amdhsa_user_sgpr_dispatch_ptr 0
		.amdhsa_user_sgpr_queue_ptr 0
		.amdhsa_user_sgpr_kernarg_segment_ptr 1
		.amdhsa_user_sgpr_dispatch_id 0
		.amdhsa_user_sgpr_private_segment_size 0
		.amdhsa_wavefront_size32 1
		.amdhsa_uses_dynamic_stack 0
		.amdhsa_enable_private_segment 0
		.amdhsa_system_sgpr_workgroup_id_x 1
		.amdhsa_system_sgpr_workgroup_id_y 0
		.amdhsa_system_sgpr_workgroup_id_z 0
		.amdhsa_system_sgpr_workgroup_info 0
		.amdhsa_system_vgpr_workitem_id 0
		.amdhsa_next_free_vgpr 1
		.amdhsa_next_free_sgpr 1
		.amdhsa_reserve_vcc 0
		.amdhsa_float_round_mode_32 0
		.amdhsa_float_round_mode_16_64 0
		.amdhsa_float_denorm_mode_32 3
		.amdhsa_float_denorm_mode_16_64 3
		.amdhsa_dx10_clamp 1
		.amdhsa_ieee_mode 1
		.amdhsa_fp16_overflow 0
		.amdhsa_workgroup_processor_mode 1
		.amdhsa_memory_ordered 1
		.amdhsa_forward_progress 0
		.amdhsa_shared_vgpr_count 0
		.amdhsa_exception_fp_ieee_invalid_op 0
		.amdhsa_exception_fp_denorm_src 0
		.amdhsa_exception_fp_ieee_div_zero 0
		.amdhsa_exception_fp_ieee_overflow 0
		.amdhsa_exception_fp_ieee_underflow 0
		.amdhsa_exception_fp_ieee_inexact 0
		.amdhsa_exception_int_div_zero 0
	.end_amdhsa_kernel
	.section	.text._ZN7rocprim17ROCPRIM_400000_NS6detail17trampoline_kernelINS0_14default_configENS1_29binary_search_config_selectorIjbEEZNS1_14transform_implILb0ES3_S5_N6thrust23THRUST_200600_302600_NS17counting_iteratorIjNS8_11use_defaultESA_SA_EEPbZNS1_13binary_searchIS3_S5_PjSB_SC_NS1_16binary_search_opENS8_6detail16wrapped_functionINS0_4lessIvEEbEEEE10hipError_tPvRmT1_T2_T3_mmT4_T5_P12ihipStream_tbEUlRKjE_EESL_SP_SQ_mSR_SU_bEUlT_E_NS1_11comp_targetILNS1_3genE8ELNS1_11target_archE1030ELNS1_3gpuE2ELNS1_3repE0EEENS1_30default_config_static_selectorELNS0_4arch9wavefront6targetE0EEEvSO_,"axG",@progbits,_ZN7rocprim17ROCPRIM_400000_NS6detail17trampoline_kernelINS0_14default_configENS1_29binary_search_config_selectorIjbEEZNS1_14transform_implILb0ES3_S5_N6thrust23THRUST_200600_302600_NS17counting_iteratorIjNS8_11use_defaultESA_SA_EEPbZNS1_13binary_searchIS3_S5_PjSB_SC_NS1_16binary_search_opENS8_6detail16wrapped_functionINS0_4lessIvEEbEEEE10hipError_tPvRmT1_T2_T3_mmT4_T5_P12ihipStream_tbEUlRKjE_EESL_SP_SQ_mSR_SU_bEUlT_E_NS1_11comp_targetILNS1_3genE8ELNS1_11target_archE1030ELNS1_3gpuE2ELNS1_3repE0EEENS1_30default_config_static_selectorELNS0_4arch9wavefront6targetE0EEEvSO_,comdat
.Lfunc_end208:
	.size	_ZN7rocprim17ROCPRIM_400000_NS6detail17trampoline_kernelINS0_14default_configENS1_29binary_search_config_selectorIjbEEZNS1_14transform_implILb0ES3_S5_N6thrust23THRUST_200600_302600_NS17counting_iteratorIjNS8_11use_defaultESA_SA_EEPbZNS1_13binary_searchIS3_S5_PjSB_SC_NS1_16binary_search_opENS8_6detail16wrapped_functionINS0_4lessIvEEbEEEE10hipError_tPvRmT1_T2_T3_mmT4_T5_P12ihipStream_tbEUlRKjE_EESL_SP_SQ_mSR_SU_bEUlT_E_NS1_11comp_targetILNS1_3genE8ELNS1_11target_archE1030ELNS1_3gpuE2ELNS1_3repE0EEENS1_30default_config_static_selectorELNS0_4arch9wavefront6targetE0EEEvSO_, .Lfunc_end208-_ZN7rocprim17ROCPRIM_400000_NS6detail17trampoline_kernelINS0_14default_configENS1_29binary_search_config_selectorIjbEEZNS1_14transform_implILb0ES3_S5_N6thrust23THRUST_200600_302600_NS17counting_iteratorIjNS8_11use_defaultESA_SA_EEPbZNS1_13binary_searchIS3_S5_PjSB_SC_NS1_16binary_search_opENS8_6detail16wrapped_functionINS0_4lessIvEEbEEEE10hipError_tPvRmT1_T2_T3_mmT4_T5_P12ihipStream_tbEUlRKjE_EESL_SP_SQ_mSR_SU_bEUlT_E_NS1_11comp_targetILNS1_3genE8ELNS1_11target_archE1030ELNS1_3gpuE2ELNS1_3repE0EEENS1_30default_config_static_selectorELNS0_4arch9wavefront6targetE0EEEvSO_
                                        ; -- End function
	.section	.AMDGPU.csdata,"",@progbits
; Kernel info:
; codeLenInByte = 0
; NumSgprs: 0
; NumVgprs: 0
; ScratchSize: 0
; MemoryBound: 0
; FloatMode: 240
; IeeeMode: 1
; LDSByteSize: 0 bytes/workgroup (compile time only)
; SGPRBlocks: 0
; VGPRBlocks: 0
; NumSGPRsForWavesPerEU: 1
; NumVGPRsForWavesPerEU: 1
; Occupancy: 16
; WaveLimiterHint : 0
; COMPUTE_PGM_RSRC2:SCRATCH_EN: 0
; COMPUTE_PGM_RSRC2:USER_SGPR: 15
; COMPUTE_PGM_RSRC2:TRAP_HANDLER: 0
; COMPUTE_PGM_RSRC2:TGID_X_EN: 1
; COMPUTE_PGM_RSRC2:TGID_Y_EN: 0
; COMPUTE_PGM_RSRC2:TGID_Z_EN: 0
; COMPUTE_PGM_RSRC2:TIDIG_COMP_CNT: 0
	.section	.text._Z20binary_search_kernelItEvmPT_Pb,"axG",@progbits,_Z20binary_search_kernelItEvmPT_Pb,comdat
	.protected	_Z20binary_search_kernelItEvmPT_Pb ; -- Begin function _Z20binary_search_kernelItEvmPT_Pb
	.globl	_Z20binary_search_kernelItEvmPT_Pb
	.p2align	8
	.type	_Z20binary_search_kernelItEvmPT_Pb,@function
_Z20binary_search_kernelItEvmPT_Pb:     ; @_Z20binary_search_kernelItEvmPT_Pb
; %bb.0:
	s_clause 0x1
	s_load_b128 s[4:7], s[0:1], 0x0
	s_load_b64 s[2:3], s[0:1], 0x10
	s_mov_b64 s[0:1], 0
	s_waitcnt lgkmcnt(0)
	s_cmp_eq_u64 s[4:5], 0
	s_cbranch_scc1 .LBB209_2
; %bb.1:
	v_mov_b32_e32 v0, 0
	global_load_u16 v0, v0, s[6:7]
	s_waitcnt vmcnt(0)
	v_cmp_eq_u16_e64 s10, 0, v0
	s_branch .LBB209_3
.LBB209_2:
	s_mov_b32 s10, 0
.LBB209_3:
	s_lshl_b64 s[8:9], s[4:5], 1
	v_mov_b32_e32 v0, 0
	s_ashr_i64 s[8:9], s[8:9], 1
	v_cndmask_b32_e64 v1, 0, 1, s10
	v_cmp_lt_i64_e64 s11, s[8:9], 1
	global_store_b8 v0, v1, s[2:3]
	s_and_b32 vcc_lo, exec_lo, s11
	s_cbranch_vccnz .LBB209_6
; %bb.4:
	s_mov_b64 s[10:11], s[8:9]
	.p2align	6
.LBB209_5:                              ; =>This Inner Loop Header: Depth=1
	s_delay_alu instid0(SALU_CYCLE_1) | instskip(SKIP_1) | instid1(SALU_CYCLE_1)
	s_sub_u32 s12, s10, s0
	s_subb_u32 s13, s11, s1
	s_lshr_b32 s14, s13, 31
	s_delay_alu instid0(SALU_CYCLE_1) | instskip(SKIP_1) | instid1(SALU_CYCLE_1)
	s_add_u32 s12, s12, s14
	s_addc_u32 s13, s13, 0
	s_ashr_i64 s[12:13], s[12:13], 1
	s_delay_alu instid0(SALU_CYCLE_1) | instskip(SKIP_1) | instid1(SALU_CYCLE_1)
	s_add_u32 s12, s12, s0
	s_addc_u32 s13, s13, s1
	s_lshl_b64 s[14:15], s[12:13], 1
	s_delay_alu instid0(SALU_CYCLE_1)
	s_add_u32 s14, s6, s14
	s_addc_u32 s15, s7, s15
	global_load_u16 v1, v0, s[14:15]
	s_add_u32 s14, s12, 1
	s_addc_u32 s15, s13, 0
	s_waitcnt vmcnt(0)
	v_cmp_eq_u16_e32 vcc_lo, 0, v1
	s_and_b32 s16, vcc_lo, exec_lo
	s_cselect_b32 s1, s15, s1
	s_cselect_b32 s0, s14, s0
	;; [unrolled: 1-line block ×4, first 2 shown]
	s_delay_alu instid0(SALU_CYCLE_1) | instskip(NEXT) | instid1(VALU_DEP_1)
	v_cmp_lt_i64_e64 s12, s[0:1], s[10:11]
	s_and_b32 vcc_lo, exec_lo, s12
	s_cbranch_vccnz .LBB209_5
.LBB209_6:
	v_cmp_gt_i64_e64 s10, s[8:9], 0
	s_cmp_eq_u64 s[0:1], s[4:5]
	s_mov_b32 s11, 0
	s_cbranch_scc1 .LBB209_8
; %bb.7:
	s_lshl_b64 s[0:1], s[0:1], 1
	v_mov_b32_e32 v0, 0
	s_add_u32 s0, s6, s0
	s_addc_u32 s1, s7, s1
	global_load_u16 v0, v0, s[0:1]
	s_waitcnt vmcnt(0)
	v_cmp_gt_u16_e64 s11, 2, v0
.LBB209_8:
	s_delay_alu instid0(VALU_DEP_1) | instskip(NEXT) | instid1(VALU_DEP_2)
	v_cndmask_b32_e64 v0, 0, 1, s10
	v_cndmask_b32_e64 v1, 0, 1, s11
	s_and_not1_b32 vcc_lo, exec_lo, s10
	s_mov_b64 s[10:11], 0
	s_delay_alu instid0(VALU_DEP_2)
	v_cmp_ne_u32_e64 s0, 1, v0
	v_mov_b32_e32 v0, 0
	global_store_b8 v0, v1, s[2:3] offset:1
	s_cbranch_vccnz .LBB209_11
; %bb.9:
	s_mov_b64 s[12:13], s[8:9]
	.p2align	6
.LBB209_10:                             ; =>This Inner Loop Header: Depth=1
	s_delay_alu instid0(SALU_CYCLE_1) | instskip(SKIP_1) | instid1(SALU_CYCLE_1)
	s_sub_u32 s1, s12, s10
	s_subb_u32 s15, s13, s11
	s_lshr_b32 s14, s15, 31
	s_delay_alu instid0(SALU_CYCLE_1) | instskip(SKIP_1) | instid1(SALU_CYCLE_1)
	s_add_u32 s14, s1, s14
	s_addc_u32 s15, s15, 0
	s_ashr_i64 s[14:15], s[14:15], 1
	s_delay_alu instid0(SALU_CYCLE_1) | instskip(SKIP_1) | instid1(SALU_CYCLE_1)
	s_add_u32 s14, s14, s10
	s_addc_u32 s15, s15, s11
	s_lshl_b64 s[16:17], s[14:15], 1
	s_delay_alu instid0(SALU_CYCLE_1)
	s_add_u32 s16, s6, s16
	s_addc_u32 s17, s7, s17
	s_add_u32 s1, s14, 1
	global_load_u16 v1, v0, s[16:17]
	s_addc_u32 s16, s15, 0
	s_waitcnt vmcnt(0)
	v_cmp_gt_u16_e32 vcc_lo, 2, v1
	s_and_b32 s17, vcc_lo, exec_lo
	s_cselect_b32 s11, s16, s11
	s_cselect_b32 s10, s1, s10
	;; [unrolled: 1-line block ×4, first 2 shown]
	s_delay_alu instid0(SALU_CYCLE_1) | instskip(NEXT) | instid1(VALU_DEP_1)
	v_cmp_lt_i64_e64 s1, s[10:11], s[12:13]
	s_and_b32 vcc_lo, exec_lo, s1
	s_cbranch_vccnz .LBB209_10
.LBB209_11:
	s_cmp_eq_u64 s[10:11], s[4:5]
	s_mov_b32 s1, 0
	s_cbranch_scc1 .LBB209_13
; %bb.12:
	s_lshl_b64 s[10:11], s[10:11], 1
	v_mov_b32_e32 v0, 0
	s_add_u32 s10, s6, s10
	s_addc_u32 s11, s7, s11
	global_load_u16 v0, v0, s[10:11]
	s_waitcnt vmcnt(0)
	v_cmp_gt_u16_e64 s1, 3, v0
.LBB209_13:
	s_delay_alu instid0(VALU_DEP_1)
	v_cndmask_b32_e64 v1, 0, 1, s1
	v_mov_b32_e32 v0, 0
	s_and_b32 vcc_lo, exec_lo, s0
	s_mov_b64 s[10:11], 0
	global_store_b8 v0, v1, s[2:3] offset:2
	s_cbranch_vccnz .LBB209_16
; %bb.14:
	s_mov_b64 s[12:13], s[8:9]
	.p2align	6
.LBB209_15:                             ; =>This Inner Loop Header: Depth=1
	s_delay_alu instid0(SALU_CYCLE_1) | instskip(SKIP_1) | instid1(SALU_CYCLE_1)
	s_sub_u32 s1, s12, s10
	s_subb_u32 s15, s13, s11
	s_lshr_b32 s14, s15, 31
	s_delay_alu instid0(SALU_CYCLE_1) | instskip(SKIP_1) | instid1(SALU_CYCLE_1)
	s_add_u32 s14, s1, s14
	s_addc_u32 s15, s15, 0
	s_ashr_i64 s[14:15], s[14:15], 1
	s_delay_alu instid0(SALU_CYCLE_1) | instskip(SKIP_1) | instid1(SALU_CYCLE_1)
	s_add_u32 s14, s14, s10
	s_addc_u32 s15, s15, s11
	s_lshl_b64 s[16:17], s[14:15], 1
	s_delay_alu instid0(SALU_CYCLE_1)
	s_add_u32 s16, s6, s16
	s_addc_u32 s17, s7, s17
	s_add_u32 s1, s14, 1
	global_load_u16 v1, v0, s[16:17]
	s_addc_u32 s16, s15, 0
	s_waitcnt vmcnt(0)
	v_cmp_gt_u16_e32 vcc_lo, 3, v1
	s_and_b32 s17, vcc_lo, exec_lo
	s_cselect_b32 s11, s16, s11
	s_cselect_b32 s10, s1, s10
	;; [unrolled: 1-line block ×4, first 2 shown]
	s_delay_alu instid0(SALU_CYCLE_1) | instskip(NEXT) | instid1(VALU_DEP_1)
	v_cmp_lt_i64_e64 s1, s[10:11], s[12:13]
	s_and_b32 vcc_lo, exec_lo, s1
	s_cbranch_vccnz .LBB209_15
.LBB209_16:
	s_cmp_eq_u64 s[10:11], s[4:5]
	s_mov_b32 s1, 0
	s_cbranch_scc1 .LBB209_18
; %bb.17:
	s_lshl_b64 s[10:11], s[10:11], 1
	v_mov_b32_e32 v0, 0
	s_add_u32 s10, s6, s10
	s_addc_u32 s11, s7, s11
	global_load_u16 v0, v0, s[10:11]
	s_waitcnt vmcnt(0)
	v_cmp_gt_u16_e64 s1, 4, v0
.LBB209_18:
	s_delay_alu instid0(VALU_DEP_1)
	v_cndmask_b32_e64 v1, 0, 1, s1
	v_mov_b32_e32 v0, 0
	s_and_b32 vcc_lo, exec_lo, s0
	s_mov_b64 s[10:11], 0
	global_store_b8 v0, v1, s[2:3] offset:3
	s_cbranch_vccnz .LBB209_21
; %bb.19:
	s_mov_b64 s[12:13], s[8:9]
	.p2align	6
.LBB209_20:                             ; =>This Inner Loop Header: Depth=1
	s_delay_alu instid0(SALU_CYCLE_1) | instskip(SKIP_1) | instid1(SALU_CYCLE_1)
	s_sub_u32 s1, s12, s10
	s_subb_u32 s15, s13, s11
	s_lshr_b32 s14, s15, 31
	s_delay_alu instid0(SALU_CYCLE_1) | instskip(SKIP_1) | instid1(SALU_CYCLE_1)
	s_add_u32 s14, s1, s14
	s_addc_u32 s15, s15, 0
	s_ashr_i64 s[14:15], s[14:15], 1
	s_delay_alu instid0(SALU_CYCLE_1) | instskip(SKIP_1) | instid1(SALU_CYCLE_1)
	s_add_u32 s14, s14, s10
	s_addc_u32 s15, s15, s11
	s_lshl_b64 s[16:17], s[14:15], 1
	s_delay_alu instid0(SALU_CYCLE_1)
	s_add_u32 s16, s6, s16
	s_addc_u32 s17, s7, s17
	s_add_u32 s1, s14, 1
	global_load_u16 v1, v0, s[16:17]
	s_addc_u32 s16, s15, 0
	s_waitcnt vmcnt(0)
	v_cmp_gt_u16_e32 vcc_lo, 4, v1
	s_and_b32 s17, vcc_lo, exec_lo
	s_cselect_b32 s11, s16, s11
	s_cselect_b32 s10, s1, s10
	;; [unrolled: 1-line block ×4, first 2 shown]
	s_delay_alu instid0(SALU_CYCLE_1) | instskip(NEXT) | instid1(VALU_DEP_1)
	v_cmp_lt_i64_e64 s1, s[10:11], s[12:13]
	s_and_b32 vcc_lo, exec_lo, s1
	s_cbranch_vccnz .LBB209_20
.LBB209_21:
	s_cmp_eq_u64 s[10:11], s[4:5]
	s_mov_b32 s1, 0
	s_cbranch_scc1 .LBB209_23
; %bb.22:
	s_lshl_b64 s[10:11], s[10:11], 1
	v_mov_b32_e32 v0, 0
	s_add_u32 s10, s6, s10
	s_addc_u32 s11, s7, s11
	global_load_u16 v0, v0, s[10:11]
	s_waitcnt vmcnt(0)
	v_cmp_gt_u16_e64 s1, 5, v0
.LBB209_23:
	s_delay_alu instid0(VALU_DEP_1)
	v_cndmask_b32_e64 v1, 0, 1, s1
	v_mov_b32_e32 v0, 0
	s_and_b32 vcc_lo, exec_lo, s0
	s_mov_b64 s[10:11], 0
	global_store_b8 v0, v1, s[2:3] offset:4
	s_cbranch_vccnz .LBB209_26
; %bb.24:
	s_mov_b64 s[12:13], s[8:9]
	.p2align	6
.LBB209_25:                             ; =>This Inner Loop Header: Depth=1
	s_delay_alu instid0(SALU_CYCLE_1) | instskip(SKIP_1) | instid1(SALU_CYCLE_1)
	s_sub_u32 s1, s12, s10
	s_subb_u32 s15, s13, s11
	s_lshr_b32 s14, s15, 31
	s_delay_alu instid0(SALU_CYCLE_1) | instskip(SKIP_1) | instid1(SALU_CYCLE_1)
	s_add_u32 s14, s1, s14
	s_addc_u32 s15, s15, 0
	s_ashr_i64 s[14:15], s[14:15], 1
	s_delay_alu instid0(SALU_CYCLE_1) | instskip(SKIP_1) | instid1(SALU_CYCLE_1)
	s_add_u32 s14, s14, s10
	s_addc_u32 s15, s15, s11
	s_lshl_b64 s[16:17], s[14:15], 1
	s_delay_alu instid0(SALU_CYCLE_1)
	s_add_u32 s16, s6, s16
	s_addc_u32 s17, s7, s17
	s_add_u32 s1, s14, 1
	global_load_u16 v1, v0, s[16:17]
	s_addc_u32 s16, s15, 0
	s_waitcnt vmcnt(0)
	v_cmp_gt_u16_e32 vcc_lo, 5, v1
	s_and_b32 s17, vcc_lo, exec_lo
	s_cselect_b32 s11, s16, s11
	s_cselect_b32 s10, s1, s10
	s_cselect_b32 s13, s13, s15
	s_cselect_b32 s12, s12, s14
	s_delay_alu instid0(SALU_CYCLE_1) | instskip(NEXT) | instid1(VALU_DEP_1)
	v_cmp_lt_i64_e64 s1, s[10:11], s[12:13]
	s_and_b32 vcc_lo, exec_lo, s1
	s_cbranch_vccnz .LBB209_25
.LBB209_26:
	s_cmp_eq_u64 s[10:11], s[4:5]
	s_mov_b32 s1, 0
	s_cbranch_scc1 .LBB209_28
; %bb.27:
	s_lshl_b64 s[10:11], s[10:11], 1
	v_mov_b32_e32 v0, 0
	s_add_u32 s10, s6, s10
	s_addc_u32 s11, s7, s11
	global_load_u16 v0, v0, s[10:11]
	s_waitcnt vmcnt(0)
	v_cmp_gt_u16_e64 s1, 6, v0
.LBB209_28:
	s_delay_alu instid0(VALU_DEP_1)
	v_cndmask_b32_e64 v1, 0, 1, s1
	v_mov_b32_e32 v0, 0
	s_and_b32 vcc_lo, exec_lo, s0
	s_mov_b64 s[10:11], 0
	global_store_b8 v0, v1, s[2:3] offset:5
	s_cbranch_vccnz .LBB209_31
; %bb.29:
	s_mov_b64 s[12:13], s[8:9]
	.p2align	6
.LBB209_30:                             ; =>This Inner Loop Header: Depth=1
	s_delay_alu instid0(SALU_CYCLE_1) | instskip(SKIP_1) | instid1(SALU_CYCLE_1)
	s_sub_u32 s1, s12, s10
	s_subb_u32 s15, s13, s11
	s_lshr_b32 s14, s15, 31
	s_delay_alu instid0(SALU_CYCLE_1) | instskip(SKIP_1) | instid1(SALU_CYCLE_1)
	s_add_u32 s14, s1, s14
	s_addc_u32 s15, s15, 0
	s_ashr_i64 s[14:15], s[14:15], 1
	s_delay_alu instid0(SALU_CYCLE_1) | instskip(SKIP_1) | instid1(SALU_CYCLE_1)
	s_add_u32 s14, s14, s10
	s_addc_u32 s15, s15, s11
	s_lshl_b64 s[16:17], s[14:15], 1
	s_delay_alu instid0(SALU_CYCLE_1)
	s_add_u32 s16, s6, s16
	s_addc_u32 s17, s7, s17
	s_add_u32 s1, s14, 1
	global_load_u16 v1, v0, s[16:17]
	s_addc_u32 s16, s15, 0
	s_waitcnt vmcnt(0)
	v_cmp_gt_u16_e32 vcc_lo, 6, v1
	s_and_b32 s17, vcc_lo, exec_lo
	s_cselect_b32 s11, s16, s11
	s_cselect_b32 s10, s1, s10
	;; [unrolled: 1-line block ×4, first 2 shown]
	s_delay_alu instid0(SALU_CYCLE_1) | instskip(NEXT) | instid1(VALU_DEP_1)
	v_cmp_lt_i64_e64 s1, s[10:11], s[12:13]
	s_and_b32 vcc_lo, exec_lo, s1
	s_cbranch_vccnz .LBB209_30
.LBB209_31:
	s_cmp_eq_u64 s[10:11], s[4:5]
	s_mov_b32 s1, 0
	s_cbranch_scc1 .LBB209_33
; %bb.32:
	s_lshl_b64 s[10:11], s[10:11], 1
	v_mov_b32_e32 v0, 0
	s_add_u32 s10, s6, s10
	s_addc_u32 s11, s7, s11
	global_load_u16 v0, v0, s[10:11]
	s_waitcnt vmcnt(0)
	v_cmp_gt_u16_e64 s1, 7, v0
.LBB209_33:
	s_delay_alu instid0(VALU_DEP_1)
	v_cndmask_b32_e64 v1, 0, 1, s1
	v_mov_b32_e32 v0, 0
	s_and_b32 vcc_lo, exec_lo, s0
	s_mov_b64 s[10:11], 0
	global_store_b8 v0, v1, s[2:3] offset:6
	s_cbranch_vccnz .LBB209_36
; %bb.34:
	s_mov_b64 s[12:13], s[8:9]
	.p2align	6
.LBB209_35:                             ; =>This Inner Loop Header: Depth=1
	s_delay_alu instid0(SALU_CYCLE_1) | instskip(SKIP_1) | instid1(SALU_CYCLE_1)
	s_sub_u32 s1, s12, s10
	s_subb_u32 s15, s13, s11
	s_lshr_b32 s14, s15, 31
	s_delay_alu instid0(SALU_CYCLE_1) | instskip(SKIP_1) | instid1(SALU_CYCLE_1)
	s_add_u32 s14, s1, s14
	s_addc_u32 s15, s15, 0
	s_ashr_i64 s[14:15], s[14:15], 1
	s_delay_alu instid0(SALU_CYCLE_1) | instskip(SKIP_1) | instid1(SALU_CYCLE_1)
	s_add_u32 s14, s14, s10
	s_addc_u32 s15, s15, s11
	s_lshl_b64 s[16:17], s[14:15], 1
	s_delay_alu instid0(SALU_CYCLE_1)
	s_add_u32 s16, s6, s16
	s_addc_u32 s17, s7, s17
	s_add_u32 s1, s14, 1
	global_load_u16 v1, v0, s[16:17]
	s_addc_u32 s16, s15, 0
	s_waitcnt vmcnt(0)
	v_cmp_gt_u16_e32 vcc_lo, 7, v1
	s_and_b32 s17, vcc_lo, exec_lo
	s_cselect_b32 s11, s16, s11
	s_cselect_b32 s10, s1, s10
	;; [unrolled: 1-line block ×4, first 2 shown]
	s_delay_alu instid0(SALU_CYCLE_1) | instskip(NEXT) | instid1(VALU_DEP_1)
	v_cmp_lt_i64_e64 s1, s[10:11], s[12:13]
	s_and_b32 vcc_lo, exec_lo, s1
	s_cbranch_vccnz .LBB209_35
.LBB209_36:
	s_cmp_eq_u64 s[10:11], s[4:5]
	s_mov_b32 s1, 0
	s_cbranch_scc1 .LBB209_38
; %bb.37:
	s_lshl_b64 s[10:11], s[10:11], 1
	v_mov_b32_e32 v0, 0
	s_add_u32 s10, s6, s10
	s_addc_u32 s11, s7, s11
	global_load_u16 v0, v0, s[10:11]
	s_waitcnt vmcnt(0)
	v_cmp_gt_u16_e64 s1, 8, v0
.LBB209_38:
	s_delay_alu instid0(VALU_DEP_1)
	v_cndmask_b32_e64 v1, 0, 1, s1
	v_mov_b32_e32 v0, 0
	s_and_b32 vcc_lo, exec_lo, s0
	s_mov_b64 s[10:11], 0
	global_store_b8 v0, v1, s[2:3] offset:7
	s_cbranch_vccnz .LBB209_41
; %bb.39:
	s_mov_b64 s[12:13], s[8:9]
	.p2align	6
.LBB209_40:                             ; =>This Inner Loop Header: Depth=1
	s_delay_alu instid0(SALU_CYCLE_1) | instskip(SKIP_1) | instid1(SALU_CYCLE_1)
	s_sub_u32 s1, s12, s10
	s_subb_u32 s15, s13, s11
	s_lshr_b32 s14, s15, 31
	s_delay_alu instid0(SALU_CYCLE_1) | instskip(SKIP_1) | instid1(SALU_CYCLE_1)
	s_add_u32 s14, s1, s14
	s_addc_u32 s15, s15, 0
	s_ashr_i64 s[14:15], s[14:15], 1
	s_delay_alu instid0(SALU_CYCLE_1) | instskip(SKIP_1) | instid1(SALU_CYCLE_1)
	s_add_u32 s14, s14, s10
	s_addc_u32 s15, s15, s11
	s_lshl_b64 s[16:17], s[14:15], 1
	s_delay_alu instid0(SALU_CYCLE_1)
	s_add_u32 s16, s6, s16
	s_addc_u32 s17, s7, s17
	s_add_u32 s1, s14, 1
	global_load_u16 v1, v0, s[16:17]
	s_addc_u32 s16, s15, 0
	s_waitcnt vmcnt(0)
	v_cmp_gt_u16_e32 vcc_lo, 8, v1
	s_and_b32 s17, vcc_lo, exec_lo
	s_cselect_b32 s11, s16, s11
	s_cselect_b32 s10, s1, s10
	;; [unrolled: 1-line block ×4, first 2 shown]
	s_delay_alu instid0(SALU_CYCLE_1) | instskip(NEXT) | instid1(VALU_DEP_1)
	v_cmp_lt_i64_e64 s1, s[10:11], s[12:13]
	s_and_b32 vcc_lo, exec_lo, s1
	s_cbranch_vccnz .LBB209_40
.LBB209_41:
	s_cmp_eq_u64 s[10:11], s[4:5]
	s_mov_b32 s1, 0
	s_cbranch_scc1 .LBB209_43
; %bb.42:
	s_lshl_b64 s[10:11], s[10:11], 1
	v_mov_b32_e32 v0, 0
	s_add_u32 s10, s6, s10
	s_addc_u32 s11, s7, s11
	global_load_u16 v0, v0, s[10:11]
	s_waitcnt vmcnt(0)
	v_cmp_gt_u16_e64 s1, 9, v0
.LBB209_43:
	s_delay_alu instid0(VALU_DEP_1)
	v_cndmask_b32_e64 v1, 0, 1, s1
	v_mov_b32_e32 v0, 0
	s_and_b32 vcc_lo, exec_lo, s0
	s_mov_b64 s[0:1], 0
	global_store_b8 v0, v1, s[2:3] offset:8
	s_cbranch_vccnz .LBB209_45
	.p2align	6
.LBB209_44:                             ; =>This Inner Loop Header: Depth=1
	s_sub_u32 s10, s8, s0
	s_subb_u32 s11, s9, s1
	s_delay_alu instid0(SALU_CYCLE_1) | instskip(NEXT) | instid1(SALU_CYCLE_1)
	s_lshr_b32 s12, s11, 31
	s_add_u32 s10, s10, s12
	s_addc_u32 s11, s11, 0
	s_delay_alu instid0(SALU_CYCLE_1) | instskip(NEXT) | instid1(SALU_CYCLE_1)
	s_ashr_i64 s[10:11], s[10:11], 1
	s_add_u32 s10, s10, s0
	s_addc_u32 s11, s11, s1
	s_delay_alu instid0(SALU_CYCLE_1) | instskip(NEXT) | instid1(SALU_CYCLE_1)
	s_lshl_b64 s[12:13], s[10:11], 1
	s_add_u32 s12, s6, s12
	s_addc_u32 s13, s7, s13
	global_load_u16 v1, v0, s[12:13]
	s_add_u32 s12, s10, 1
	s_addc_u32 s13, s11, 0
	s_waitcnt vmcnt(0)
	v_cmp_gt_u16_e32 vcc_lo, 9, v1
	s_and_b32 s14, vcc_lo, exec_lo
	s_cselect_b32 s1, s13, s1
	s_cselect_b32 s0, s12, s0
	;; [unrolled: 1-line block ×4, first 2 shown]
	s_delay_alu instid0(SALU_CYCLE_1) | instskip(NEXT) | instid1(VALU_DEP_1)
	v_cmp_lt_i64_e64 s10, s[0:1], s[8:9]
	s_and_b32 vcc_lo, exec_lo, s10
	s_cbranch_vccnz .LBB209_44
.LBB209_45:
	s_cmp_eq_u64 s[0:1], s[4:5]
	s_mov_b32 s4, 0
	s_cbranch_scc1 .LBB209_47
; %bb.46:
	s_lshl_b64 s[0:1], s[0:1], 1
	v_mov_b32_e32 v0, 0
	s_add_u32 s0, s6, s0
	s_addc_u32 s1, s7, s1
	global_load_u16 v0, v0, s[0:1]
	s_waitcnt vmcnt(0)
	v_cmp_gt_u16_e64 s4, 10, v0
.LBB209_47:
	v_mov_b32_e32 v0, 0
	s_delay_alu instid0(VALU_DEP_2)
	v_cndmask_b32_e64 v1, 0, 1, s4
	global_store_b8 v0, v1, s[2:3] offset:9
	s_nop 0
	s_sendmsg sendmsg(MSG_DEALLOC_VGPRS)
	s_endpgm
	.section	.rodata,"a",@progbits
	.p2align	6, 0x0
	.amdhsa_kernel _Z20binary_search_kernelItEvmPT_Pb
		.amdhsa_group_segment_fixed_size 0
		.amdhsa_private_segment_fixed_size 0
		.amdhsa_kernarg_size 24
		.amdhsa_user_sgpr_count 15
		.amdhsa_user_sgpr_dispatch_ptr 0
		.amdhsa_user_sgpr_queue_ptr 0
		.amdhsa_user_sgpr_kernarg_segment_ptr 1
		.amdhsa_user_sgpr_dispatch_id 0
		.amdhsa_user_sgpr_private_segment_size 0
		.amdhsa_wavefront_size32 1
		.amdhsa_uses_dynamic_stack 0
		.amdhsa_enable_private_segment 0
		.amdhsa_system_sgpr_workgroup_id_x 1
		.amdhsa_system_sgpr_workgroup_id_y 0
		.amdhsa_system_sgpr_workgroup_id_z 0
		.amdhsa_system_sgpr_workgroup_info 0
		.amdhsa_system_vgpr_workitem_id 0
		.amdhsa_next_free_vgpr 2
		.amdhsa_next_free_sgpr 18
		.amdhsa_reserve_vcc 1
		.amdhsa_float_round_mode_32 0
		.amdhsa_float_round_mode_16_64 0
		.amdhsa_float_denorm_mode_32 3
		.amdhsa_float_denorm_mode_16_64 3
		.amdhsa_dx10_clamp 1
		.amdhsa_ieee_mode 1
		.amdhsa_fp16_overflow 0
		.amdhsa_workgroup_processor_mode 1
		.amdhsa_memory_ordered 1
		.amdhsa_forward_progress 0
		.amdhsa_shared_vgpr_count 0
		.amdhsa_exception_fp_ieee_invalid_op 0
		.amdhsa_exception_fp_denorm_src 0
		.amdhsa_exception_fp_ieee_div_zero 0
		.amdhsa_exception_fp_ieee_overflow 0
		.amdhsa_exception_fp_ieee_underflow 0
		.amdhsa_exception_fp_ieee_inexact 0
		.amdhsa_exception_int_div_zero 0
	.end_amdhsa_kernel
	.section	.text._Z20binary_search_kernelItEvmPT_Pb,"axG",@progbits,_Z20binary_search_kernelItEvmPT_Pb,comdat
.Lfunc_end209:
	.size	_Z20binary_search_kernelItEvmPT_Pb, .Lfunc_end209-_Z20binary_search_kernelItEvmPT_Pb
                                        ; -- End function
	.section	.AMDGPU.csdata,"",@progbits
; Kernel info:
; codeLenInByte = 2040
; NumSgprs: 20
; NumVgprs: 2
; ScratchSize: 0
; MemoryBound: 0
; FloatMode: 240
; IeeeMode: 1
; LDSByteSize: 0 bytes/workgroup (compile time only)
; SGPRBlocks: 2
; VGPRBlocks: 0
; NumSGPRsForWavesPerEU: 20
; NumVGPRsForWavesPerEU: 2
; Occupancy: 16
; WaveLimiterHint : 0
; COMPUTE_PGM_RSRC2:SCRATCH_EN: 0
; COMPUTE_PGM_RSRC2:USER_SGPR: 15
; COMPUTE_PGM_RSRC2:TRAP_HANDLER: 0
; COMPUTE_PGM_RSRC2:TGID_X_EN: 1
; COMPUTE_PGM_RSRC2:TGID_Y_EN: 0
; COMPUTE_PGM_RSRC2:TGID_Z_EN: 0
; COMPUTE_PGM_RSRC2:TIDIG_COMP_CNT: 0
	.section	.text._ZN7rocprim17ROCPRIM_400000_NS6detail17trampoline_kernelINS0_14default_configENS1_29binary_search_config_selectorItbEEZNS1_14transform_implILb0ES3_S5_N6thrust23THRUST_200600_302600_NS17counting_iteratorItNS8_11use_defaultESA_SA_EEPbZNS1_13binary_searchIS3_S5_PtSB_SC_NS1_16binary_search_opENS8_6detail16wrapped_functionINS0_4lessIvEEbEEEE10hipError_tPvRmT1_T2_T3_mmT4_T5_P12ihipStream_tbEUlRKtE_EESL_SP_SQ_mSR_SU_bEUlT_E_NS1_11comp_targetILNS1_3genE0ELNS1_11target_archE4294967295ELNS1_3gpuE0ELNS1_3repE0EEENS1_30default_config_static_selectorELNS0_4arch9wavefront6targetE0EEEvSO_,"axG",@progbits,_ZN7rocprim17ROCPRIM_400000_NS6detail17trampoline_kernelINS0_14default_configENS1_29binary_search_config_selectorItbEEZNS1_14transform_implILb0ES3_S5_N6thrust23THRUST_200600_302600_NS17counting_iteratorItNS8_11use_defaultESA_SA_EEPbZNS1_13binary_searchIS3_S5_PtSB_SC_NS1_16binary_search_opENS8_6detail16wrapped_functionINS0_4lessIvEEbEEEE10hipError_tPvRmT1_T2_T3_mmT4_T5_P12ihipStream_tbEUlRKtE_EESL_SP_SQ_mSR_SU_bEUlT_E_NS1_11comp_targetILNS1_3genE0ELNS1_11target_archE4294967295ELNS1_3gpuE0ELNS1_3repE0EEENS1_30default_config_static_selectorELNS0_4arch9wavefront6targetE0EEEvSO_,comdat
	.protected	_ZN7rocprim17ROCPRIM_400000_NS6detail17trampoline_kernelINS0_14default_configENS1_29binary_search_config_selectorItbEEZNS1_14transform_implILb0ES3_S5_N6thrust23THRUST_200600_302600_NS17counting_iteratorItNS8_11use_defaultESA_SA_EEPbZNS1_13binary_searchIS3_S5_PtSB_SC_NS1_16binary_search_opENS8_6detail16wrapped_functionINS0_4lessIvEEbEEEE10hipError_tPvRmT1_T2_T3_mmT4_T5_P12ihipStream_tbEUlRKtE_EESL_SP_SQ_mSR_SU_bEUlT_E_NS1_11comp_targetILNS1_3genE0ELNS1_11target_archE4294967295ELNS1_3gpuE0ELNS1_3repE0EEENS1_30default_config_static_selectorELNS0_4arch9wavefront6targetE0EEEvSO_ ; -- Begin function _ZN7rocprim17ROCPRIM_400000_NS6detail17trampoline_kernelINS0_14default_configENS1_29binary_search_config_selectorItbEEZNS1_14transform_implILb0ES3_S5_N6thrust23THRUST_200600_302600_NS17counting_iteratorItNS8_11use_defaultESA_SA_EEPbZNS1_13binary_searchIS3_S5_PtSB_SC_NS1_16binary_search_opENS8_6detail16wrapped_functionINS0_4lessIvEEbEEEE10hipError_tPvRmT1_T2_T3_mmT4_T5_P12ihipStream_tbEUlRKtE_EESL_SP_SQ_mSR_SU_bEUlT_E_NS1_11comp_targetILNS1_3genE0ELNS1_11target_archE4294967295ELNS1_3gpuE0ELNS1_3repE0EEENS1_30default_config_static_selectorELNS0_4arch9wavefront6targetE0EEEvSO_
	.globl	_ZN7rocprim17ROCPRIM_400000_NS6detail17trampoline_kernelINS0_14default_configENS1_29binary_search_config_selectorItbEEZNS1_14transform_implILb0ES3_S5_N6thrust23THRUST_200600_302600_NS17counting_iteratorItNS8_11use_defaultESA_SA_EEPbZNS1_13binary_searchIS3_S5_PtSB_SC_NS1_16binary_search_opENS8_6detail16wrapped_functionINS0_4lessIvEEbEEEE10hipError_tPvRmT1_T2_T3_mmT4_T5_P12ihipStream_tbEUlRKtE_EESL_SP_SQ_mSR_SU_bEUlT_E_NS1_11comp_targetILNS1_3genE0ELNS1_11target_archE4294967295ELNS1_3gpuE0ELNS1_3repE0EEENS1_30default_config_static_selectorELNS0_4arch9wavefront6targetE0EEEvSO_
	.p2align	8
	.type	_ZN7rocprim17ROCPRIM_400000_NS6detail17trampoline_kernelINS0_14default_configENS1_29binary_search_config_selectorItbEEZNS1_14transform_implILb0ES3_S5_N6thrust23THRUST_200600_302600_NS17counting_iteratorItNS8_11use_defaultESA_SA_EEPbZNS1_13binary_searchIS3_S5_PtSB_SC_NS1_16binary_search_opENS8_6detail16wrapped_functionINS0_4lessIvEEbEEEE10hipError_tPvRmT1_T2_T3_mmT4_T5_P12ihipStream_tbEUlRKtE_EESL_SP_SQ_mSR_SU_bEUlT_E_NS1_11comp_targetILNS1_3genE0ELNS1_11target_archE4294967295ELNS1_3gpuE0ELNS1_3repE0EEENS1_30default_config_static_selectorELNS0_4arch9wavefront6targetE0EEEvSO_,@function
_ZN7rocprim17ROCPRIM_400000_NS6detail17trampoline_kernelINS0_14default_configENS1_29binary_search_config_selectorItbEEZNS1_14transform_implILb0ES3_S5_N6thrust23THRUST_200600_302600_NS17counting_iteratorItNS8_11use_defaultESA_SA_EEPbZNS1_13binary_searchIS3_S5_PtSB_SC_NS1_16binary_search_opENS8_6detail16wrapped_functionINS0_4lessIvEEbEEEE10hipError_tPvRmT1_T2_T3_mmT4_T5_P12ihipStream_tbEUlRKtE_EESL_SP_SQ_mSR_SU_bEUlT_E_NS1_11comp_targetILNS1_3genE0ELNS1_11target_archE4294967295ELNS1_3gpuE0ELNS1_3repE0EEENS1_30default_config_static_selectorELNS0_4arch9wavefront6targetE0EEEvSO_: ; @_ZN7rocprim17ROCPRIM_400000_NS6detail17trampoline_kernelINS0_14default_configENS1_29binary_search_config_selectorItbEEZNS1_14transform_implILb0ES3_S5_N6thrust23THRUST_200600_302600_NS17counting_iteratorItNS8_11use_defaultESA_SA_EEPbZNS1_13binary_searchIS3_S5_PtSB_SC_NS1_16binary_search_opENS8_6detail16wrapped_functionINS0_4lessIvEEbEEEE10hipError_tPvRmT1_T2_T3_mmT4_T5_P12ihipStream_tbEUlRKtE_EESL_SP_SQ_mSR_SU_bEUlT_E_NS1_11comp_targetILNS1_3genE0ELNS1_11target_archE4294967295ELNS1_3gpuE0ELNS1_3repE0EEENS1_30default_config_static_selectorELNS0_4arch9wavefront6targetE0EEEvSO_
; %bb.0:
	.section	.rodata,"a",@progbits
	.p2align	6, 0x0
	.amdhsa_kernel _ZN7rocprim17ROCPRIM_400000_NS6detail17trampoline_kernelINS0_14default_configENS1_29binary_search_config_selectorItbEEZNS1_14transform_implILb0ES3_S5_N6thrust23THRUST_200600_302600_NS17counting_iteratorItNS8_11use_defaultESA_SA_EEPbZNS1_13binary_searchIS3_S5_PtSB_SC_NS1_16binary_search_opENS8_6detail16wrapped_functionINS0_4lessIvEEbEEEE10hipError_tPvRmT1_T2_T3_mmT4_T5_P12ihipStream_tbEUlRKtE_EESL_SP_SQ_mSR_SU_bEUlT_E_NS1_11comp_targetILNS1_3genE0ELNS1_11target_archE4294967295ELNS1_3gpuE0ELNS1_3repE0EEENS1_30default_config_static_selectorELNS0_4arch9wavefront6targetE0EEEvSO_
		.amdhsa_group_segment_fixed_size 0
		.amdhsa_private_segment_fixed_size 0
		.amdhsa_kernarg_size 56
		.amdhsa_user_sgpr_count 15
		.amdhsa_user_sgpr_dispatch_ptr 0
		.amdhsa_user_sgpr_queue_ptr 0
		.amdhsa_user_sgpr_kernarg_segment_ptr 1
		.amdhsa_user_sgpr_dispatch_id 0
		.amdhsa_user_sgpr_private_segment_size 0
		.amdhsa_wavefront_size32 1
		.amdhsa_uses_dynamic_stack 0
		.amdhsa_enable_private_segment 0
		.amdhsa_system_sgpr_workgroup_id_x 1
		.amdhsa_system_sgpr_workgroup_id_y 0
		.amdhsa_system_sgpr_workgroup_id_z 0
		.amdhsa_system_sgpr_workgroup_info 0
		.amdhsa_system_vgpr_workitem_id 0
		.amdhsa_next_free_vgpr 1
		.amdhsa_next_free_sgpr 1
		.amdhsa_reserve_vcc 0
		.amdhsa_float_round_mode_32 0
		.amdhsa_float_round_mode_16_64 0
		.amdhsa_float_denorm_mode_32 3
		.amdhsa_float_denorm_mode_16_64 3
		.amdhsa_dx10_clamp 1
		.amdhsa_ieee_mode 1
		.amdhsa_fp16_overflow 0
		.amdhsa_workgroup_processor_mode 1
		.amdhsa_memory_ordered 1
		.amdhsa_forward_progress 0
		.amdhsa_shared_vgpr_count 0
		.amdhsa_exception_fp_ieee_invalid_op 0
		.amdhsa_exception_fp_denorm_src 0
		.amdhsa_exception_fp_ieee_div_zero 0
		.amdhsa_exception_fp_ieee_overflow 0
		.amdhsa_exception_fp_ieee_underflow 0
		.amdhsa_exception_fp_ieee_inexact 0
		.amdhsa_exception_int_div_zero 0
	.end_amdhsa_kernel
	.section	.text._ZN7rocprim17ROCPRIM_400000_NS6detail17trampoline_kernelINS0_14default_configENS1_29binary_search_config_selectorItbEEZNS1_14transform_implILb0ES3_S5_N6thrust23THRUST_200600_302600_NS17counting_iteratorItNS8_11use_defaultESA_SA_EEPbZNS1_13binary_searchIS3_S5_PtSB_SC_NS1_16binary_search_opENS8_6detail16wrapped_functionINS0_4lessIvEEbEEEE10hipError_tPvRmT1_T2_T3_mmT4_T5_P12ihipStream_tbEUlRKtE_EESL_SP_SQ_mSR_SU_bEUlT_E_NS1_11comp_targetILNS1_3genE0ELNS1_11target_archE4294967295ELNS1_3gpuE0ELNS1_3repE0EEENS1_30default_config_static_selectorELNS0_4arch9wavefront6targetE0EEEvSO_,"axG",@progbits,_ZN7rocprim17ROCPRIM_400000_NS6detail17trampoline_kernelINS0_14default_configENS1_29binary_search_config_selectorItbEEZNS1_14transform_implILb0ES3_S5_N6thrust23THRUST_200600_302600_NS17counting_iteratorItNS8_11use_defaultESA_SA_EEPbZNS1_13binary_searchIS3_S5_PtSB_SC_NS1_16binary_search_opENS8_6detail16wrapped_functionINS0_4lessIvEEbEEEE10hipError_tPvRmT1_T2_T3_mmT4_T5_P12ihipStream_tbEUlRKtE_EESL_SP_SQ_mSR_SU_bEUlT_E_NS1_11comp_targetILNS1_3genE0ELNS1_11target_archE4294967295ELNS1_3gpuE0ELNS1_3repE0EEENS1_30default_config_static_selectorELNS0_4arch9wavefront6targetE0EEEvSO_,comdat
.Lfunc_end210:
	.size	_ZN7rocprim17ROCPRIM_400000_NS6detail17trampoline_kernelINS0_14default_configENS1_29binary_search_config_selectorItbEEZNS1_14transform_implILb0ES3_S5_N6thrust23THRUST_200600_302600_NS17counting_iteratorItNS8_11use_defaultESA_SA_EEPbZNS1_13binary_searchIS3_S5_PtSB_SC_NS1_16binary_search_opENS8_6detail16wrapped_functionINS0_4lessIvEEbEEEE10hipError_tPvRmT1_T2_T3_mmT4_T5_P12ihipStream_tbEUlRKtE_EESL_SP_SQ_mSR_SU_bEUlT_E_NS1_11comp_targetILNS1_3genE0ELNS1_11target_archE4294967295ELNS1_3gpuE0ELNS1_3repE0EEENS1_30default_config_static_selectorELNS0_4arch9wavefront6targetE0EEEvSO_, .Lfunc_end210-_ZN7rocprim17ROCPRIM_400000_NS6detail17trampoline_kernelINS0_14default_configENS1_29binary_search_config_selectorItbEEZNS1_14transform_implILb0ES3_S5_N6thrust23THRUST_200600_302600_NS17counting_iteratorItNS8_11use_defaultESA_SA_EEPbZNS1_13binary_searchIS3_S5_PtSB_SC_NS1_16binary_search_opENS8_6detail16wrapped_functionINS0_4lessIvEEbEEEE10hipError_tPvRmT1_T2_T3_mmT4_T5_P12ihipStream_tbEUlRKtE_EESL_SP_SQ_mSR_SU_bEUlT_E_NS1_11comp_targetILNS1_3genE0ELNS1_11target_archE4294967295ELNS1_3gpuE0ELNS1_3repE0EEENS1_30default_config_static_selectorELNS0_4arch9wavefront6targetE0EEEvSO_
                                        ; -- End function
	.section	.AMDGPU.csdata,"",@progbits
; Kernel info:
; codeLenInByte = 0
; NumSgprs: 0
; NumVgprs: 0
; ScratchSize: 0
; MemoryBound: 0
; FloatMode: 240
; IeeeMode: 1
; LDSByteSize: 0 bytes/workgroup (compile time only)
; SGPRBlocks: 0
; VGPRBlocks: 0
; NumSGPRsForWavesPerEU: 1
; NumVGPRsForWavesPerEU: 1
; Occupancy: 16
; WaveLimiterHint : 0
; COMPUTE_PGM_RSRC2:SCRATCH_EN: 0
; COMPUTE_PGM_RSRC2:USER_SGPR: 15
; COMPUTE_PGM_RSRC2:TRAP_HANDLER: 0
; COMPUTE_PGM_RSRC2:TGID_X_EN: 1
; COMPUTE_PGM_RSRC2:TGID_Y_EN: 0
; COMPUTE_PGM_RSRC2:TGID_Z_EN: 0
; COMPUTE_PGM_RSRC2:TIDIG_COMP_CNT: 0
	.section	.text._ZN7rocprim17ROCPRIM_400000_NS6detail17trampoline_kernelINS0_14default_configENS1_29binary_search_config_selectorItbEEZNS1_14transform_implILb0ES3_S5_N6thrust23THRUST_200600_302600_NS17counting_iteratorItNS8_11use_defaultESA_SA_EEPbZNS1_13binary_searchIS3_S5_PtSB_SC_NS1_16binary_search_opENS8_6detail16wrapped_functionINS0_4lessIvEEbEEEE10hipError_tPvRmT1_T2_T3_mmT4_T5_P12ihipStream_tbEUlRKtE_EESL_SP_SQ_mSR_SU_bEUlT_E_NS1_11comp_targetILNS1_3genE5ELNS1_11target_archE942ELNS1_3gpuE9ELNS1_3repE0EEENS1_30default_config_static_selectorELNS0_4arch9wavefront6targetE0EEEvSO_,"axG",@progbits,_ZN7rocprim17ROCPRIM_400000_NS6detail17trampoline_kernelINS0_14default_configENS1_29binary_search_config_selectorItbEEZNS1_14transform_implILb0ES3_S5_N6thrust23THRUST_200600_302600_NS17counting_iteratorItNS8_11use_defaultESA_SA_EEPbZNS1_13binary_searchIS3_S5_PtSB_SC_NS1_16binary_search_opENS8_6detail16wrapped_functionINS0_4lessIvEEbEEEE10hipError_tPvRmT1_T2_T3_mmT4_T5_P12ihipStream_tbEUlRKtE_EESL_SP_SQ_mSR_SU_bEUlT_E_NS1_11comp_targetILNS1_3genE5ELNS1_11target_archE942ELNS1_3gpuE9ELNS1_3repE0EEENS1_30default_config_static_selectorELNS0_4arch9wavefront6targetE0EEEvSO_,comdat
	.protected	_ZN7rocprim17ROCPRIM_400000_NS6detail17trampoline_kernelINS0_14default_configENS1_29binary_search_config_selectorItbEEZNS1_14transform_implILb0ES3_S5_N6thrust23THRUST_200600_302600_NS17counting_iteratorItNS8_11use_defaultESA_SA_EEPbZNS1_13binary_searchIS3_S5_PtSB_SC_NS1_16binary_search_opENS8_6detail16wrapped_functionINS0_4lessIvEEbEEEE10hipError_tPvRmT1_T2_T3_mmT4_T5_P12ihipStream_tbEUlRKtE_EESL_SP_SQ_mSR_SU_bEUlT_E_NS1_11comp_targetILNS1_3genE5ELNS1_11target_archE942ELNS1_3gpuE9ELNS1_3repE0EEENS1_30default_config_static_selectorELNS0_4arch9wavefront6targetE0EEEvSO_ ; -- Begin function _ZN7rocprim17ROCPRIM_400000_NS6detail17trampoline_kernelINS0_14default_configENS1_29binary_search_config_selectorItbEEZNS1_14transform_implILb0ES3_S5_N6thrust23THRUST_200600_302600_NS17counting_iteratorItNS8_11use_defaultESA_SA_EEPbZNS1_13binary_searchIS3_S5_PtSB_SC_NS1_16binary_search_opENS8_6detail16wrapped_functionINS0_4lessIvEEbEEEE10hipError_tPvRmT1_T2_T3_mmT4_T5_P12ihipStream_tbEUlRKtE_EESL_SP_SQ_mSR_SU_bEUlT_E_NS1_11comp_targetILNS1_3genE5ELNS1_11target_archE942ELNS1_3gpuE9ELNS1_3repE0EEENS1_30default_config_static_selectorELNS0_4arch9wavefront6targetE0EEEvSO_
	.globl	_ZN7rocprim17ROCPRIM_400000_NS6detail17trampoline_kernelINS0_14default_configENS1_29binary_search_config_selectorItbEEZNS1_14transform_implILb0ES3_S5_N6thrust23THRUST_200600_302600_NS17counting_iteratorItNS8_11use_defaultESA_SA_EEPbZNS1_13binary_searchIS3_S5_PtSB_SC_NS1_16binary_search_opENS8_6detail16wrapped_functionINS0_4lessIvEEbEEEE10hipError_tPvRmT1_T2_T3_mmT4_T5_P12ihipStream_tbEUlRKtE_EESL_SP_SQ_mSR_SU_bEUlT_E_NS1_11comp_targetILNS1_3genE5ELNS1_11target_archE942ELNS1_3gpuE9ELNS1_3repE0EEENS1_30default_config_static_selectorELNS0_4arch9wavefront6targetE0EEEvSO_
	.p2align	8
	.type	_ZN7rocprim17ROCPRIM_400000_NS6detail17trampoline_kernelINS0_14default_configENS1_29binary_search_config_selectorItbEEZNS1_14transform_implILb0ES3_S5_N6thrust23THRUST_200600_302600_NS17counting_iteratorItNS8_11use_defaultESA_SA_EEPbZNS1_13binary_searchIS3_S5_PtSB_SC_NS1_16binary_search_opENS8_6detail16wrapped_functionINS0_4lessIvEEbEEEE10hipError_tPvRmT1_T2_T3_mmT4_T5_P12ihipStream_tbEUlRKtE_EESL_SP_SQ_mSR_SU_bEUlT_E_NS1_11comp_targetILNS1_3genE5ELNS1_11target_archE942ELNS1_3gpuE9ELNS1_3repE0EEENS1_30default_config_static_selectorELNS0_4arch9wavefront6targetE0EEEvSO_,@function
_ZN7rocprim17ROCPRIM_400000_NS6detail17trampoline_kernelINS0_14default_configENS1_29binary_search_config_selectorItbEEZNS1_14transform_implILb0ES3_S5_N6thrust23THRUST_200600_302600_NS17counting_iteratorItNS8_11use_defaultESA_SA_EEPbZNS1_13binary_searchIS3_S5_PtSB_SC_NS1_16binary_search_opENS8_6detail16wrapped_functionINS0_4lessIvEEbEEEE10hipError_tPvRmT1_T2_T3_mmT4_T5_P12ihipStream_tbEUlRKtE_EESL_SP_SQ_mSR_SU_bEUlT_E_NS1_11comp_targetILNS1_3genE5ELNS1_11target_archE942ELNS1_3gpuE9ELNS1_3repE0EEENS1_30default_config_static_selectorELNS0_4arch9wavefront6targetE0EEEvSO_: ; @_ZN7rocprim17ROCPRIM_400000_NS6detail17trampoline_kernelINS0_14default_configENS1_29binary_search_config_selectorItbEEZNS1_14transform_implILb0ES3_S5_N6thrust23THRUST_200600_302600_NS17counting_iteratorItNS8_11use_defaultESA_SA_EEPbZNS1_13binary_searchIS3_S5_PtSB_SC_NS1_16binary_search_opENS8_6detail16wrapped_functionINS0_4lessIvEEbEEEE10hipError_tPvRmT1_T2_T3_mmT4_T5_P12ihipStream_tbEUlRKtE_EESL_SP_SQ_mSR_SU_bEUlT_E_NS1_11comp_targetILNS1_3genE5ELNS1_11target_archE942ELNS1_3gpuE9ELNS1_3repE0EEENS1_30default_config_static_selectorELNS0_4arch9wavefront6targetE0EEEvSO_
; %bb.0:
	.section	.rodata,"a",@progbits
	.p2align	6, 0x0
	.amdhsa_kernel _ZN7rocprim17ROCPRIM_400000_NS6detail17trampoline_kernelINS0_14default_configENS1_29binary_search_config_selectorItbEEZNS1_14transform_implILb0ES3_S5_N6thrust23THRUST_200600_302600_NS17counting_iteratorItNS8_11use_defaultESA_SA_EEPbZNS1_13binary_searchIS3_S5_PtSB_SC_NS1_16binary_search_opENS8_6detail16wrapped_functionINS0_4lessIvEEbEEEE10hipError_tPvRmT1_T2_T3_mmT4_T5_P12ihipStream_tbEUlRKtE_EESL_SP_SQ_mSR_SU_bEUlT_E_NS1_11comp_targetILNS1_3genE5ELNS1_11target_archE942ELNS1_3gpuE9ELNS1_3repE0EEENS1_30default_config_static_selectorELNS0_4arch9wavefront6targetE0EEEvSO_
		.amdhsa_group_segment_fixed_size 0
		.amdhsa_private_segment_fixed_size 0
		.amdhsa_kernarg_size 56
		.amdhsa_user_sgpr_count 15
		.amdhsa_user_sgpr_dispatch_ptr 0
		.amdhsa_user_sgpr_queue_ptr 0
		.amdhsa_user_sgpr_kernarg_segment_ptr 1
		.amdhsa_user_sgpr_dispatch_id 0
		.amdhsa_user_sgpr_private_segment_size 0
		.amdhsa_wavefront_size32 1
		.amdhsa_uses_dynamic_stack 0
		.amdhsa_enable_private_segment 0
		.amdhsa_system_sgpr_workgroup_id_x 1
		.amdhsa_system_sgpr_workgroup_id_y 0
		.amdhsa_system_sgpr_workgroup_id_z 0
		.amdhsa_system_sgpr_workgroup_info 0
		.amdhsa_system_vgpr_workitem_id 0
		.amdhsa_next_free_vgpr 1
		.amdhsa_next_free_sgpr 1
		.amdhsa_reserve_vcc 0
		.amdhsa_float_round_mode_32 0
		.amdhsa_float_round_mode_16_64 0
		.amdhsa_float_denorm_mode_32 3
		.amdhsa_float_denorm_mode_16_64 3
		.amdhsa_dx10_clamp 1
		.amdhsa_ieee_mode 1
		.amdhsa_fp16_overflow 0
		.amdhsa_workgroup_processor_mode 1
		.amdhsa_memory_ordered 1
		.amdhsa_forward_progress 0
		.amdhsa_shared_vgpr_count 0
		.amdhsa_exception_fp_ieee_invalid_op 0
		.amdhsa_exception_fp_denorm_src 0
		.amdhsa_exception_fp_ieee_div_zero 0
		.amdhsa_exception_fp_ieee_overflow 0
		.amdhsa_exception_fp_ieee_underflow 0
		.amdhsa_exception_fp_ieee_inexact 0
		.amdhsa_exception_int_div_zero 0
	.end_amdhsa_kernel
	.section	.text._ZN7rocprim17ROCPRIM_400000_NS6detail17trampoline_kernelINS0_14default_configENS1_29binary_search_config_selectorItbEEZNS1_14transform_implILb0ES3_S5_N6thrust23THRUST_200600_302600_NS17counting_iteratorItNS8_11use_defaultESA_SA_EEPbZNS1_13binary_searchIS3_S5_PtSB_SC_NS1_16binary_search_opENS8_6detail16wrapped_functionINS0_4lessIvEEbEEEE10hipError_tPvRmT1_T2_T3_mmT4_T5_P12ihipStream_tbEUlRKtE_EESL_SP_SQ_mSR_SU_bEUlT_E_NS1_11comp_targetILNS1_3genE5ELNS1_11target_archE942ELNS1_3gpuE9ELNS1_3repE0EEENS1_30default_config_static_selectorELNS0_4arch9wavefront6targetE0EEEvSO_,"axG",@progbits,_ZN7rocprim17ROCPRIM_400000_NS6detail17trampoline_kernelINS0_14default_configENS1_29binary_search_config_selectorItbEEZNS1_14transform_implILb0ES3_S5_N6thrust23THRUST_200600_302600_NS17counting_iteratorItNS8_11use_defaultESA_SA_EEPbZNS1_13binary_searchIS3_S5_PtSB_SC_NS1_16binary_search_opENS8_6detail16wrapped_functionINS0_4lessIvEEbEEEE10hipError_tPvRmT1_T2_T3_mmT4_T5_P12ihipStream_tbEUlRKtE_EESL_SP_SQ_mSR_SU_bEUlT_E_NS1_11comp_targetILNS1_3genE5ELNS1_11target_archE942ELNS1_3gpuE9ELNS1_3repE0EEENS1_30default_config_static_selectorELNS0_4arch9wavefront6targetE0EEEvSO_,comdat
.Lfunc_end211:
	.size	_ZN7rocprim17ROCPRIM_400000_NS6detail17trampoline_kernelINS0_14default_configENS1_29binary_search_config_selectorItbEEZNS1_14transform_implILb0ES3_S5_N6thrust23THRUST_200600_302600_NS17counting_iteratorItNS8_11use_defaultESA_SA_EEPbZNS1_13binary_searchIS3_S5_PtSB_SC_NS1_16binary_search_opENS8_6detail16wrapped_functionINS0_4lessIvEEbEEEE10hipError_tPvRmT1_T2_T3_mmT4_T5_P12ihipStream_tbEUlRKtE_EESL_SP_SQ_mSR_SU_bEUlT_E_NS1_11comp_targetILNS1_3genE5ELNS1_11target_archE942ELNS1_3gpuE9ELNS1_3repE0EEENS1_30default_config_static_selectorELNS0_4arch9wavefront6targetE0EEEvSO_, .Lfunc_end211-_ZN7rocprim17ROCPRIM_400000_NS6detail17trampoline_kernelINS0_14default_configENS1_29binary_search_config_selectorItbEEZNS1_14transform_implILb0ES3_S5_N6thrust23THRUST_200600_302600_NS17counting_iteratorItNS8_11use_defaultESA_SA_EEPbZNS1_13binary_searchIS3_S5_PtSB_SC_NS1_16binary_search_opENS8_6detail16wrapped_functionINS0_4lessIvEEbEEEE10hipError_tPvRmT1_T2_T3_mmT4_T5_P12ihipStream_tbEUlRKtE_EESL_SP_SQ_mSR_SU_bEUlT_E_NS1_11comp_targetILNS1_3genE5ELNS1_11target_archE942ELNS1_3gpuE9ELNS1_3repE0EEENS1_30default_config_static_selectorELNS0_4arch9wavefront6targetE0EEEvSO_
                                        ; -- End function
	.section	.AMDGPU.csdata,"",@progbits
; Kernel info:
; codeLenInByte = 0
; NumSgprs: 0
; NumVgprs: 0
; ScratchSize: 0
; MemoryBound: 0
; FloatMode: 240
; IeeeMode: 1
; LDSByteSize: 0 bytes/workgroup (compile time only)
; SGPRBlocks: 0
; VGPRBlocks: 0
; NumSGPRsForWavesPerEU: 1
; NumVGPRsForWavesPerEU: 1
; Occupancy: 16
; WaveLimiterHint : 0
; COMPUTE_PGM_RSRC2:SCRATCH_EN: 0
; COMPUTE_PGM_RSRC2:USER_SGPR: 15
; COMPUTE_PGM_RSRC2:TRAP_HANDLER: 0
; COMPUTE_PGM_RSRC2:TGID_X_EN: 1
; COMPUTE_PGM_RSRC2:TGID_Y_EN: 0
; COMPUTE_PGM_RSRC2:TGID_Z_EN: 0
; COMPUTE_PGM_RSRC2:TIDIG_COMP_CNT: 0
	.section	.text._ZN7rocprim17ROCPRIM_400000_NS6detail17trampoline_kernelINS0_14default_configENS1_29binary_search_config_selectorItbEEZNS1_14transform_implILb0ES3_S5_N6thrust23THRUST_200600_302600_NS17counting_iteratorItNS8_11use_defaultESA_SA_EEPbZNS1_13binary_searchIS3_S5_PtSB_SC_NS1_16binary_search_opENS8_6detail16wrapped_functionINS0_4lessIvEEbEEEE10hipError_tPvRmT1_T2_T3_mmT4_T5_P12ihipStream_tbEUlRKtE_EESL_SP_SQ_mSR_SU_bEUlT_E_NS1_11comp_targetILNS1_3genE4ELNS1_11target_archE910ELNS1_3gpuE8ELNS1_3repE0EEENS1_30default_config_static_selectorELNS0_4arch9wavefront6targetE0EEEvSO_,"axG",@progbits,_ZN7rocprim17ROCPRIM_400000_NS6detail17trampoline_kernelINS0_14default_configENS1_29binary_search_config_selectorItbEEZNS1_14transform_implILb0ES3_S5_N6thrust23THRUST_200600_302600_NS17counting_iteratorItNS8_11use_defaultESA_SA_EEPbZNS1_13binary_searchIS3_S5_PtSB_SC_NS1_16binary_search_opENS8_6detail16wrapped_functionINS0_4lessIvEEbEEEE10hipError_tPvRmT1_T2_T3_mmT4_T5_P12ihipStream_tbEUlRKtE_EESL_SP_SQ_mSR_SU_bEUlT_E_NS1_11comp_targetILNS1_3genE4ELNS1_11target_archE910ELNS1_3gpuE8ELNS1_3repE0EEENS1_30default_config_static_selectorELNS0_4arch9wavefront6targetE0EEEvSO_,comdat
	.protected	_ZN7rocprim17ROCPRIM_400000_NS6detail17trampoline_kernelINS0_14default_configENS1_29binary_search_config_selectorItbEEZNS1_14transform_implILb0ES3_S5_N6thrust23THRUST_200600_302600_NS17counting_iteratorItNS8_11use_defaultESA_SA_EEPbZNS1_13binary_searchIS3_S5_PtSB_SC_NS1_16binary_search_opENS8_6detail16wrapped_functionINS0_4lessIvEEbEEEE10hipError_tPvRmT1_T2_T3_mmT4_T5_P12ihipStream_tbEUlRKtE_EESL_SP_SQ_mSR_SU_bEUlT_E_NS1_11comp_targetILNS1_3genE4ELNS1_11target_archE910ELNS1_3gpuE8ELNS1_3repE0EEENS1_30default_config_static_selectorELNS0_4arch9wavefront6targetE0EEEvSO_ ; -- Begin function _ZN7rocprim17ROCPRIM_400000_NS6detail17trampoline_kernelINS0_14default_configENS1_29binary_search_config_selectorItbEEZNS1_14transform_implILb0ES3_S5_N6thrust23THRUST_200600_302600_NS17counting_iteratorItNS8_11use_defaultESA_SA_EEPbZNS1_13binary_searchIS3_S5_PtSB_SC_NS1_16binary_search_opENS8_6detail16wrapped_functionINS0_4lessIvEEbEEEE10hipError_tPvRmT1_T2_T3_mmT4_T5_P12ihipStream_tbEUlRKtE_EESL_SP_SQ_mSR_SU_bEUlT_E_NS1_11comp_targetILNS1_3genE4ELNS1_11target_archE910ELNS1_3gpuE8ELNS1_3repE0EEENS1_30default_config_static_selectorELNS0_4arch9wavefront6targetE0EEEvSO_
	.globl	_ZN7rocprim17ROCPRIM_400000_NS6detail17trampoline_kernelINS0_14default_configENS1_29binary_search_config_selectorItbEEZNS1_14transform_implILb0ES3_S5_N6thrust23THRUST_200600_302600_NS17counting_iteratorItNS8_11use_defaultESA_SA_EEPbZNS1_13binary_searchIS3_S5_PtSB_SC_NS1_16binary_search_opENS8_6detail16wrapped_functionINS0_4lessIvEEbEEEE10hipError_tPvRmT1_T2_T3_mmT4_T5_P12ihipStream_tbEUlRKtE_EESL_SP_SQ_mSR_SU_bEUlT_E_NS1_11comp_targetILNS1_3genE4ELNS1_11target_archE910ELNS1_3gpuE8ELNS1_3repE0EEENS1_30default_config_static_selectorELNS0_4arch9wavefront6targetE0EEEvSO_
	.p2align	8
	.type	_ZN7rocprim17ROCPRIM_400000_NS6detail17trampoline_kernelINS0_14default_configENS1_29binary_search_config_selectorItbEEZNS1_14transform_implILb0ES3_S5_N6thrust23THRUST_200600_302600_NS17counting_iteratorItNS8_11use_defaultESA_SA_EEPbZNS1_13binary_searchIS3_S5_PtSB_SC_NS1_16binary_search_opENS8_6detail16wrapped_functionINS0_4lessIvEEbEEEE10hipError_tPvRmT1_T2_T3_mmT4_T5_P12ihipStream_tbEUlRKtE_EESL_SP_SQ_mSR_SU_bEUlT_E_NS1_11comp_targetILNS1_3genE4ELNS1_11target_archE910ELNS1_3gpuE8ELNS1_3repE0EEENS1_30default_config_static_selectorELNS0_4arch9wavefront6targetE0EEEvSO_,@function
_ZN7rocprim17ROCPRIM_400000_NS6detail17trampoline_kernelINS0_14default_configENS1_29binary_search_config_selectorItbEEZNS1_14transform_implILb0ES3_S5_N6thrust23THRUST_200600_302600_NS17counting_iteratorItNS8_11use_defaultESA_SA_EEPbZNS1_13binary_searchIS3_S5_PtSB_SC_NS1_16binary_search_opENS8_6detail16wrapped_functionINS0_4lessIvEEbEEEE10hipError_tPvRmT1_T2_T3_mmT4_T5_P12ihipStream_tbEUlRKtE_EESL_SP_SQ_mSR_SU_bEUlT_E_NS1_11comp_targetILNS1_3genE4ELNS1_11target_archE910ELNS1_3gpuE8ELNS1_3repE0EEENS1_30default_config_static_selectorELNS0_4arch9wavefront6targetE0EEEvSO_: ; @_ZN7rocprim17ROCPRIM_400000_NS6detail17trampoline_kernelINS0_14default_configENS1_29binary_search_config_selectorItbEEZNS1_14transform_implILb0ES3_S5_N6thrust23THRUST_200600_302600_NS17counting_iteratorItNS8_11use_defaultESA_SA_EEPbZNS1_13binary_searchIS3_S5_PtSB_SC_NS1_16binary_search_opENS8_6detail16wrapped_functionINS0_4lessIvEEbEEEE10hipError_tPvRmT1_T2_T3_mmT4_T5_P12ihipStream_tbEUlRKtE_EESL_SP_SQ_mSR_SU_bEUlT_E_NS1_11comp_targetILNS1_3genE4ELNS1_11target_archE910ELNS1_3gpuE8ELNS1_3repE0EEENS1_30default_config_static_selectorELNS0_4arch9wavefront6targetE0EEEvSO_
; %bb.0:
	.section	.rodata,"a",@progbits
	.p2align	6, 0x0
	.amdhsa_kernel _ZN7rocprim17ROCPRIM_400000_NS6detail17trampoline_kernelINS0_14default_configENS1_29binary_search_config_selectorItbEEZNS1_14transform_implILb0ES3_S5_N6thrust23THRUST_200600_302600_NS17counting_iteratorItNS8_11use_defaultESA_SA_EEPbZNS1_13binary_searchIS3_S5_PtSB_SC_NS1_16binary_search_opENS8_6detail16wrapped_functionINS0_4lessIvEEbEEEE10hipError_tPvRmT1_T2_T3_mmT4_T5_P12ihipStream_tbEUlRKtE_EESL_SP_SQ_mSR_SU_bEUlT_E_NS1_11comp_targetILNS1_3genE4ELNS1_11target_archE910ELNS1_3gpuE8ELNS1_3repE0EEENS1_30default_config_static_selectorELNS0_4arch9wavefront6targetE0EEEvSO_
		.amdhsa_group_segment_fixed_size 0
		.amdhsa_private_segment_fixed_size 0
		.amdhsa_kernarg_size 56
		.amdhsa_user_sgpr_count 15
		.amdhsa_user_sgpr_dispatch_ptr 0
		.amdhsa_user_sgpr_queue_ptr 0
		.amdhsa_user_sgpr_kernarg_segment_ptr 1
		.amdhsa_user_sgpr_dispatch_id 0
		.amdhsa_user_sgpr_private_segment_size 0
		.amdhsa_wavefront_size32 1
		.amdhsa_uses_dynamic_stack 0
		.amdhsa_enable_private_segment 0
		.amdhsa_system_sgpr_workgroup_id_x 1
		.amdhsa_system_sgpr_workgroup_id_y 0
		.amdhsa_system_sgpr_workgroup_id_z 0
		.amdhsa_system_sgpr_workgroup_info 0
		.amdhsa_system_vgpr_workitem_id 0
		.amdhsa_next_free_vgpr 1
		.amdhsa_next_free_sgpr 1
		.amdhsa_reserve_vcc 0
		.amdhsa_float_round_mode_32 0
		.amdhsa_float_round_mode_16_64 0
		.amdhsa_float_denorm_mode_32 3
		.amdhsa_float_denorm_mode_16_64 3
		.amdhsa_dx10_clamp 1
		.amdhsa_ieee_mode 1
		.amdhsa_fp16_overflow 0
		.amdhsa_workgroup_processor_mode 1
		.amdhsa_memory_ordered 1
		.amdhsa_forward_progress 0
		.amdhsa_shared_vgpr_count 0
		.amdhsa_exception_fp_ieee_invalid_op 0
		.amdhsa_exception_fp_denorm_src 0
		.amdhsa_exception_fp_ieee_div_zero 0
		.amdhsa_exception_fp_ieee_overflow 0
		.amdhsa_exception_fp_ieee_underflow 0
		.amdhsa_exception_fp_ieee_inexact 0
		.amdhsa_exception_int_div_zero 0
	.end_amdhsa_kernel
	.section	.text._ZN7rocprim17ROCPRIM_400000_NS6detail17trampoline_kernelINS0_14default_configENS1_29binary_search_config_selectorItbEEZNS1_14transform_implILb0ES3_S5_N6thrust23THRUST_200600_302600_NS17counting_iteratorItNS8_11use_defaultESA_SA_EEPbZNS1_13binary_searchIS3_S5_PtSB_SC_NS1_16binary_search_opENS8_6detail16wrapped_functionINS0_4lessIvEEbEEEE10hipError_tPvRmT1_T2_T3_mmT4_T5_P12ihipStream_tbEUlRKtE_EESL_SP_SQ_mSR_SU_bEUlT_E_NS1_11comp_targetILNS1_3genE4ELNS1_11target_archE910ELNS1_3gpuE8ELNS1_3repE0EEENS1_30default_config_static_selectorELNS0_4arch9wavefront6targetE0EEEvSO_,"axG",@progbits,_ZN7rocprim17ROCPRIM_400000_NS6detail17trampoline_kernelINS0_14default_configENS1_29binary_search_config_selectorItbEEZNS1_14transform_implILb0ES3_S5_N6thrust23THRUST_200600_302600_NS17counting_iteratorItNS8_11use_defaultESA_SA_EEPbZNS1_13binary_searchIS3_S5_PtSB_SC_NS1_16binary_search_opENS8_6detail16wrapped_functionINS0_4lessIvEEbEEEE10hipError_tPvRmT1_T2_T3_mmT4_T5_P12ihipStream_tbEUlRKtE_EESL_SP_SQ_mSR_SU_bEUlT_E_NS1_11comp_targetILNS1_3genE4ELNS1_11target_archE910ELNS1_3gpuE8ELNS1_3repE0EEENS1_30default_config_static_selectorELNS0_4arch9wavefront6targetE0EEEvSO_,comdat
.Lfunc_end212:
	.size	_ZN7rocprim17ROCPRIM_400000_NS6detail17trampoline_kernelINS0_14default_configENS1_29binary_search_config_selectorItbEEZNS1_14transform_implILb0ES3_S5_N6thrust23THRUST_200600_302600_NS17counting_iteratorItNS8_11use_defaultESA_SA_EEPbZNS1_13binary_searchIS3_S5_PtSB_SC_NS1_16binary_search_opENS8_6detail16wrapped_functionINS0_4lessIvEEbEEEE10hipError_tPvRmT1_T2_T3_mmT4_T5_P12ihipStream_tbEUlRKtE_EESL_SP_SQ_mSR_SU_bEUlT_E_NS1_11comp_targetILNS1_3genE4ELNS1_11target_archE910ELNS1_3gpuE8ELNS1_3repE0EEENS1_30default_config_static_selectorELNS0_4arch9wavefront6targetE0EEEvSO_, .Lfunc_end212-_ZN7rocprim17ROCPRIM_400000_NS6detail17trampoline_kernelINS0_14default_configENS1_29binary_search_config_selectorItbEEZNS1_14transform_implILb0ES3_S5_N6thrust23THRUST_200600_302600_NS17counting_iteratorItNS8_11use_defaultESA_SA_EEPbZNS1_13binary_searchIS3_S5_PtSB_SC_NS1_16binary_search_opENS8_6detail16wrapped_functionINS0_4lessIvEEbEEEE10hipError_tPvRmT1_T2_T3_mmT4_T5_P12ihipStream_tbEUlRKtE_EESL_SP_SQ_mSR_SU_bEUlT_E_NS1_11comp_targetILNS1_3genE4ELNS1_11target_archE910ELNS1_3gpuE8ELNS1_3repE0EEENS1_30default_config_static_selectorELNS0_4arch9wavefront6targetE0EEEvSO_
                                        ; -- End function
	.section	.AMDGPU.csdata,"",@progbits
; Kernel info:
; codeLenInByte = 0
; NumSgprs: 0
; NumVgprs: 0
; ScratchSize: 0
; MemoryBound: 0
; FloatMode: 240
; IeeeMode: 1
; LDSByteSize: 0 bytes/workgroup (compile time only)
; SGPRBlocks: 0
; VGPRBlocks: 0
; NumSGPRsForWavesPerEU: 1
; NumVGPRsForWavesPerEU: 1
; Occupancy: 16
; WaveLimiterHint : 0
; COMPUTE_PGM_RSRC2:SCRATCH_EN: 0
; COMPUTE_PGM_RSRC2:USER_SGPR: 15
; COMPUTE_PGM_RSRC2:TRAP_HANDLER: 0
; COMPUTE_PGM_RSRC2:TGID_X_EN: 1
; COMPUTE_PGM_RSRC2:TGID_Y_EN: 0
; COMPUTE_PGM_RSRC2:TGID_Z_EN: 0
; COMPUTE_PGM_RSRC2:TIDIG_COMP_CNT: 0
	.section	.text._ZN7rocprim17ROCPRIM_400000_NS6detail17trampoline_kernelINS0_14default_configENS1_29binary_search_config_selectorItbEEZNS1_14transform_implILb0ES3_S5_N6thrust23THRUST_200600_302600_NS17counting_iteratorItNS8_11use_defaultESA_SA_EEPbZNS1_13binary_searchIS3_S5_PtSB_SC_NS1_16binary_search_opENS8_6detail16wrapped_functionINS0_4lessIvEEbEEEE10hipError_tPvRmT1_T2_T3_mmT4_T5_P12ihipStream_tbEUlRKtE_EESL_SP_SQ_mSR_SU_bEUlT_E_NS1_11comp_targetILNS1_3genE3ELNS1_11target_archE908ELNS1_3gpuE7ELNS1_3repE0EEENS1_30default_config_static_selectorELNS0_4arch9wavefront6targetE0EEEvSO_,"axG",@progbits,_ZN7rocprim17ROCPRIM_400000_NS6detail17trampoline_kernelINS0_14default_configENS1_29binary_search_config_selectorItbEEZNS1_14transform_implILb0ES3_S5_N6thrust23THRUST_200600_302600_NS17counting_iteratorItNS8_11use_defaultESA_SA_EEPbZNS1_13binary_searchIS3_S5_PtSB_SC_NS1_16binary_search_opENS8_6detail16wrapped_functionINS0_4lessIvEEbEEEE10hipError_tPvRmT1_T2_T3_mmT4_T5_P12ihipStream_tbEUlRKtE_EESL_SP_SQ_mSR_SU_bEUlT_E_NS1_11comp_targetILNS1_3genE3ELNS1_11target_archE908ELNS1_3gpuE7ELNS1_3repE0EEENS1_30default_config_static_selectorELNS0_4arch9wavefront6targetE0EEEvSO_,comdat
	.protected	_ZN7rocprim17ROCPRIM_400000_NS6detail17trampoline_kernelINS0_14default_configENS1_29binary_search_config_selectorItbEEZNS1_14transform_implILb0ES3_S5_N6thrust23THRUST_200600_302600_NS17counting_iteratorItNS8_11use_defaultESA_SA_EEPbZNS1_13binary_searchIS3_S5_PtSB_SC_NS1_16binary_search_opENS8_6detail16wrapped_functionINS0_4lessIvEEbEEEE10hipError_tPvRmT1_T2_T3_mmT4_T5_P12ihipStream_tbEUlRKtE_EESL_SP_SQ_mSR_SU_bEUlT_E_NS1_11comp_targetILNS1_3genE3ELNS1_11target_archE908ELNS1_3gpuE7ELNS1_3repE0EEENS1_30default_config_static_selectorELNS0_4arch9wavefront6targetE0EEEvSO_ ; -- Begin function _ZN7rocprim17ROCPRIM_400000_NS6detail17trampoline_kernelINS0_14default_configENS1_29binary_search_config_selectorItbEEZNS1_14transform_implILb0ES3_S5_N6thrust23THRUST_200600_302600_NS17counting_iteratorItNS8_11use_defaultESA_SA_EEPbZNS1_13binary_searchIS3_S5_PtSB_SC_NS1_16binary_search_opENS8_6detail16wrapped_functionINS0_4lessIvEEbEEEE10hipError_tPvRmT1_T2_T3_mmT4_T5_P12ihipStream_tbEUlRKtE_EESL_SP_SQ_mSR_SU_bEUlT_E_NS1_11comp_targetILNS1_3genE3ELNS1_11target_archE908ELNS1_3gpuE7ELNS1_3repE0EEENS1_30default_config_static_selectorELNS0_4arch9wavefront6targetE0EEEvSO_
	.globl	_ZN7rocprim17ROCPRIM_400000_NS6detail17trampoline_kernelINS0_14default_configENS1_29binary_search_config_selectorItbEEZNS1_14transform_implILb0ES3_S5_N6thrust23THRUST_200600_302600_NS17counting_iteratorItNS8_11use_defaultESA_SA_EEPbZNS1_13binary_searchIS3_S5_PtSB_SC_NS1_16binary_search_opENS8_6detail16wrapped_functionINS0_4lessIvEEbEEEE10hipError_tPvRmT1_T2_T3_mmT4_T5_P12ihipStream_tbEUlRKtE_EESL_SP_SQ_mSR_SU_bEUlT_E_NS1_11comp_targetILNS1_3genE3ELNS1_11target_archE908ELNS1_3gpuE7ELNS1_3repE0EEENS1_30default_config_static_selectorELNS0_4arch9wavefront6targetE0EEEvSO_
	.p2align	8
	.type	_ZN7rocprim17ROCPRIM_400000_NS6detail17trampoline_kernelINS0_14default_configENS1_29binary_search_config_selectorItbEEZNS1_14transform_implILb0ES3_S5_N6thrust23THRUST_200600_302600_NS17counting_iteratorItNS8_11use_defaultESA_SA_EEPbZNS1_13binary_searchIS3_S5_PtSB_SC_NS1_16binary_search_opENS8_6detail16wrapped_functionINS0_4lessIvEEbEEEE10hipError_tPvRmT1_T2_T3_mmT4_T5_P12ihipStream_tbEUlRKtE_EESL_SP_SQ_mSR_SU_bEUlT_E_NS1_11comp_targetILNS1_3genE3ELNS1_11target_archE908ELNS1_3gpuE7ELNS1_3repE0EEENS1_30default_config_static_selectorELNS0_4arch9wavefront6targetE0EEEvSO_,@function
_ZN7rocprim17ROCPRIM_400000_NS6detail17trampoline_kernelINS0_14default_configENS1_29binary_search_config_selectorItbEEZNS1_14transform_implILb0ES3_S5_N6thrust23THRUST_200600_302600_NS17counting_iteratorItNS8_11use_defaultESA_SA_EEPbZNS1_13binary_searchIS3_S5_PtSB_SC_NS1_16binary_search_opENS8_6detail16wrapped_functionINS0_4lessIvEEbEEEE10hipError_tPvRmT1_T2_T3_mmT4_T5_P12ihipStream_tbEUlRKtE_EESL_SP_SQ_mSR_SU_bEUlT_E_NS1_11comp_targetILNS1_3genE3ELNS1_11target_archE908ELNS1_3gpuE7ELNS1_3repE0EEENS1_30default_config_static_selectorELNS0_4arch9wavefront6targetE0EEEvSO_: ; @_ZN7rocprim17ROCPRIM_400000_NS6detail17trampoline_kernelINS0_14default_configENS1_29binary_search_config_selectorItbEEZNS1_14transform_implILb0ES3_S5_N6thrust23THRUST_200600_302600_NS17counting_iteratorItNS8_11use_defaultESA_SA_EEPbZNS1_13binary_searchIS3_S5_PtSB_SC_NS1_16binary_search_opENS8_6detail16wrapped_functionINS0_4lessIvEEbEEEE10hipError_tPvRmT1_T2_T3_mmT4_T5_P12ihipStream_tbEUlRKtE_EESL_SP_SQ_mSR_SU_bEUlT_E_NS1_11comp_targetILNS1_3genE3ELNS1_11target_archE908ELNS1_3gpuE7ELNS1_3repE0EEENS1_30default_config_static_selectorELNS0_4arch9wavefront6targetE0EEEvSO_
; %bb.0:
	.section	.rodata,"a",@progbits
	.p2align	6, 0x0
	.amdhsa_kernel _ZN7rocprim17ROCPRIM_400000_NS6detail17trampoline_kernelINS0_14default_configENS1_29binary_search_config_selectorItbEEZNS1_14transform_implILb0ES3_S5_N6thrust23THRUST_200600_302600_NS17counting_iteratorItNS8_11use_defaultESA_SA_EEPbZNS1_13binary_searchIS3_S5_PtSB_SC_NS1_16binary_search_opENS8_6detail16wrapped_functionINS0_4lessIvEEbEEEE10hipError_tPvRmT1_T2_T3_mmT4_T5_P12ihipStream_tbEUlRKtE_EESL_SP_SQ_mSR_SU_bEUlT_E_NS1_11comp_targetILNS1_3genE3ELNS1_11target_archE908ELNS1_3gpuE7ELNS1_3repE0EEENS1_30default_config_static_selectorELNS0_4arch9wavefront6targetE0EEEvSO_
		.amdhsa_group_segment_fixed_size 0
		.amdhsa_private_segment_fixed_size 0
		.amdhsa_kernarg_size 56
		.amdhsa_user_sgpr_count 15
		.amdhsa_user_sgpr_dispatch_ptr 0
		.amdhsa_user_sgpr_queue_ptr 0
		.amdhsa_user_sgpr_kernarg_segment_ptr 1
		.amdhsa_user_sgpr_dispatch_id 0
		.amdhsa_user_sgpr_private_segment_size 0
		.amdhsa_wavefront_size32 1
		.amdhsa_uses_dynamic_stack 0
		.amdhsa_enable_private_segment 0
		.amdhsa_system_sgpr_workgroup_id_x 1
		.amdhsa_system_sgpr_workgroup_id_y 0
		.amdhsa_system_sgpr_workgroup_id_z 0
		.amdhsa_system_sgpr_workgroup_info 0
		.amdhsa_system_vgpr_workitem_id 0
		.amdhsa_next_free_vgpr 1
		.amdhsa_next_free_sgpr 1
		.amdhsa_reserve_vcc 0
		.amdhsa_float_round_mode_32 0
		.amdhsa_float_round_mode_16_64 0
		.amdhsa_float_denorm_mode_32 3
		.amdhsa_float_denorm_mode_16_64 3
		.amdhsa_dx10_clamp 1
		.amdhsa_ieee_mode 1
		.amdhsa_fp16_overflow 0
		.amdhsa_workgroup_processor_mode 1
		.amdhsa_memory_ordered 1
		.amdhsa_forward_progress 0
		.amdhsa_shared_vgpr_count 0
		.amdhsa_exception_fp_ieee_invalid_op 0
		.amdhsa_exception_fp_denorm_src 0
		.amdhsa_exception_fp_ieee_div_zero 0
		.amdhsa_exception_fp_ieee_overflow 0
		.amdhsa_exception_fp_ieee_underflow 0
		.amdhsa_exception_fp_ieee_inexact 0
		.amdhsa_exception_int_div_zero 0
	.end_amdhsa_kernel
	.section	.text._ZN7rocprim17ROCPRIM_400000_NS6detail17trampoline_kernelINS0_14default_configENS1_29binary_search_config_selectorItbEEZNS1_14transform_implILb0ES3_S5_N6thrust23THRUST_200600_302600_NS17counting_iteratorItNS8_11use_defaultESA_SA_EEPbZNS1_13binary_searchIS3_S5_PtSB_SC_NS1_16binary_search_opENS8_6detail16wrapped_functionINS0_4lessIvEEbEEEE10hipError_tPvRmT1_T2_T3_mmT4_T5_P12ihipStream_tbEUlRKtE_EESL_SP_SQ_mSR_SU_bEUlT_E_NS1_11comp_targetILNS1_3genE3ELNS1_11target_archE908ELNS1_3gpuE7ELNS1_3repE0EEENS1_30default_config_static_selectorELNS0_4arch9wavefront6targetE0EEEvSO_,"axG",@progbits,_ZN7rocprim17ROCPRIM_400000_NS6detail17trampoline_kernelINS0_14default_configENS1_29binary_search_config_selectorItbEEZNS1_14transform_implILb0ES3_S5_N6thrust23THRUST_200600_302600_NS17counting_iteratorItNS8_11use_defaultESA_SA_EEPbZNS1_13binary_searchIS3_S5_PtSB_SC_NS1_16binary_search_opENS8_6detail16wrapped_functionINS0_4lessIvEEbEEEE10hipError_tPvRmT1_T2_T3_mmT4_T5_P12ihipStream_tbEUlRKtE_EESL_SP_SQ_mSR_SU_bEUlT_E_NS1_11comp_targetILNS1_3genE3ELNS1_11target_archE908ELNS1_3gpuE7ELNS1_3repE0EEENS1_30default_config_static_selectorELNS0_4arch9wavefront6targetE0EEEvSO_,comdat
.Lfunc_end213:
	.size	_ZN7rocprim17ROCPRIM_400000_NS6detail17trampoline_kernelINS0_14default_configENS1_29binary_search_config_selectorItbEEZNS1_14transform_implILb0ES3_S5_N6thrust23THRUST_200600_302600_NS17counting_iteratorItNS8_11use_defaultESA_SA_EEPbZNS1_13binary_searchIS3_S5_PtSB_SC_NS1_16binary_search_opENS8_6detail16wrapped_functionINS0_4lessIvEEbEEEE10hipError_tPvRmT1_T2_T3_mmT4_T5_P12ihipStream_tbEUlRKtE_EESL_SP_SQ_mSR_SU_bEUlT_E_NS1_11comp_targetILNS1_3genE3ELNS1_11target_archE908ELNS1_3gpuE7ELNS1_3repE0EEENS1_30default_config_static_selectorELNS0_4arch9wavefront6targetE0EEEvSO_, .Lfunc_end213-_ZN7rocprim17ROCPRIM_400000_NS6detail17trampoline_kernelINS0_14default_configENS1_29binary_search_config_selectorItbEEZNS1_14transform_implILb0ES3_S5_N6thrust23THRUST_200600_302600_NS17counting_iteratorItNS8_11use_defaultESA_SA_EEPbZNS1_13binary_searchIS3_S5_PtSB_SC_NS1_16binary_search_opENS8_6detail16wrapped_functionINS0_4lessIvEEbEEEE10hipError_tPvRmT1_T2_T3_mmT4_T5_P12ihipStream_tbEUlRKtE_EESL_SP_SQ_mSR_SU_bEUlT_E_NS1_11comp_targetILNS1_3genE3ELNS1_11target_archE908ELNS1_3gpuE7ELNS1_3repE0EEENS1_30default_config_static_selectorELNS0_4arch9wavefront6targetE0EEEvSO_
                                        ; -- End function
	.section	.AMDGPU.csdata,"",@progbits
; Kernel info:
; codeLenInByte = 0
; NumSgprs: 0
; NumVgprs: 0
; ScratchSize: 0
; MemoryBound: 0
; FloatMode: 240
; IeeeMode: 1
; LDSByteSize: 0 bytes/workgroup (compile time only)
; SGPRBlocks: 0
; VGPRBlocks: 0
; NumSGPRsForWavesPerEU: 1
; NumVGPRsForWavesPerEU: 1
; Occupancy: 16
; WaveLimiterHint : 0
; COMPUTE_PGM_RSRC2:SCRATCH_EN: 0
; COMPUTE_PGM_RSRC2:USER_SGPR: 15
; COMPUTE_PGM_RSRC2:TRAP_HANDLER: 0
; COMPUTE_PGM_RSRC2:TGID_X_EN: 1
; COMPUTE_PGM_RSRC2:TGID_Y_EN: 0
; COMPUTE_PGM_RSRC2:TGID_Z_EN: 0
; COMPUTE_PGM_RSRC2:TIDIG_COMP_CNT: 0
	.section	.text._ZN7rocprim17ROCPRIM_400000_NS6detail17trampoline_kernelINS0_14default_configENS1_29binary_search_config_selectorItbEEZNS1_14transform_implILb0ES3_S5_N6thrust23THRUST_200600_302600_NS17counting_iteratorItNS8_11use_defaultESA_SA_EEPbZNS1_13binary_searchIS3_S5_PtSB_SC_NS1_16binary_search_opENS8_6detail16wrapped_functionINS0_4lessIvEEbEEEE10hipError_tPvRmT1_T2_T3_mmT4_T5_P12ihipStream_tbEUlRKtE_EESL_SP_SQ_mSR_SU_bEUlT_E_NS1_11comp_targetILNS1_3genE2ELNS1_11target_archE906ELNS1_3gpuE6ELNS1_3repE0EEENS1_30default_config_static_selectorELNS0_4arch9wavefront6targetE0EEEvSO_,"axG",@progbits,_ZN7rocprim17ROCPRIM_400000_NS6detail17trampoline_kernelINS0_14default_configENS1_29binary_search_config_selectorItbEEZNS1_14transform_implILb0ES3_S5_N6thrust23THRUST_200600_302600_NS17counting_iteratorItNS8_11use_defaultESA_SA_EEPbZNS1_13binary_searchIS3_S5_PtSB_SC_NS1_16binary_search_opENS8_6detail16wrapped_functionINS0_4lessIvEEbEEEE10hipError_tPvRmT1_T2_T3_mmT4_T5_P12ihipStream_tbEUlRKtE_EESL_SP_SQ_mSR_SU_bEUlT_E_NS1_11comp_targetILNS1_3genE2ELNS1_11target_archE906ELNS1_3gpuE6ELNS1_3repE0EEENS1_30default_config_static_selectorELNS0_4arch9wavefront6targetE0EEEvSO_,comdat
	.protected	_ZN7rocprim17ROCPRIM_400000_NS6detail17trampoline_kernelINS0_14default_configENS1_29binary_search_config_selectorItbEEZNS1_14transform_implILb0ES3_S5_N6thrust23THRUST_200600_302600_NS17counting_iteratorItNS8_11use_defaultESA_SA_EEPbZNS1_13binary_searchIS3_S5_PtSB_SC_NS1_16binary_search_opENS8_6detail16wrapped_functionINS0_4lessIvEEbEEEE10hipError_tPvRmT1_T2_T3_mmT4_T5_P12ihipStream_tbEUlRKtE_EESL_SP_SQ_mSR_SU_bEUlT_E_NS1_11comp_targetILNS1_3genE2ELNS1_11target_archE906ELNS1_3gpuE6ELNS1_3repE0EEENS1_30default_config_static_selectorELNS0_4arch9wavefront6targetE0EEEvSO_ ; -- Begin function _ZN7rocprim17ROCPRIM_400000_NS6detail17trampoline_kernelINS0_14default_configENS1_29binary_search_config_selectorItbEEZNS1_14transform_implILb0ES3_S5_N6thrust23THRUST_200600_302600_NS17counting_iteratorItNS8_11use_defaultESA_SA_EEPbZNS1_13binary_searchIS3_S5_PtSB_SC_NS1_16binary_search_opENS8_6detail16wrapped_functionINS0_4lessIvEEbEEEE10hipError_tPvRmT1_T2_T3_mmT4_T5_P12ihipStream_tbEUlRKtE_EESL_SP_SQ_mSR_SU_bEUlT_E_NS1_11comp_targetILNS1_3genE2ELNS1_11target_archE906ELNS1_3gpuE6ELNS1_3repE0EEENS1_30default_config_static_selectorELNS0_4arch9wavefront6targetE0EEEvSO_
	.globl	_ZN7rocprim17ROCPRIM_400000_NS6detail17trampoline_kernelINS0_14default_configENS1_29binary_search_config_selectorItbEEZNS1_14transform_implILb0ES3_S5_N6thrust23THRUST_200600_302600_NS17counting_iteratorItNS8_11use_defaultESA_SA_EEPbZNS1_13binary_searchIS3_S5_PtSB_SC_NS1_16binary_search_opENS8_6detail16wrapped_functionINS0_4lessIvEEbEEEE10hipError_tPvRmT1_T2_T3_mmT4_T5_P12ihipStream_tbEUlRKtE_EESL_SP_SQ_mSR_SU_bEUlT_E_NS1_11comp_targetILNS1_3genE2ELNS1_11target_archE906ELNS1_3gpuE6ELNS1_3repE0EEENS1_30default_config_static_selectorELNS0_4arch9wavefront6targetE0EEEvSO_
	.p2align	8
	.type	_ZN7rocprim17ROCPRIM_400000_NS6detail17trampoline_kernelINS0_14default_configENS1_29binary_search_config_selectorItbEEZNS1_14transform_implILb0ES3_S5_N6thrust23THRUST_200600_302600_NS17counting_iteratorItNS8_11use_defaultESA_SA_EEPbZNS1_13binary_searchIS3_S5_PtSB_SC_NS1_16binary_search_opENS8_6detail16wrapped_functionINS0_4lessIvEEbEEEE10hipError_tPvRmT1_T2_T3_mmT4_T5_P12ihipStream_tbEUlRKtE_EESL_SP_SQ_mSR_SU_bEUlT_E_NS1_11comp_targetILNS1_3genE2ELNS1_11target_archE906ELNS1_3gpuE6ELNS1_3repE0EEENS1_30default_config_static_selectorELNS0_4arch9wavefront6targetE0EEEvSO_,@function
_ZN7rocprim17ROCPRIM_400000_NS6detail17trampoline_kernelINS0_14default_configENS1_29binary_search_config_selectorItbEEZNS1_14transform_implILb0ES3_S5_N6thrust23THRUST_200600_302600_NS17counting_iteratorItNS8_11use_defaultESA_SA_EEPbZNS1_13binary_searchIS3_S5_PtSB_SC_NS1_16binary_search_opENS8_6detail16wrapped_functionINS0_4lessIvEEbEEEE10hipError_tPvRmT1_T2_T3_mmT4_T5_P12ihipStream_tbEUlRKtE_EESL_SP_SQ_mSR_SU_bEUlT_E_NS1_11comp_targetILNS1_3genE2ELNS1_11target_archE906ELNS1_3gpuE6ELNS1_3repE0EEENS1_30default_config_static_selectorELNS0_4arch9wavefront6targetE0EEEvSO_: ; @_ZN7rocprim17ROCPRIM_400000_NS6detail17trampoline_kernelINS0_14default_configENS1_29binary_search_config_selectorItbEEZNS1_14transform_implILb0ES3_S5_N6thrust23THRUST_200600_302600_NS17counting_iteratorItNS8_11use_defaultESA_SA_EEPbZNS1_13binary_searchIS3_S5_PtSB_SC_NS1_16binary_search_opENS8_6detail16wrapped_functionINS0_4lessIvEEbEEEE10hipError_tPvRmT1_T2_T3_mmT4_T5_P12ihipStream_tbEUlRKtE_EESL_SP_SQ_mSR_SU_bEUlT_E_NS1_11comp_targetILNS1_3genE2ELNS1_11target_archE906ELNS1_3gpuE6ELNS1_3repE0EEENS1_30default_config_static_selectorELNS0_4arch9wavefront6targetE0EEEvSO_
; %bb.0:
	.section	.rodata,"a",@progbits
	.p2align	6, 0x0
	.amdhsa_kernel _ZN7rocprim17ROCPRIM_400000_NS6detail17trampoline_kernelINS0_14default_configENS1_29binary_search_config_selectorItbEEZNS1_14transform_implILb0ES3_S5_N6thrust23THRUST_200600_302600_NS17counting_iteratorItNS8_11use_defaultESA_SA_EEPbZNS1_13binary_searchIS3_S5_PtSB_SC_NS1_16binary_search_opENS8_6detail16wrapped_functionINS0_4lessIvEEbEEEE10hipError_tPvRmT1_T2_T3_mmT4_T5_P12ihipStream_tbEUlRKtE_EESL_SP_SQ_mSR_SU_bEUlT_E_NS1_11comp_targetILNS1_3genE2ELNS1_11target_archE906ELNS1_3gpuE6ELNS1_3repE0EEENS1_30default_config_static_selectorELNS0_4arch9wavefront6targetE0EEEvSO_
		.amdhsa_group_segment_fixed_size 0
		.amdhsa_private_segment_fixed_size 0
		.amdhsa_kernarg_size 56
		.amdhsa_user_sgpr_count 15
		.amdhsa_user_sgpr_dispatch_ptr 0
		.amdhsa_user_sgpr_queue_ptr 0
		.amdhsa_user_sgpr_kernarg_segment_ptr 1
		.amdhsa_user_sgpr_dispatch_id 0
		.amdhsa_user_sgpr_private_segment_size 0
		.amdhsa_wavefront_size32 1
		.amdhsa_uses_dynamic_stack 0
		.amdhsa_enable_private_segment 0
		.amdhsa_system_sgpr_workgroup_id_x 1
		.amdhsa_system_sgpr_workgroup_id_y 0
		.amdhsa_system_sgpr_workgroup_id_z 0
		.amdhsa_system_sgpr_workgroup_info 0
		.amdhsa_system_vgpr_workitem_id 0
		.amdhsa_next_free_vgpr 1
		.amdhsa_next_free_sgpr 1
		.amdhsa_reserve_vcc 0
		.amdhsa_float_round_mode_32 0
		.amdhsa_float_round_mode_16_64 0
		.amdhsa_float_denorm_mode_32 3
		.amdhsa_float_denorm_mode_16_64 3
		.amdhsa_dx10_clamp 1
		.amdhsa_ieee_mode 1
		.amdhsa_fp16_overflow 0
		.amdhsa_workgroup_processor_mode 1
		.amdhsa_memory_ordered 1
		.amdhsa_forward_progress 0
		.amdhsa_shared_vgpr_count 0
		.amdhsa_exception_fp_ieee_invalid_op 0
		.amdhsa_exception_fp_denorm_src 0
		.amdhsa_exception_fp_ieee_div_zero 0
		.amdhsa_exception_fp_ieee_overflow 0
		.amdhsa_exception_fp_ieee_underflow 0
		.amdhsa_exception_fp_ieee_inexact 0
		.amdhsa_exception_int_div_zero 0
	.end_amdhsa_kernel
	.section	.text._ZN7rocprim17ROCPRIM_400000_NS6detail17trampoline_kernelINS0_14default_configENS1_29binary_search_config_selectorItbEEZNS1_14transform_implILb0ES3_S5_N6thrust23THRUST_200600_302600_NS17counting_iteratorItNS8_11use_defaultESA_SA_EEPbZNS1_13binary_searchIS3_S5_PtSB_SC_NS1_16binary_search_opENS8_6detail16wrapped_functionINS0_4lessIvEEbEEEE10hipError_tPvRmT1_T2_T3_mmT4_T5_P12ihipStream_tbEUlRKtE_EESL_SP_SQ_mSR_SU_bEUlT_E_NS1_11comp_targetILNS1_3genE2ELNS1_11target_archE906ELNS1_3gpuE6ELNS1_3repE0EEENS1_30default_config_static_selectorELNS0_4arch9wavefront6targetE0EEEvSO_,"axG",@progbits,_ZN7rocprim17ROCPRIM_400000_NS6detail17trampoline_kernelINS0_14default_configENS1_29binary_search_config_selectorItbEEZNS1_14transform_implILb0ES3_S5_N6thrust23THRUST_200600_302600_NS17counting_iteratorItNS8_11use_defaultESA_SA_EEPbZNS1_13binary_searchIS3_S5_PtSB_SC_NS1_16binary_search_opENS8_6detail16wrapped_functionINS0_4lessIvEEbEEEE10hipError_tPvRmT1_T2_T3_mmT4_T5_P12ihipStream_tbEUlRKtE_EESL_SP_SQ_mSR_SU_bEUlT_E_NS1_11comp_targetILNS1_3genE2ELNS1_11target_archE906ELNS1_3gpuE6ELNS1_3repE0EEENS1_30default_config_static_selectorELNS0_4arch9wavefront6targetE0EEEvSO_,comdat
.Lfunc_end214:
	.size	_ZN7rocprim17ROCPRIM_400000_NS6detail17trampoline_kernelINS0_14default_configENS1_29binary_search_config_selectorItbEEZNS1_14transform_implILb0ES3_S5_N6thrust23THRUST_200600_302600_NS17counting_iteratorItNS8_11use_defaultESA_SA_EEPbZNS1_13binary_searchIS3_S5_PtSB_SC_NS1_16binary_search_opENS8_6detail16wrapped_functionINS0_4lessIvEEbEEEE10hipError_tPvRmT1_T2_T3_mmT4_T5_P12ihipStream_tbEUlRKtE_EESL_SP_SQ_mSR_SU_bEUlT_E_NS1_11comp_targetILNS1_3genE2ELNS1_11target_archE906ELNS1_3gpuE6ELNS1_3repE0EEENS1_30default_config_static_selectorELNS0_4arch9wavefront6targetE0EEEvSO_, .Lfunc_end214-_ZN7rocprim17ROCPRIM_400000_NS6detail17trampoline_kernelINS0_14default_configENS1_29binary_search_config_selectorItbEEZNS1_14transform_implILb0ES3_S5_N6thrust23THRUST_200600_302600_NS17counting_iteratorItNS8_11use_defaultESA_SA_EEPbZNS1_13binary_searchIS3_S5_PtSB_SC_NS1_16binary_search_opENS8_6detail16wrapped_functionINS0_4lessIvEEbEEEE10hipError_tPvRmT1_T2_T3_mmT4_T5_P12ihipStream_tbEUlRKtE_EESL_SP_SQ_mSR_SU_bEUlT_E_NS1_11comp_targetILNS1_3genE2ELNS1_11target_archE906ELNS1_3gpuE6ELNS1_3repE0EEENS1_30default_config_static_selectorELNS0_4arch9wavefront6targetE0EEEvSO_
                                        ; -- End function
	.section	.AMDGPU.csdata,"",@progbits
; Kernel info:
; codeLenInByte = 0
; NumSgprs: 0
; NumVgprs: 0
; ScratchSize: 0
; MemoryBound: 0
; FloatMode: 240
; IeeeMode: 1
; LDSByteSize: 0 bytes/workgroup (compile time only)
; SGPRBlocks: 0
; VGPRBlocks: 0
; NumSGPRsForWavesPerEU: 1
; NumVGPRsForWavesPerEU: 1
; Occupancy: 16
; WaveLimiterHint : 0
; COMPUTE_PGM_RSRC2:SCRATCH_EN: 0
; COMPUTE_PGM_RSRC2:USER_SGPR: 15
; COMPUTE_PGM_RSRC2:TRAP_HANDLER: 0
; COMPUTE_PGM_RSRC2:TGID_X_EN: 1
; COMPUTE_PGM_RSRC2:TGID_Y_EN: 0
; COMPUTE_PGM_RSRC2:TGID_Z_EN: 0
; COMPUTE_PGM_RSRC2:TIDIG_COMP_CNT: 0
	.section	.text._ZN7rocprim17ROCPRIM_400000_NS6detail17trampoline_kernelINS0_14default_configENS1_29binary_search_config_selectorItbEEZNS1_14transform_implILb0ES3_S5_N6thrust23THRUST_200600_302600_NS17counting_iteratorItNS8_11use_defaultESA_SA_EEPbZNS1_13binary_searchIS3_S5_PtSB_SC_NS1_16binary_search_opENS8_6detail16wrapped_functionINS0_4lessIvEEbEEEE10hipError_tPvRmT1_T2_T3_mmT4_T5_P12ihipStream_tbEUlRKtE_EESL_SP_SQ_mSR_SU_bEUlT_E_NS1_11comp_targetILNS1_3genE10ELNS1_11target_archE1201ELNS1_3gpuE5ELNS1_3repE0EEENS1_30default_config_static_selectorELNS0_4arch9wavefront6targetE0EEEvSO_,"axG",@progbits,_ZN7rocprim17ROCPRIM_400000_NS6detail17trampoline_kernelINS0_14default_configENS1_29binary_search_config_selectorItbEEZNS1_14transform_implILb0ES3_S5_N6thrust23THRUST_200600_302600_NS17counting_iteratorItNS8_11use_defaultESA_SA_EEPbZNS1_13binary_searchIS3_S5_PtSB_SC_NS1_16binary_search_opENS8_6detail16wrapped_functionINS0_4lessIvEEbEEEE10hipError_tPvRmT1_T2_T3_mmT4_T5_P12ihipStream_tbEUlRKtE_EESL_SP_SQ_mSR_SU_bEUlT_E_NS1_11comp_targetILNS1_3genE10ELNS1_11target_archE1201ELNS1_3gpuE5ELNS1_3repE0EEENS1_30default_config_static_selectorELNS0_4arch9wavefront6targetE0EEEvSO_,comdat
	.protected	_ZN7rocprim17ROCPRIM_400000_NS6detail17trampoline_kernelINS0_14default_configENS1_29binary_search_config_selectorItbEEZNS1_14transform_implILb0ES3_S5_N6thrust23THRUST_200600_302600_NS17counting_iteratorItNS8_11use_defaultESA_SA_EEPbZNS1_13binary_searchIS3_S5_PtSB_SC_NS1_16binary_search_opENS8_6detail16wrapped_functionINS0_4lessIvEEbEEEE10hipError_tPvRmT1_T2_T3_mmT4_T5_P12ihipStream_tbEUlRKtE_EESL_SP_SQ_mSR_SU_bEUlT_E_NS1_11comp_targetILNS1_3genE10ELNS1_11target_archE1201ELNS1_3gpuE5ELNS1_3repE0EEENS1_30default_config_static_selectorELNS0_4arch9wavefront6targetE0EEEvSO_ ; -- Begin function _ZN7rocprim17ROCPRIM_400000_NS6detail17trampoline_kernelINS0_14default_configENS1_29binary_search_config_selectorItbEEZNS1_14transform_implILb0ES3_S5_N6thrust23THRUST_200600_302600_NS17counting_iteratorItNS8_11use_defaultESA_SA_EEPbZNS1_13binary_searchIS3_S5_PtSB_SC_NS1_16binary_search_opENS8_6detail16wrapped_functionINS0_4lessIvEEbEEEE10hipError_tPvRmT1_T2_T3_mmT4_T5_P12ihipStream_tbEUlRKtE_EESL_SP_SQ_mSR_SU_bEUlT_E_NS1_11comp_targetILNS1_3genE10ELNS1_11target_archE1201ELNS1_3gpuE5ELNS1_3repE0EEENS1_30default_config_static_selectorELNS0_4arch9wavefront6targetE0EEEvSO_
	.globl	_ZN7rocprim17ROCPRIM_400000_NS6detail17trampoline_kernelINS0_14default_configENS1_29binary_search_config_selectorItbEEZNS1_14transform_implILb0ES3_S5_N6thrust23THRUST_200600_302600_NS17counting_iteratorItNS8_11use_defaultESA_SA_EEPbZNS1_13binary_searchIS3_S5_PtSB_SC_NS1_16binary_search_opENS8_6detail16wrapped_functionINS0_4lessIvEEbEEEE10hipError_tPvRmT1_T2_T3_mmT4_T5_P12ihipStream_tbEUlRKtE_EESL_SP_SQ_mSR_SU_bEUlT_E_NS1_11comp_targetILNS1_3genE10ELNS1_11target_archE1201ELNS1_3gpuE5ELNS1_3repE0EEENS1_30default_config_static_selectorELNS0_4arch9wavefront6targetE0EEEvSO_
	.p2align	8
	.type	_ZN7rocprim17ROCPRIM_400000_NS6detail17trampoline_kernelINS0_14default_configENS1_29binary_search_config_selectorItbEEZNS1_14transform_implILb0ES3_S5_N6thrust23THRUST_200600_302600_NS17counting_iteratorItNS8_11use_defaultESA_SA_EEPbZNS1_13binary_searchIS3_S5_PtSB_SC_NS1_16binary_search_opENS8_6detail16wrapped_functionINS0_4lessIvEEbEEEE10hipError_tPvRmT1_T2_T3_mmT4_T5_P12ihipStream_tbEUlRKtE_EESL_SP_SQ_mSR_SU_bEUlT_E_NS1_11comp_targetILNS1_3genE10ELNS1_11target_archE1201ELNS1_3gpuE5ELNS1_3repE0EEENS1_30default_config_static_selectorELNS0_4arch9wavefront6targetE0EEEvSO_,@function
_ZN7rocprim17ROCPRIM_400000_NS6detail17trampoline_kernelINS0_14default_configENS1_29binary_search_config_selectorItbEEZNS1_14transform_implILb0ES3_S5_N6thrust23THRUST_200600_302600_NS17counting_iteratorItNS8_11use_defaultESA_SA_EEPbZNS1_13binary_searchIS3_S5_PtSB_SC_NS1_16binary_search_opENS8_6detail16wrapped_functionINS0_4lessIvEEbEEEE10hipError_tPvRmT1_T2_T3_mmT4_T5_P12ihipStream_tbEUlRKtE_EESL_SP_SQ_mSR_SU_bEUlT_E_NS1_11comp_targetILNS1_3genE10ELNS1_11target_archE1201ELNS1_3gpuE5ELNS1_3repE0EEENS1_30default_config_static_selectorELNS0_4arch9wavefront6targetE0EEEvSO_: ; @_ZN7rocprim17ROCPRIM_400000_NS6detail17trampoline_kernelINS0_14default_configENS1_29binary_search_config_selectorItbEEZNS1_14transform_implILb0ES3_S5_N6thrust23THRUST_200600_302600_NS17counting_iteratorItNS8_11use_defaultESA_SA_EEPbZNS1_13binary_searchIS3_S5_PtSB_SC_NS1_16binary_search_opENS8_6detail16wrapped_functionINS0_4lessIvEEbEEEE10hipError_tPvRmT1_T2_T3_mmT4_T5_P12ihipStream_tbEUlRKtE_EESL_SP_SQ_mSR_SU_bEUlT_E_NS1_11comp_targetILNS1_3genE10ELNS1_11target_archE1201ELNS1_3gpuE5ELNS1_3repE0EEENS1_30default_config_static_selectorELNS0_4arch9wavefront6targetE0EEEvSO_
; %bb.0:
	.section	.rodata,"a",@progbits
	.p2align	6, 0x0
	.amdhsa_kernel _ZN7rocprim17ROCPRIM_400000_NS6detail17trampoline_kernelINS0_14default_configENS1_29binary_search_config_selectorItbEEZNS1_14transform_implILb0ES3_S5_N6thrust23THRUST_200600_302600_NS17counting_iteratorItNS8_11use_defaultESA_SA_EEPbZNS1_13binary_searchIS3_S5_PtSB_SC_NS1_16binary_search_opENS8_6detail16wrapped_functionINS0_4lessIvEEbEEEE10hipError_tPvRmT1_T2_T3_mmT4_T5_P12ihipStream_tbEUlRKtE_EESL_SP_SQ_mSR_SU_bEUlT_E_NS1_11comp_targetILNS1_3genE10ELNS1_11target_archE1201ELNS1_3gpuE5ELNS1_3repE0EEENS1_30default_config_static_selectorELNS0_4arch9wavefront6targetE0EEEvSO_
		.amdhsa_group_segment_fixed_size 0
		.amdhsa_private_segment_fixed_size 0
		.amdhsa_kernarg_size 56
		.amdhsa_user_sgpr_count 15
		.amdhsa_user_sgpr_dispatch_ptr 0
		.amdhsa_user_sgpr_queue_ptr 0
		.amdhsa_user_sgpr_kernarg_segment_ptr 1
		.amdhsa_user_sgpr_dispatch_id 0
		.amdhsa_user_sgpr_private_segment_size 0
		.amdhsa_wavefront_size32 1
		.amdhsa_uses_dynamic_stack 0
		.amdhsa_enable_private_segment 0
		.amdhsa_system_sgpr_workgroup_id_x 1
		.amdhsa_system_sgpr_workgroup_id_y 0
		.amdhsa_system_sgpr_workgroup_id_z 0
		.amdhsa_system_sgpr_workgroup_info 0
		.amdhsa_system_vgpr_workitem_id 0
		.amdhsa_next_free_vgpr 1
		.amdhsa_next_free_sgpr 1
		.amdhsa_reserve_vcc 0
		.amdhsa_float_round_mode_32 0
		.amdhsa_float_round_mode_16_64 0
		.amdhsa_float_denorm_mode_32 3
		.amdhsa_float_denorm_mode_16_64 3
		.amdhsa_dx10_clamp 1
		.amdhsa_ieee_mode 1
		.amdhsa_fp16_overflow 0
		.amdhsa_workgroup_processor_mode 1
		.amdhsa_memory_ordered 1
		.amdhsa_forward_progress 0
		.amdhsa_shared_vgpr_count 0
		.amdhsa_exception_fp_ieee_invalid_op 0
		.amdhsa_exception_fp_denorm_src 0
		.amdhsa_exception_fp_ieee_div_zero 0
		.amdhsa_exception_fp_ieee_overflow 0
		.amdhsa_exception_fp_ieee_underflow 0
		.amdhsa_exception_fp_ieee_inexact 0
		.amdhsa_exception_int_div_zero 0
	.end_amdhsa_kernel
	.section	.text._ZN7rocprim17ROCPRIM_400000_NS6detail17trampoline_kernelINS0_14default_configENS1_29binary_search_config_selectorItbEEZNS1_14transform_implILb0ES3_S5_N6thrust23THRUST_200600_302600_NS17counting_iteratorItNS8_11use_defaultESA_SA_EEPbZNS1_13binary_searchIS3_S5_PtSB_SC_NS1_16binary_search_opENS8_6detail16wrapped_functionINS0_4lessIvEEbEEEE10hipError_tPvRmT1_T2_T3_mmT4_T5_P12ihipStream_tbEUlRKtE_EESL_SP_SQ_mSR_SU_bEUlT_E_NS1_11comp_targetILNS1_3genE10ELNS1_11target_archE1201ELNS1_3gpuE5ELNS1_3repE0EEENS1_30default_config_static_selectorELNS0_4arch9wavefront6targetE0EEEvSO_,"axG",@progbits,_ZN7rocprim17ROCPRIM_400000_NS6detail17trampoline_kernelINS0_14default_configENS1_29binary_search_config_selectorItbEEZNS1_14transform_implILb0ES3_S5_N6thrust23THRUST_200600_302600_NS17counting_iteratorItNS8_11use_defaultESA_SA_EEPbZNS1_13binary_searchIS3_S5_PtSB_SC_NS1_16binary_search_opENS8_6detail16wrapped_functionINS0_4lessIvEEbEEEE10hipError_tPvRmT1_T2_T3_mmT4_T5_P12ihipStream_tbEUlRKtE_EESL_SP_SQ_mSR_SU_bEUlT_E_NS1_11comp_targetILNS1_3genE10ELNS1_11target_archE1201ELNS1_3gpuE5ELNS1_3repE0EEENS1_30default_config_static_selectorELNS0_4arch9wavefront6targetE0EEEvSO_,comdat
.Lfunc_end215:
	.size	_ZN7rocprim17ROCPRIM_400000_NS6detail17trampoline_kernelINS0_14default_configENS1_29binary_search_config_selectorItbEEZNS1_14transform_implILb0ES3_S5_N6thrust23THRUST_200600_302600_NS17counting_iteratorItNS8_11use_defaultESA_SA_EEPbZNS1_13binary_searchIS3_S5_PtSB_SC_NS1_16binary_search_opENS8_6detail16wrapped_functionINS0_4lessIvEEbEEEE10hipError_tPvRmT1_T2_T3_mmT4_T5_P12ihipStream_tbEUlRKtE_EESL_SP_SQ_mSR_SU_bEUlT_E_NS1_11comp_targetILNS1_3genE10ELNS1_11target_archE1201ELNS1_3gpuE5ELNS1_3repE0EEENS1_30default_config_static_selectorELNS0_4arch9wavefront6targetE0EEEvSO_, .Lfunc_end215-_ZN7rocprim17ROCPRIM_400000_NS6detail17trampoline_kernelINS0_14default_configENS1_29binary_search_config_selectorItbEEZNS1_14transform_implILb0ES3_S5_N6thrust23THRUST_200600_302600_NS17counting_iteratorItNS8_11use_defaultESA_SA_EEPbZNS1_13binary_searchIS3_S5_PtSB_SC_NS1_16binary_search_opENS8_6detail16wrapped_functionINS0_4lessIvEEbEEEE10hipError_tPvRmT1_T2_T3_mmT4_T5_P12ihipStream_tbEUlRKtE_EESL_SP_SQ_mSR_SU_bEUlT_E_NS1_11comp_targetILNS1_3genE10ELNS1_11target_archE1201ELNS1_3gpuE5ELNS1_3repE0EEENS1_30default_config_static_selectorELNS0_4arch9wavefront6targetE0EEEvSO_
                                        ; -- End function
	.section	.AMDGPU.csdata,"",@progbits
; Kernel info:
; codeLenInByte = 0
; NumSgprs: 0
; NumVgprs: 0
; ScratchSize: 0
; MemoryBound: 0
; FloatMode: 240
; IeeeMode: 1
; LDSByteSize: 0 bytes/workgroup (compile time only)
; SGPRBlocks: 0
; VGPRBlocks: 0
; NumSGPRsForWavesPerEU: 1
; NumVGPRsForWavesPerEU: 1
; Occupancy: 16
; WaveLimiterHint : 0
; COMPUTE_PGM_RSRC2:SCRATCH_EN: 0
; COMPUTE_PGM_RSRC2:USER_SGPR: 15
; COMPUTE_PGM_RSRC2:TRAP_HANDLER: 0
; COMPUTE_PGM_RSRC2:TGID_X_EN: 1
; COMPUTE_PGM_RSRC2:TGID_Y_EN: 0
; COMPUTE_PGM_RSRC2:TGID_Z_EN: 0
; COMPUTE_PGM_RSRC2:TIDIG_COMP_CNT: 0
	.section	.text._ZN7rocprim17ROCPRIM_400000_NS6detail17trampoline_kernelINS0_14default_configENS1_29binary_search_config_selectorItbEEZNS1_14transform_implILb0ES3_S5_N6thrust23THRUST_200600_302600_NS17counting_iteratorItNS8_11use_defaultESA_SA_EEPbZNS1_13binary_searchIS3_S5_PtSB_SC_NS1_16binary_search_opENS8_6detail16wrapped_functionINS0_4lessIvEEbEEEE10hipError_tPvRmT1_T2_T3_mmT4_T5_P12ihipStream_tbEUlRKtE_EESL_SP_SQ_mSR_SU_bEUlT_E_NS1_11comp_targetILNS1_3genE10ELNS1_11target_archE1200ELNS1_3gpuE4ELNS1_3repE0EEENS1_30default_config_static_selectorELNS0_4arch9wavefront6targetE0EEEvSO_,"axG",@progbits,_ZN7rocprim17ROCPRIM_400000_NS6detail17trampoline_kernelINS0_14default_configENS1_29binary_search_config_selectorItbEEZNS1_14transform_implILb0ES3_S5_N6thrust23THRUST_200600_302600_NS17counting_iteratorItNS8_11use_defaultESA_SA_EEPbZNS1_13binary_searchIS3_S5_PtSB_SC_NS1_16binary_search_opENS8_6detail16wrapped_functionINS0_4lessIvEEbEEEE10hipError_tPvRmT1_T2_T3_mmT4_T5_P12ihipStream_tbEUlRKtE_EESL_SP_SQ_mSR_SU_bEUlT_E_NS1_11comp_targetILNS1_3genE10ELNS1_11target_archE1200ELNS1_3gpuE4ELNS1_3repE0EEENS1_30default_config_static_selectorELNS0_4arch9wavefront6targetE0EEEvSO_,comdat
	.protected	_ZN7rocprim17ROCPRIM_400000_NS6detail17trampoline_kernelINS0_14default_configENS1_29binary_search_config_selectorItbEEZNS1_14transform_implILb0ES3_S5_N6thrust23THRUST_200600_302600_NS17counting_iteratorItNS8_11use_defaultESA_SA_EEPbZNS1_13binary_searchIS3_S5_PtSB_SC_NS1_16binary_search_opENS8_6detail16wrapped_functionINS0_4lessIvEEbEEEE10hipError_tPvRmT1_T2_T3_mmT4_T5_P12ihipStream_tbEUlRKtE_EESL_SP_SQ_mSR_SU_bEUlT_E_NS1_11comp_targetILNS1_3genE10ELNS1_11target_archE1200ELNS1_3gpuE4ELNS1_3repE0EEENS1_30default_config_static_selectorELNS0_4arch9wavefront6targetE0EEEvSO_ ; -- Begin function _ZN7rocprim17ROCPRIM_400000_NS6detail17trampoline_kernelINS0_14default_configENS1_29binary_search_config_selectorItbEEZNS1_14transform_implILb0ES3_S5_N6thrust23THRUST_200600_302600_NS17counting_iteratorItNS8_11use_defaultESA_SA_EEPbZNS1_13binary_searchIS3_S5_PtSB_SC_NS1_16binary_search_opENS8_6detail16wrapped_functionINS0_4lessIvEEbEEEE10hipError_tPvRmT1_T2_T3_mmT4_T5_P12ihipStream_tbEUlRKtE_EESL_SP_SQ_mSR_SU_bEUlT_E_NS1_11comp_targetILNS1_3genE10ELNS1_11target_archE1200ELNS1_3gpuE4ELNS1_3repE0EEENS1_30default_config_static_selectorELNS0_4arch9wavefront6targetE0EEEvSO_
	.globl	_ZN7rocprim17ROCPRIM_400000_NS6detail17trampoline_kernelINS0_14default_configENS1_29binary_search_config_selectorItbEEZNS1_14transform_implILb0ES3_S5_N6thrust23THRUST_200600_302600_NS17counting_iteratorItNS8_11use_defaultESA_SA_EEPbZNS1_13binary_searchIS3_S5_PtSB_SC_NS1_16binary_search_opENS8_6detail16wrapped_functionINS0_4lessIvEEbEEEE10hipError_tPvRmT1_T2_T3_mmT4_T5_P12ihipStream_tbEUlRKtE_EESL_SP_SQ_mSR_SU_bEUlT_E_NS1_11comp_targetILNS1_3genE10ELNS1_11target_archE1200ELNS1_3gpuE4ELNS1_3repE0EEENS1_30default_config_static_selectorELNS0_4arch9wavefront6targetE0EEEvSO_
	.p2align	8
	.type	_ZN7rocprim17ROCPRIM_400000_NS6detail17trampoline_kernelINS0_14default_configENS1_29binary_search_config_selectorItbEEZNS1_14transform_implILb0ES3_S5_N6thrust23THRUST_200600_302600_NS17counting_iteratorItNS8_11use_defaultESA_SA_EEPbZNS1_13binary_searchIS3_S5_PtSB_SC_NS1_16binary_search_opENS8_6detail16wrapped_functionINS0_4lessIvEEbEEEE10hipError_tPvRmT1_T2_T3_mmT4_T5_P12ihipStream_tbEUlRKtE_EESL_SP_SQ_mSR_SU_bEUlT_E_NS1_11comp_targetILNS1_3genE10ELNS1_11target_archE1200ELNS1_3gpuE4ELNS1_3repE0EEENS1_30default_config_static_selectorELNS0_4arch9wavefront6targetE0EEEvSO_,@function
_ZN7rocprim17ROCPRIM_400000_NS6detail17trampoline_kernelINS0_14default_configENS1_29binary_search_config_selectorItbEEZNS1_14transform_implILb0ES3_S5_N6thrust23THRUST_200600_302600_NS17counting_iteratorItNS8_11use_defaultESA_SA_EEPbZNS1_13binary_searchIS3_S5_PtSB_SC_NS1_16binary_search_opENS8_6detail16wrapped_functionINS0_4lessIvEEbEEEE10hipError_tPvRmT1_T2_T3_mmT4_T5_P12ihipStream_tbEUlRKtE_EESL_SP_SQ_mSR_SU_bEUlT_E_NS1_11comp_targetILNS1_3genE10ELNS1_11target_archE1200ELNS1_3gpuE4ELNS1_3repE0EEENS1_30default_config_static_selectorELNS0_4arch9wavefront6targetE0EEEvSO_: ; @_ZN7rocprim17ROCPRIM_400000_NS6detail17trampoline_kernelINS0_14default_configENS1_29binary_search_config_selectorItbEEZNS1_14transform_implILb0ES3_S5_N6thrust23THRUST_200600_302600_NS17counting_iteratorItNS8_11use_defaultESA_SA_EEPbZNS1_13binary_searchIS3_S5_PtSB_SC_NS1_16binary_search_opENS8_6detail16wrapped_functionINS0_4lessIvEEbEEEE10hipError_tPvRmT1_T2_T3_mmT4_T5_P12ihipStream_tbEUlRKtE_EESL_SP_SQ_mSR_SU_bEUlT_E_NS1_11comp_targetILNS1_3genE10ELNS1_11target_archE1200ELNS1_3gpuE4ELNS1_3repE0EEENS1_30default_config_static_selectorELNS0_4arch9wavefront6targetE0EEEvSO_
; %bb.0:
	.section	.rodata,"a",@progbits
	.p2align	6, 0x0
	.amdhsa_kernel _ZN7rocprim17ROCPRIM_400000_NS6detail17trampoline_kernelINS0_14default_configENS1_29binary_search_config_selectorItbEEZNS1_14transform_implILb0ES3_S5_N6thrust23THRUST_200600_302600_NS17counting_iteratorItNS8_11use_defaultESA_SA_EEPbZNS1_13binary_searchIS3_S5_PtSB_SC_NS1_16binary_search_opENS8_6detail16wrapped_functionINS0_4lessIvEEbEEEE10hipError_tPvRmT1_T2_T3_mmT4_T5_P12ihipStream_tbEUlRKtE_EESL_SP_SQ_mSR_SU_bEUlT_E_NS1_11comp_targetILNS1_3genE10ELNS1_11target_archE1200ELNS1_3gpuE4ELNS1_3repE0EEENS1_30default_config_static_selectorELNS0_4arch9wavefront6targetE0EEEvSO_
		.amdhsa_group_segment_fixed_size 0
		.amdhsa_private_segment_fixed_size 0
		.amdhsa_kernarg_size 56
		.amdhsa_user_sgpr_count 15
		.amdhsa_user_sgpr_dispatch_ptr 0
		.amdhsa_user_sgpr_queue_ptr 0
		.amdhsa_user_sgpr_kernarg_segment_ptr 1
		.amdhsa_user_sgpr_dispatch_id 0
		.amdhsa_user_sgpr_private_segment_size 0
		.amdhsa_wavefront_size32 1
		.amdhsa_uses_dynamic_stack 0
		.amdhsa_enable_private_segment 0
		.amdhsa_system_sgpr_workgroup_id_x 1
		.amdhsa_system_sgpr_workgroup_id_y 0
		.amdhsa_system_sgpr_workgroup_id_z 0
		.amdhsa_system_sgpr_workgroup_info 0
		.amdhsa_system_vgpr_workitem_id 0
		.amdhsa_next_free_vgpr 1
		.amdhsa_next_free_sgpr 1
		.amdhsa_reserve_vcc 0
		.amdhsa_float_round_mode_32 0
		.amdhsa_float_round_mode_16_64 0
		.amdhsa_float_denorm_mode_32 3
		.amdhsa_float_denorm_mode_16_64 3
		.amdhsa_dx10_clamp 1
		.amdhsa_ieee_mode 1
		.amdhsa_fp16_overflow 0
		.amdhsa_workgroup_processor_mode 1
		.amdhsa_memory_ordered 1
		.amdhsa_forward_progress 0
		.amdhsa_shared_vgpr_count 0
		.amdhsa_exception_fp_ieee_invalid_op 0
		.amdhsa_exception_fp_denorm_src 0
		.amdhsa_exception_fp_ieee_div_zero 0
		.amdhsa_exception_fp_ieee_overflow 0
		.amdhsa_exception_fp_ieee_underflow 0
		.amdhsa_exception_fp_ieee_inexact 0
		.amdhsa_exception_int_div_zero 0
	.end_amdhsa_kernel
	.section	.text._ZN7rocprim17ROCPRIM_400000_NS6detail17trampoline_kernelINS0_14default_configENS1_29binary_search_config_selectorItbEEZNS1_14transform_implILb0ES3_S5_N6thrust23THRUST_200600_302600_NS17counting_iteratorItNS8_11use_defaultESA_SA_EEPbZNS1_13binary_searchIS3_S5_PtSB_SC_NS1_16binary_search_opENS8_6detail16wrapped_functionINS0_4lessIvEEbEEEE10hipError_tPvRmT1_T2_T3_mmT4_T5_P12ihipStream_tbEUlRKtE_EESL_SP_SQ_mSR_SU_bEUlT_E_NS1_11comp_targetILNS1_3genE10ELNS1_11target_archE1200ELNS1_3gpuE4ELNS1_3repE0EEENS1_30default_config_static_selectorELNS0_4arch9wavefront6targetE0EEEvSO_,"axG",@progbits,_ZN7rocprim17ROCPRIM_400000_NS6detail17trampoline_kernelINS0_14default_configENS1_29binary_search_config_selectorItbEEZNS1_14transform_implILb0ES3_S5_N6thrust23THRUST_200600_302600_NS17counting_iteratorItNS8_11use_defaultESA_SA_EEPbZNS1_13binary_searchIS3_S5_PtSB_SC_NS1_16binary_search_opENS8_6detail16wrapped_functionINS0_4lessIvEEbEEEE10hipError_tPvRmT1_T2_T3_mmT4_T5_P12ihipStream_tbEUlRKtE_EESL_SP_SQ_mSR_SU_bEUlT_E_NS1_11comp_targetILNS1_3genE10ELNS1_11target_archE1200ELNS1_3gpuE4ELNS1_3repE0EEENS1_30default_config_static_selectorELNS0_4arch9wavefront6targetE0EEEvSO_,comdat
.Lfunc_end216:
	.size	_ZN7rocprim17ROCPRIM_400000_NS6detail17trampoline_kernelINS0_14default_configENS1_29binary_search_config_selectorItbEEZNS1_14transform_implILb0ES3_S5_N6thrust23THRUST_200600_302600_NS17counting_iteratorItNS8_11use_defaultESA_SA_EEPbZNS1_13binary_searchIS3_S5_PtSB_SC_NS1_16binary_search_opENS8_6detail16wrapped_functionINS0_4lessIvEEbEEEE10hipError_tPvRmT1_T2_T3_mmT4_T5_P12ihipStream_tbEUlRKtE_EESL_SP_SQ_mSR_SU_bEUlT_E_NS1_11comp_targetILNS1_3genE10ELNS1_11target_archE1200ELNS1_3gpuE4ELNS1_3repE0EEENS1_30default_config_static_selectorELNS0_4arch9wavefront6targetE0EEEvSO_, .Lfunc_end216-_ZN7rocprim17ROCPRIM_400000_NS6detail17trampoline_kernelINS0_14default_configENS1_29binary_search_config_selectorItbEEZNS1_14transform_implILb0ES3_S5_N6thrust23THRUST_200600_302600_NS17counting_iteratorItNS8_11use_defaultESA_SA_EEPbZNS1_13binary_searchIS3_S5_PtSB_SC_NS1_16binary_search_opENS8_6detail16wrapped_functionINS0_4lessIvEEbEEEE10hipError_tPvRmT1_T2_T3_mmT4_T5_P12ihipStream_tbEUlRKtE_EESL_SP_SQ_mSR_SU_bEUlT_E_NS1_11comp_targetILNS1_3genE10ELNS1_11target_archE1200ELNS1_3gpuE4ELNS1_3repE0EEENS1_30default_config_static_selectorELNS0_4arch9wavefront6targetE0EEEvSO_
                                        ; -- End function
	.section	.AMDGPU.csdata,"",@progbits
; Kernel info:
; codeLenInByte = 0
; NumSgprs: 0
; NumVgprs: 0
; ScratchSize: 0
; MemoryBound: 0
; FloatMode: 240
; IeeeMode: 1
; LDSByteSize: 0 bytes/workgroup (compile time only)
; SGPRBlocks: 0
; VGPRBlocks: 0
; NumSGPRsForWavesPerEU: 1
; NumVGPRsForWavesPerEU: 1
; Occupancy: 16
; WaveLimiterHint : 0
; COMPUTE_PGM_RSRC2:SCRATCH_EN: 0
; COMPUTE_PGM_RSRC2:USER_SGPR: 15
; COMPUTE_PGM_RSRC2:TRAP_HANDLER: 0
; COMPUTE_PGM_RSRC2:TGID_X_EN: 1
; COMPUTE_PGM_RSRC2:TGID_Y_EN: 0
; COMPUTE_PGM_RSRC2:TGID_Z_EN: 0
; COMPUTE_PGM_RSRC2:TIDIG_COMP_CNT: 0
	.section	.text._ZN7rocprim17ROCPRIM_400000_NS6detail17trampoline_kernelINS0_14default_configENS1_29binary_search_config_selectorItbEEZNS1_14transform_implILb0ES3_S5_N6thrust23THRUST_200600_302600_NS17counting_iteratorItNS8_11use_defaultESA_SA_EEPbZNS1_13binary_searchIS3_S5_PtSB_SC_NS1_16binary_search_opENS8_6detail16wrapped_functionINS0_4lessIvEEbEEEE10hipError_tPvRmT1_T2_T3_mmT4_T5_P12ihipStream_tbEUlRKtE_EESL_SP_SQ_mSR_SU_bEUlT_E_NS1_11comp_targetILNS1_3genE9ELNS1_11target_archE1100ELNS1_3gpuE3ELNS1_3repE0EEENS1_30default_config_static_selectorELNS0_4arch9wavefront6targetE0EEEvSO_,"axG",@progbits,_ZN7rocprim17ROCPRIM_400000_NS6detail17trampoline_kernelINS0_14default_configENS1_29binary_search_config_selectorItbEEZNS1_14transform_implILb0ES3_S5_N6thrust23THRUST_200600_302600_NS17counting_iteratorItNS8_11use_defaultESA_SA_EEPbZNS1_13binary_searchIS3_S5_PtSB_SC_NS1_16binary_search_opENS8_6detail16wrapped_functionINS0_4lessIvEEbEEEE10hipError_tPvRmT1_T2_T3_mmT4_T5_P12ihipStream_tbEUlRKtE_EESL_SP_SQ_mSR_SU_bEUlT_E_NS1_11comp_targetILNS1_3genE9ELNS1_11target_archE1100ELNS1_3gpuE3ELNS1_3repE0EEENS1_30default_config_static_selectorELNS0_4arch9wavefront6targetE0EEEvSO_,comdat
	.protected	_ZN7rocprim17ROCPRIM_400000_NS6detail17trampoline_kernelINS0_14default_configENS1_29binary_search_config_selectorItbEEZNS1_14transform_implILb0ES3_S5_N6thrust23THRUST_200600_302600_NS17counting_iteratorItNS8_11use_defaultESA_SA_EEPbZNS1_13binary_searchIS3_S5_PtSB_SC_NS1_16binary_search_opENS8_6detail16wrapped_functionINS0_4lessIvEEbEEEE10hipError_tPvRmT1_T2_T3_mmT4_T5_P12ihipStream_tbEUlRKtE_EESL_SP_SQ_mSR_SU_bEUlT_E_NS1_11comp_targetILNS1_3genE9ELNS1_11target_archE1100ELNS1_3gpuE3ELNS1_3repE0EEENS1_30default_config_static_selectorELNS0_4arch9wavefront6targetE0EEEvSO_ ; -- Begin function _ZN7rocprim17ROCPRIM_400000_NS6detail17trampoline_kernelINS0_14default_configENS1_29binary_search_config_selectorItbEEZNS1_14transform_implILb0ES3_S5_N6thrust23THRUST_200600_302600_NS17counting_iteratorItNS8_11use_defaultESA_SA_EEPbZNS1_13binary_searchIS3_S5_PtSB_SC_NS1_16binary_search_opENS8_6detail16wrapped_functionINS0_4lessIvEEbEEEE10hipError_tPvRmT1_T2_T3_mmT4_T5_P12ihipStream_tbEUlRKtE_EESL_SP_SQ_mSR_SU_bEUlT_E_NS1_11comp_targetILNS1_3genE9ELNS1_11target_archE1100ELNS1_3gpuE3ELNS1_3repE0EEENS1_30default_config_static_selectorELNS0_4arch9wavefront6targetE0EEEvSO_
	.globl	_ZN7rocprim17ROCPRIM_400000_NS6detail17trampoline_kernelINS0_14default_configENS1_29binary_search_config_selectorItbEEZNS1_14transform_implILb0ES3_S5_N6thrust23THRUST_200600_302600_NS17counting_iteratorItNS8_11use_defaultESA_SA_EEPbZNS1_13binary_searchIS3_S5_PtSB_SC_NS1_16binary_search_opENS8_6detail16wrapped_functionINS0_4lessIvEEbEEEE10hipError_tPvRmT1_T2_T3_mmT4_T5_P12ihipStream_tbEUlRKtE_EESL_SP_SQ_mSR_SU_bEUlT_E_NS1_11comp_targetILNS1_3genE9ELNS1_11target_archE1100ELNS1_3gpuE3ELNS1_3repE0EEENS1_30default_config_static_selectorELNS0_4arch9wavefront6targetE0EEEvSO_
	.p2align	8
	.type	_ZN7rocprim17ROCPRIM_400000_NS6detail17trampoline_kernelINS0_14default_configENS1_29binary_search_config_selectorItbEEZNS1_14transform_implILb0ES3_S5_N6thrust23THRUST_200600_302600_NS17counting_iteratorItNS8_11use_defaultESA_SA_EEPbZNS1_13binary_searchIS3_S5_PtSB_SC_NS1_16binary_search_opENS8_6detail16wrapped_functionINS0_4lessIvEEbEEEE10hipError_tPvRmT1_T2_T3_mmT4_T5_P12ihipStream_tbEUlRKtE_EESL_SP_SQ_mSR_SU_bEUlT_E_NS1_11comp_targetILNS1_3genE9ELNS1_11target_archE1100ELNS1_3gpuE3ELNS1_3repE0EEENS1_30default_config_static_selectorELNS0_4arch9wavefront6targetE0EEEvSO_,@function
_ZN7rocprim17ROCPRIM_400000_NS6detail17trampoline_kernelINS0_14default_configENS1_29binary_search_config_selectorItbEEZNS1_14transform_implILb0ES3_S5_N6thrust23THRUST_200600_302600_NS17counting_iteratorItNS8_11use_defaultESA_SA_EEPbZNS1_13binary_searchIS3_S5_PtSB_SC_NS1_16binary_search_opENS8_6detail16wrapped_functionINS0_4lessIvEEbEEEE10hipError_tPvRmT1_T2_T3_mmT4_T5_P12ihipStream_tbEUlRKtE_EESL_SP_SQ_mSR_SU_bEUlT_E_NS1_11comp_targetILNS1_3genE9ELNS1_11target_archE1100ELNS1_3gpuE3ELNS1_3repE0EEENS1_30default_config_static_selectorELNS0_4arch9wavefront6targetE0EEEvSO_: ; @_ZN7rocprim17ROCPRIM_400000_NS6detail17trampoline_kernelINS0_14default_configENS1_29binary_search_config_selectorItbEEZNS1_14transform_implILb0ES3_S5_N6thrust23THRUST_200600_302600_NS17counting_iteratorItNS8_11use_defaultESA_SA_EEPbZNS1_13binary_searchIS3_S5_PtSB_SC_NS1_16binary_search_opENS8_6detail16wrapped_functionINS0_4lessIvEEbEEEE10hipError_tPvRmT1_T2_T3_mmT4_T5_P12ihipStream_tbEUlRKtE_EESL_SP_SQ_mSR_SU_bEUlT_E_NS1_11comp_targetILNS1_3genE9ELNS1_11target_archE1100ELNS1_3gpuE3ELNS1_3repE0EEENS1_30default_config_static_selectorELNS0_4arch9wavefront6targetE0EEEvSO_
; %bb.0:
	s_clause 0x4
	s_load_b32 s2, s[0:1], 0x0
	s_load_b64 s[4:5], s[0:1], 0x8
	s_load_b128 s[8:11], s[0:1], 0x18
	s_load_b32 s3, s[0:1], 0x38
	s_load_b64 s[12:13], s[0:1], 0x28
	s_mov_b32 s16, 0
	s_mov_b32 s17, -1
	s_waitcnt lgkmcnt(0)
	s_add_i32 s2, s2, s4
	s_add_u32 s8, s8, s4
	s_addc_u32 s9, s9, s5
	s_add_i32 s3, s3, -1
	s_lshl_b32 s14, s15, 9
	s_cmp_lg_u32 s15, s3
	s_cbranch_scc0 .LBB217_50
; %bb.1:
	v_add_nc_u16 v3, s14, v0
	v_mov_b32_e32 v1, 0
	v_mov_b32_e32 v2, 0
	s_cmp_lg_u64 s[12:13], 0
	s_cselect_b32 s4, -1, 0
	v_add_nc_u16 v5, v3, s2
	s_cmp_eq_u64 s[12:13], 0
	s_cbranch_scc1 .LBB217_5
; %bb.2:
	v_mov_b32_e32 v1, 0
	v_dual_mov_b32 v2, 0 :: v_dual_mov_b32 v3, s12
	v_mov_b32_e32 v4, s13
	s_mov_b32 s3, 0
	.p2align	6
.LBB217_3:                              ; =>This Inner Loop Header: Depth=1
	s_delay_alu instid0(VALU_DEP_2) | instskip(NEXT) | instid1(VALU_DEP_2)
	v_sub_co_u32 v6, vcc_lo, v3, v1
	v_sub_co_ci_u32_e32 v7, vcc_lo, v4, v2, vcc_lo
	s_delay_alu instid0(VALU_DEP_1) | instskip(SKIP_1) | instid1(VALU_DEP_2)
	v_lshrrev_b64 v[8:9], 1, v[6:7]
	v_lshrrev_b64 v[6:7], 6, v[6:7]
	v_add_co_u32 v8, vcc_lo, v8, v1
	s_delay_alu instid0(VALU_DEP_3) | instskip(NEXT) | instid1(VALU_DEP_2)
	v_add_co_ci_u32_e32 v9, vcc_lo, v9, v2, vcc_lo
	v_add_co_u32 v6, vcc_lo, v8, v6
	s_delay_alu instid0(VALU_DEP_2) | instskip(NEXT) | instid1(VALU_DEP_1)
	v_add_co_ci_u32_e32 v7, vcc_lo, v9, v7, vcc_lo
	v_lshlrev_b64 v[8:9], 1, v[6:7]
	s_delay_alu instid0(VALU_DEP_1) | instskip(NEXT) | instid1(VALU_DEP_2)
	v_add_co_u32 v8, vcc_lo, s10, v8
	v_add_co_ci_u32_e32 v9, vcc_lo, s11, v9, vcc_lo
	global_load_u16 v8, v[8:9], off
	v_add_co_u32 v9, vcc_lo, v6, 1
	v_add_co_ci_u32_e32 v10, vcc_lo, 0, v7, vcc_lo
	s_waitcnt vmcnt(0)
	v_cmp_lt_u16_e32 vcc_lo, v8, v5
	v_dual_cndmask_b32 v4, v7, v4 :: v_dual_cndmask_b32 v3, v6, v3
	s_delay_alu instid0(VALU_DEP_3) | instskip(NEXT) | instid1(VALU_DEP_1)
	v_dual_cndmask_b32 v2, v2, v10 :: v_dual_cndmask_b32 v1, v1, v9
	v_cmp_ge_u64_e32 vcc_lo, v[1:2], v[3:4]
	s_or_b32 s3, vcc_lo, s3
	s_delay_alu instid0(SALU_CYCLE_1)
	s_and_not1_b32 exec_lo, exec_lo, s3
	s_cbranch_execnz .LBB217_3
; %bb.4:
	s_or_b32 exec_lo, exec_lo, s3
.LBB217_5:
	s_mov_b32 s3, 0
	s_mov_b32 s5, exec_lo
	v_cmpx_ne_u64_e64 s[12:13], v[1:2]
	s_cbranch_execz .LBB217_7
; %bb.6:
	v_lshlrev_b64 v[1:2], 1, v[1:2]
	s_delay_alu instid0(VALU_DEP_1) | instskip(NEXT) | instid1(VALU_DEP_2)
	v_add_co_u32 v1, vcc_lo, s10, v1
	v_add_co_ci_u32_e32 v2, vcc_lo, s11, v2, vcc_lo
	global_load_u16 v1, v[1:2], off
	s_waitcnt vmcnt(0)
	v_cmp_le_u16_e32 vcc_lo, v1, v5
	s_and_b32 s3, vcc_lo, exec_lo
.LBB217_7:
	s_or_b32 exec_lo, exec_lo, s5
	v_mov_b32_e32 v1, 0
	v_cndmask_b32_e64 v6, 0, 1, s4
	v_add_nc_u16 v7, v5, 64
	v_mov_b32_e32 v2, 0
	s_and_not1_b32 vcc_lo, exec_lo, s4
	s_cbranch_vccnz .LBB217_11
; %bb.8:
	v_dual_mov_b32 v3, s12 :: v_dual_mov_b32 v4, s13
	s_mov_b32 s4, 0
	.p2align	6
.LBB217_9:                              ; =>This Inner Loop Header: Depth=1
	s_delay_alu instid0(VALU_DEP_1) | instskip(NEXT) | instid1(VALU_DEP_2)
	v_sub_co_u32 v8, vcc_lo, v3, v1
	v_sub_co_ci_u32_e32 v9, vcc_lo, v4, v2, vcc_lo
	s_delay_alu instid0(VALU_DEP_1) | instskip(SKIP_1) | instid1(VALU_DEP_2)
	v_lshrrev_b64 v[10:11], 1, v[8:9]
	v_lshrrev_b64 v[8:9], 6, v[8:9]
	v_add_co_u32 v10, vcc_lo, v10, v1
	s_delay_alu instid0(VALU_DEP_3) | instskip(NEXT) | instid1(VALU_DEP_2)
	v_add_co_ci_u32_e32 v11, vcc_lo, v11, v2, vcc_lo
	v_add_co_u32 v8, vcc_lo, v10, v8
	s_delay_alu instid0(VALU_DEP_2) | instskip(NEXT) | instid1(VALU_DEP_1)
	v_add_co_ci_u32_e32 v9, vcc_lo, v11, v9, vcc_lo
	v_lshlrev_b64 v[10:11], 1, v[8:9]
	s_delay_alu instid0(VALU_DEP_1) | instskip(NEXT) | instid1(VALU_DEP_2)
	v_add_co_u32 v10, vcc_lo, s10, v10
	v_add_co_ci_u32_e32 v11, vcc_lo, s11, v11, vcc_lo
	global_load_u16 v10, v[10:11], off
	v_add_co_u32 v11, vcc_lo, v8, 1
	v_add_co_ci_u32_e32 v12, vcc_lo, 0, v9, vcc_lo
	s_waitcnt vmcnt(0)
	v_cmp_lt_u16_e32 vcc_lo, v10, v7
	v_dual_cndmask_b32 v4, v9, v4 :: v_dual_cndmask_b32 v3, v8, v3
	s_delay_alu instid0(VALU_DEP_3) | instskip(NEXT) | instid1(VALU_DEP_1)
	v_dual_cndmask_b32 v2, v2, v12 :: v_dual_cndmask_b32 v1, v1, v11
	v_cmp_ge_u64_e32 vcc_lo, v[1:2], v[3:4]
	s_or_b32 s4, vcc_lo, s4
	s_delay_alu instid0(SALU_CYCLE_1)
	s_and_not1_b32 exec_lo, exec_lo, s4
	s_cbranch_execnz .LBB217_9
; %bb.10:
	s_or_b32 exec_lo, exec_lo, s4
.LBB217_11:
	s_mov_b32 s4, 0
	s_mov_b32 s5, exec_lo
	v_cmpx_ne_u64_e64 s[12:13], v[1:2]
	s_cbranch_execz .LBB217_13
; %bb.12:
	v_lshlrev_b64 v[1:2], 1, v[1:2]
	s_delay_alu instid0(VALU_DEP_1) | instskip(NEXT) | instid1(VALU_DEP_2)
	v_add_co_u32 v1, vcc_lo, s10, v1
	v_add_co_ci_u32_e32 v2, vcc_lo, s11, v2, vcc_lo
	global_load_u16 v1, v[1:2], off
	s_waitcnt vmcnt(0)
	v_cmp_le_u16_e32 vcc_lo, v1, v7
	s_and_b32 s4, vcc_lo, exec_lo
.LBB217_13:
	s_or_b32 exec_lo, exec_lo, s5
	v_cmp_ne_u32_e32 vcc_lo, 1, v6
	v_mov_b32_e32 v1, 0
	v_add_nc_u16 v7, v5, 0x80
	v_mov_b32_e32 v2, 0
	s_cbranch_vccnz .LBB217_17
; %bb.14:
	v_dual_mov_b32 v3, s12 :: v_dual_mov_b32 v4, s13
	s_mov_b32 s5, 0
	.p2align	6
.LBB217_15:                             ; =>This Inner Loop Header: Depth=1
	s_delay_alu instid0(VALU_DEP_1) | instskip(NEXT) | instid1(VALU_DEP_2)
	v_sub_co_u32 v8, vcc_lo, v3, v1
	v_sub_co_ci_u32_e32 v9, vcc_lo, v4, v2, vcc_lo
	s_delay_alu instid0(VALU_DEP_1) | instskip(SKIP_1) | instid1(VALU_DEP_2)
	v_lshrrev_b64 v[10:11], 1, v[8:9]
	v_lshrrev_b64 v[8:9], 6, v[8:9]
	v_add_co_u32 v10, vcc_lo, v10, v1
	s_delay_alu instid0(VALU_DEP_3) | instskip(NEXT) | instid1(VALU_DEP_2)
	v_add_co_ci_u32_e32 v11, vcc_lo, v11, v2, vcc_lo
	v_add_co_u32 v8, vcc_lo, v10, v8
	s_delay_alu instid0(VALU_DEP_2) | instskip(NEXT) | instid1(VALU_DEP_1)
	v_add_co_ci_u32_e32 v9, vcc_lo, v11, v9, vcc_lo
	v_lshlrev_b64 v[10:11], 1, v[8:9]
	s_delay_alu instid0(VALU_DEP_1) | instskip(NEXT) | instid1(VALU_DEP_2)
	v_add_co_u32 v10, vcc_lo, s10, v10
	v_add_co_ci_u32_e32 v11, vcc_lo, s11, v11, vcc_lo
	global_load_u16 v10, v[10:11], off
	v_add_co_u32 v11, vcc_lo, v8, 1
	v_add_co_ci_u32_e32 v12, vcc_lo, 0, v9, vcc_lo
	s_waitcnt vmcnt(0)
	v_cmp_lt_u16_e32 vcc_lo, v10, v7
	v_dual_cndmask_b32 v4, v9, v4 :: v_dual_cndmask_b32 v3, v8, v3
	s_delay_alu instid0(VALU_DEP_3) | instskip(NEXT) | instid1(VALU_DEP_1)
	v_dual_cndmask_b32 v2, v2, v12 :: v_dual_cndmask_b32 v1, v1, v11
	v_cmp_ge_u64_e32 vcc_lo, v[1:2], v[3:4]
	s_or_b32 s5, vcc_lo, s5
	s_delay_alu instid0(SALU_CYCLE_1)
	s_and_not1_b32 exec_lo, exec_lo, s5
	s_cbranch_execnz .LBB217_15
; %bb.16:
	s_or_b32 exec_lo, exec_lo, s5
.LBB217_17:
	s_mov_b32 s5, 0
	s_mov_b32 s6, exec_lo
	s_delay_alu instid0(VALU_DEP_1)
	v_cmpx_ne_u64_e64 s[12:13], v[1:2]
	s_cbranch_execz .LBB217_19
; %bb.18:
	v_lshlrev_b64 v[1:2], 1, v[1:2]
	s_delay_alu instid0(VALU_DEP_1) | instskip(NEXT) | instid1(VALU_DEP_2)
	v_add_co_u32 v1, vcc_lo, s10, v1
	v_add_co_ci_u32_e32 v2, vcc_lo, s11, v2, vcc_lo
	global_load_u16 v1, v[1:2], off
	s_waitcnt vmcnt(0)
	v_cmp_le_u16_e32 vcc_lo, v1, v7
	s_and_b32 s5, vcc_lo, exec_lo
.LBB217_19:
	s_or_b32 exec_lo, exec_lo, s6
	v_cmp_ne_u32_e32 vcc_lo, 1, v6
	v_mov_b32_e32 v1, 0
	v_add_nc_u16 v7, v5, 0xc0
	v_mov_b32_e32 v2, 0
	s_cbranch_vccnz .LBB217_23
; %bb.20:
	v_dual_mov_b32 v3, s12 :: v_dual_mov_b32 v4, s13
	s_mov_b32 s6, 0
	.p2align	6
.LBB217_21:                             ; =>This Inner Loop Header: Depth=1
	s_delay_alu instid0(VALU_DEP_1) | instskip(NEXT) | instid1(VALU_DEP_2)
	v_sub_co_u32 v8, vcc_lo, v3, v1
	v_sub_co_ci_u32_e32 v9, vcc_lo, v4, v2, vcc_lo
	s_delay_alu instid0(VALU_DEP_1) | instskip(SKIP_1) | instid1(VALU_DEP_2)
	v_lshrrev_b64 v[10:11], 1, v[8:9]
	v_lshrrev_b64 v[8:9], 6, v[8:9]
	v_add_co_u32 v10, vcc_lo, v10, v1
	s_delay_alu instid0(VALU_DEP_3) | instskip(NEXT) | instid1(VALU_DEP_2)
	v_add_co_ci_u32_e32 v11, vcc_lo, v11, v2, vcc_lo
	v_add_co_u32 v8, vcc_lo, v10, v8
	s_delay_alu instid0(VALU_DEP_2) | instskip(NEXT) | instid1(VALU_DEP_1)
	v_add_co_ci_u32_e32 v9, vcc_lo, v11, v9, vcc_lo
	v_lshlrev_b64 v[10:11], 1, v[8:9]
	s_delay_alu instid0(VALU_DEP_1) | instskip(NEXT) | instid1(VALU_DEP_2)
	v_add_co_u32 v10, vcc_lo, s10, v10
	v_add_co_ci_u32_e32 v11, vcc_lo, s11, v11, vcc_lo
	global_load_u16 v10, v[10:11], off
	v_add_co_u32 v11, vcc_lo, v8, 1
	v_add_co_ci_u32_e32 v12, vcc_lo, 0, v9, vcc_lo
	s_waitcnt vmcnt(0)
	v_cmp_lt_u16_e32 vcc_lo, v10, v7
	v_dual_cndmask_b32 v4, v9, v4 :: v_dual_cndmask_b32 v3, v8, v3
	s_delay_alu instid0(VALU_DEP_3) | instskip(NEXT) | instid1(VALU_DEP_1)
	v_dual_cndmask_b32 v2, v2, v12 :: v_dual_cndmask_b32 v1, v1, v11
	v_cmp_ge_u64_e32 vcc_lo, v[1:2], v[3:4]
	s_or_b32 s6, vcc_lo, s6
	s_delay_alu instid0(SALU_CYCLE_1)
	s_and_not1_b32 exec_lo, exec_lo, s6
	s_cbranch_execnz .LBB217_21
; %bb.22:
	s_or_b32 exec_lo, exec_lo, s6
.LBB217_23:
	s_mov_b32 s6, 0
	s_mov_b32 s7, exec_lo
	s_delay_alu instid0(VALU_DEP_1)
	v_cmpx_ne_u64_e64 s[12:13], v[1:2]
	s_cbranch_execz .LBB217_25
; %bb.24:
	v_lshlrev_b64 v[1:2], 1, v[1:2]
	s_delay_alu instid0(VALU_DEP_1) | instskip(NEXT) | instid1(VALU_DEP_2)
	v_add_co_u32 v1, vcc_lo, s10, v1
	v_add_co_ci_u32_e32 v2, vcc_lo, s11, v2, vcc_lo
	global_load_u16 v1, v[1:2], off
	s_waitcnt vmcnt(0)
	v_cmp_le_u16_e32 vcc_lo, v1, v7
	s_and_b32 s6, vcc_lo, exec_lo
.LBB217_25:
	s_or_b32 exec_lo, exec_lo, s7
	v_cmp_ne_u32_e32 vcc_lo, 1, v6
	v_mov_b32_e32 v1, 0
	v_add_nc_u16 v7, v5, 0x100
	v_mov_b32_e32 v2, 0
	s_cbranch_vccnz .LBB217_29
; %bb.26:
	v_dual_mov_b32 v3, s12 :: v_dual_mov_b32 v4, s13
	s_mov_b32 s7, 0
	.p2align	6
.LBB217_27:                             ; =>This Inner Loop Header: Depth=1
	s_delay_alu instid0(VALU_DEP_1) | instskip(NEXT) | instid1(VALU_DEP_2)
	v_sub_co_u32 v8, vcc_lo, v3, v1
	v_sub_co_ci_u32_e32 v9, vcc_lo, v4, v2, vcc_lo
	s_delay_alu instid0(VALU_DEP_1) | instskip(SKIP_1) | instid1(VALU_DEP_2)
	v_lshrrev_b64 v[10:11], 1, v[8:9]
	v_lshrrev_b64 v[8:9], 6, v[8:9]
	v_add_co_u32 v10, vcc_lo, v10, v1
	s_delay_alu instid0(VALU_DEP_3) | instskip(NEXT) | instid1(VALU_DEP_2)
	v_add_co_ci_u32_e32 v11, vcc_lo, v11, v2, vcc_lo
	v_add_co_u32 v8, vcc_lo, v10, v8
	s_delay_alu instid0(VALU_DEP_2) | instskip(NEXT) | instid1(VALU_DEP_1)
	v_add_co_ci_u32_e32 v9, vcc_lo, v11, v9, vcc_lo
	v_lshlrev_b64 v[10:11], 1, v[8:9]
	s_delay_alu instid0(VALU_DEP_1) | instskip(NEXT) | instid1(VALU_DEP_2)
	v_add_co_u32 v10, vcc_lo, s10, v10
	v_add_co_ci_u32_e32 v11, vcc_lo, s11, v11, vcc_lo
	global_load_u16 v10, v[10:11], off
	v_add_co_u32 v11, vcc_lo, v8, 1
	v_add_co_ci_u32_e32 v12, vcc_lo, 0, v9, vcc_lo
	s_waitcnt vmcnt(0)
	v_cmp_lt_u16_e32 vcc_lo, v10, v7
	v_dual_cndmask_b32 v4, v9, v4 :: v_dual_cndmask_b32 v3, v8, v3
	s_delay_alu instid0(VALU_DEP_3) | instskip(NEXT) | instid1(VALU_DEP_1)
	v_dual_cndmask_b32 v2, v2, v12 :: v_dual_cndmask_b32 v1, v1, v11
	v_cmp_ge_u64_e32 vcc_lo, v[1:2], v[3:4]
	s_or_b32 s7, vcc_lo, s7
	s_delay_alu instid0(SALU_CYCLE_1)
	s_and_not1_b32 exec_lo, exec_lo, s7
	s_cbranch_execnz .LBB217_27
; %bb.28:
	s_or_b32 exec_lo, exec_lo, s7
.LBB217_29:
	s_mov_b32 s7, 0
	s_mov_b32 s15, exec_lo
	s_delay_alu instid0(VALU_DEP_1)
	v_cmpx_ne_u64_e64 s[12:13], v[1:2]
	s_cbranch_execz .LBB217_31
; %bb.30:
	v_lshlrev_b64 v[1:2], 1, v[1:2]
	s_delay_alu instid0(VALU_DEP_1) | instskip(NEXT) | instid1(VALU_DEP_2)
	v_add_co_u32 v1, vcc_lo, s10, v1
	v_add_co_ci_u32_e32 v2, vcc_lo, s11, v2, vcc_lo
	global_load_u16 v1, v[1:2], off
	s_waitcnt vmcnt(0)
	v_cmp_le_u16_e32 vcc_lo, v1, v7
	s_and_b32 s7, vcc_lo, exec_lo
.LBB217_31:
	s_or_b32 exec_lo, exec_lo, s15
	v_cmp_ne_u32_e32 vcc_lo, 1, v6
	v_mov_b32_e32 v1, 0
	v_add_nc_u16 v7, v5, 0x140
	v_mov_b32_e32 v2, 0
	s_cbranch_vccnz .LBB217_35
; %bb.32:
	v_dual_mov_b32 v3, s12 :: v_dual_mov_b32 v4, s13
	s_mov_b32 s15, 0
	.p2align	6
.LBB217_33:                             ; =>This Inner Loop Header: Depth=1
	s_delay_alu instid0(VALU_DEP_1) | instskip(NEXT) | instid1(VALU_DEP_2)
	v_sub_co_u32 v8, vcc_lo, v3, v1
	v_sub_co_ci_u32_e32 v9, vcc_lo, v4, v2, vcc_lo
	s_delay_alu instid0(VALU_DEP_1) | instskip(SKIP_1) | instid1(VALU_DEP_2)
	v_lshrrev_b64 v[10:11], 1, v[8:9]
	v_lshrrev_b64 v[8:9], 6, v[8:9]
	v_add_co_u32 v10, vcc_lo, v10, v1
	s_delay_alu instid0(VALU_DEP_3) | instskip(NEXT) | instid1(VALU_DEP_2)
	v_add_co_ci_u32_e32 v11, vcc_lo, v11, v2, vcc_lo
	v_add_co_u32 v8, vcc_lo, v10, v8
	s_delay_alu instid0(VALU_DEP_2) | instskip(NEXT) | instid1(VALU_DEP_1)
	v_add_co_ci_u32_e32 v9, vcc_lo, v11, v9, vcc_lo
	v_lshlrev_b64 v[10:11], 1, v[8:9]
	s_delay_alu instid0(VALU_DEP_1) | instskip(NEXT) | instid1(VALU_DEP_2)
	v_add_co_u32 v10, vcc_lo, s10, v10
	v_add_co_ci_u32_e32 v11, vcc_lo, s11, v11, vcc_lo
	global_load_u16 v10, v[10:11], off
	v_add_co_u32 v11, vcc_lo, v8, 1
	v_add_co_ci_u32_e32 v12, vcc_lo, 0, v9, vcc_lo
	s_waitcnt vmcnt(0)
	v_cmp_lt_u16_e32 vcc_lo, v10, v7
	v_dual_cndmask_b32 v4, v9, v4 :: v_dual_cndmask_b32 v3, v8, v3
	s_delay_alu instid0(VALU_DEP_3) | instskip(NEXT) | instid1(VALU_DEP_1)
	v_dual_cndmask_b32 v2, v2, v12 :: v_dual_cndmask_b32 v1, v1, v11
	v_cmp_ge_u64_e32 vcc_lo, v[1:2], v[3:4]
	s_or_b32 s15, vcc_lo, s15
	s_delay_alu instid0(SALU_CYCLE_1)
	s_and_not1_b32 exec_lo, exec_lo, s15
	s_cbranch_execnz .LBB217_33
; %bb.34:
	s_or_b32 exec_lo, exec_lo, s15
.LBB217_35:
	s_mov_b32 s15, 0
	s_mov_b32 s16, exec_lo
	s_delay_alu instid0(VALU_DEP_1)
	v_cmpx_ne_u64_e64 s[12:13], v[1:2]
	s_cbranch_execz .LBB217_37
; %bb.36:
	v_lshlrev_b64 v[1:2], 1, v[1:2]
	s_delay_alu instid0(VALU_DEP_1) | instskip(NEXT) | instid1(VALU_DEP_2)
	v_add_co_u32 v1, vcc_lo, s10, v1
	v_add_co_ci_u32_e32 v2, vcc_lo, s11, v2, vcc_lo
	global_load_u16 v1, v[1:2], off
	s_waitcnt vmcnt(0)
	v_cmp_le_u16_e32 vcc_lo, v1, v7
	s_and_b32 s15, vcc_lo, exec_lo
.LBB217_37:
	s_or_b32 exec_lo, exec_lo, s16
	v_cmp_ne_u32_e32 vcc_lo, 1, v6
	v_mov_b32_e32 v1, 0
	v_add_nc_u16 v7, v5, 0x180
	v_mov_b32_e32 v2, 0
	s_cbranch_vccnz .LBB217_41
; %bb.38:
	v_dual_mov_b32 v3, s12 :: v_dual_mov_b32 v4, s13
	s_mov_b32 s16, 0
	.p2align	6
.LBB217_39:                             ; =>This Inner Loop Header: Depth=1
	s_delay_alu instid0(VALU_DEP_1) | instskip(NEXT) | instid1(VALU_DEP_2)
	v_sub_co_u32 v8, vcc_lo, v3, v1
	v_sub_co_ci_u32_e32 v9, vcc_lo, v4, v2, vcc_lo
	s_delay_alu instid0(VALU_DEP_1) | instskip(SKIP_1) | instid1(VALU_DEP_2)
	v_lshrrev_b64 v[10:11], 1, v[8:9]
	v_lshrrev_b64 v[8:9], 6, v[8:9]
	v_add_co_u32 v10, vcc_lo, v10, v1
	s_delay_alu instid0(VALU_DEP_3) | instskip(NEXT) | instid1(VALU_DEP_2)
	v_add_co_ci_u32_e32 v11, vcc_lo, v11, v2, vcc_lo
	v_add_co_u32 v8, vcc_lo, v10, v8
	s_delay_alu instid0(VALU_DEP_2) | instskip(NEXT) | instid1(VALU_DEP_1)
	v_add_co_ci_u32_e32 v9, vcc_lo, v11, v9, vcc_lo
	v_lshlrev_b64 v[10:11], 1, v[8:9]
	s_delay_alu instid0(VALU_DEP_1) | instskip(NEXT) | instid1(VALU_DEP_2)
	v_add_co_u32 v10, vcc_lo, s10, v10
	v_add_co_ci_u32_e32 v11, vcc_lo, s11, v11, vcc_lo
	global_load_u16 v10, v[10:11], off
	v_add_co_u32 v11, vcc_lo, v8, 1
	v_add_co_ci_u32_e32 v12, vcc_lo, 0, v9, vcc_lo
	s_waitcnt vmcnt(0)
	v_cmp_lt_u16_e32 vcc_lo, v10, v7
	v_dual_cndmask_b32 v4, v9, v4 :: v_dual_cndmask_b32 v3, v8, v3
	s_delay_alu instid0(VALU_DEP_3) | instskip(NEXT) | instid1(VALU_DEP_1)
	v_dual_cndmask_b32 v2, v2, v12 :: v_dual_cndmask_b32 v1, v1, v11
	v_cmp_ge_u64_e32 vcc_lo, v[1:2], v[3:4]
	s_or_b32 s16, vcc_lo, s16
	s_delay_alu instid0(SALU_CYCLE_1)
	s_and_not1_b32 exec_lo, exec_lo, s16
	s_cbranch_execnz .LBB217_39
; %bb.40:
	s_or_b32 exec_lo, exec_lo, s16
.LBB217_41:
	s_mov_b32 s16, 0
	s_mov_b32 s17, exec_lo
	s_delay_alu instid0(VALU_DEP_1)
	v_cmpx_ne_u64_e64 s[12:13], v[1:2]
	s_cbranch_execz .LBB217_43
; %bb.42:
	v_lshlrev_b64 v[1:2], 1, v[1:2]
	s_delay_alu instid0(VALU_DEP_1) | instskip(NEXT) | instid1(VALU_DEP_2)
	v_add_co_u32 v1, vcc_lo, s10, v1
	v_add_co_ci_u32_e32 v2, vcc_lo, s11, v2, vcc_lo
	global_load_u16 v1, v[1:2], off
	s_waitcnt vmcnt(0)
	v_cmp_le_u16_e32 vcc_lo, v1, v7
	s_and_b32 s16, vcc_lo, exec_lo
.LBB217_43:
	s_or_b32 exec_lo, exec_lo, s17
	v_cmp_ne_u32_e32 vcc_lo, 1, v6
	v_mov_b32_e32 v1, 0
	v_add_nc_u16 v5, v5, 0x1c0
	v_mov_b32_e32 v2, 0
	s_cbranch_vccnz .LBB217_47
; %bb.44:
	v_dual_mov_b32 v3, s12 :: v_dual_mov_b32 v4, s13
	s_mov_b32 s17, 0
	.p2align	6
.LBB217_45:                             ; =>This Inner Loop Header: Depth=1
	s_delay_alu instid0(VALU_DEP_1) | instskip(NEXT) | instid1(VALU_DEP_2)
	v_sub_co_u32 v6, vcc_lo, v3, v1
	v_sub_co_ci_u32_e32 v7, vcc_lo, v4, v2, vcc_lo
	s_delay_alu instid0(VALU_DEP_1) | instskip(SKIP_1) | instid1(VALU_DEP_2)
	v_lshrrev_b64 v[8:9], 1, v[6:7]
	v_lshrrev_b64 v[6:7], 6, v[6:7]
	v_add_co_u32 v8, vcc_lo, v8, v1
	s_delay_alu instid0(VALU_DEP_3) | instskip(NEXT) | instid1(VALU_DEP_2)
	v_add_co_ci_u32_e32 v9, vcc_lo, v9, v2, vcc_lo
	v_add_co_u32 v6, vcc_lo, v8, v6
	s_delay_alu instid0(VALU_DEP_2) | instskip(NEXT) | instid1(VALU_DEP_1)
	v_add_co_ci_u32_e32 v7, vcc_lo, v9, v7, vcc_lo
	v_lshlrev_b64 v[8:9], 1, v[6:7]
	s_delay_alu instid0(VALU_DEP_1) | instskip(NEXT) | instid1(VALU_DEP_2)
	v_add_co_u32 v8, vcc_lo, s10, v8
	v_add_co_ci_u32_e32 v9, vcc_lo, s11, v9, vcc_lo
	global_load_u16 v8, v[8:9], off
	v_add_co_u32 v9, vcc_lo, v6, 1
	v_add_co_ci_u32_e32 v10, vcc_lo, 0, v7, vcc_lo
	s_waitcnt vmcnt(0)
	v_cmp_lt_u16_e32 vcc_lo, v8, v5
	v_dual_cndmask_b32 v4, v7, v4 :: v_dual_cndmask_b32 v3, v6, v3
	s_delay_alu instid0(VALU_DEP_3) | instskip(NEXT) | instid1(VALU_DEP_1)
	v_dual_cndmask_b32 v2, v2, v10 :: v_dual_cndmask_b32 v1, v1, v9
	v_cmp_ge_u64_e32 vcc_lo, v[1:2], v[3:4]
	s_or_b32 s17, vcc_lo, s17
	s_delay_alu instid0(SALU_CYCLE_1)
	s_and_not1_b32 exec_lo, exec_lo, s17
	s_cbranch_execnz .LBB217_45
; %bb.46:
	s_or_b32 exec_lo, exec_lo, s17
.LBB217_47:
	s_mov_b32 s17, 0
	s_mov_b32 s18, 0
	s_mov_b32 s19, exec_lo
	v_cmpx_ne_u64_e64 s[12:13], v[1:2]
	s_cbranch_execz .LBB217_49
; %bb.48:
	v_lshlrev_b64 v[1:2], 1, v[1:2]
	s_delay_alu instid0(VALU_DEP_1) | instskip(NEXT) | instid1(VALU_DEP_2)
	v_add_co_u32 v1, vcc_lo, s10, v1
	v_add_co_ci_u32_e32 v2, vcc_lo, s11, v2, vcc_lo
	global_load_u16 v1, v[1:2], off
	s_waitcnt vmcnt(0)
	v_cmp_le_u16_e32 vcc_lo, v1, v5
	s_and_b32 s18, vcc_lo, exec_lo
.LBB217_49:
	s_or_b32 exec_lo, exec_lo, s19
	v_cndmask_b32_e64 v10, 0, 1, s3
	v_cndmask_b32_e64 v9, 0, 1, s4
	s_add_u32 s4, s8, s14
	v_cndmask_b32_e64 v8, 0, 1, s5
	v_cndmask_b32_e64 v7, 0, 1, s6
	s_addc_u32 s5, s9, 0
	v_add_co_u32 v1, s3, s4, v0
	v_cndmask_b32_e64 v6, 0, 1, s7
	v_cndmask_b32_e64 v4, 0, 1, s16
	;; [unrolled: 1-line block ×4, first 2 shown]
	v_add_co_ci_u32_e64 v2, null, s5, 0, s3
	s_mov_b32 s16, -1
	s_clause 0x6
	global_store_b8 v0, v10, s[4:5]
	global_store_b8 v0, v9, s[4:5] offset:64
	global_store_b8 v0, v8, s[4:5] offset:128
	;; [unrolled: 1-line block ×6, first 2 shown]
	s_and_b32 vcc_lo, exec_lo, s17
	s_cbranch_vccnz .LBB217_51
	s_branch .LBB217_125
.LBB217_50:
                                        ; implicit-def: $vgpr3
                                        ; implicit-def: $vgpr1_vgpr2
	s_and_b32 vcc_lo, exec_lo, s17
	s_cbranch_vccz .LBB217_125
.LBB217_51:
	s_load_b32 s0, s[0:1], 0x10
	v_or_b32_e32 v1, 64, v0
	v_or_b32_e32 v2, 0x80, v0
	;; [unrolled: 1-line block ×7, first 2 shown]
	s_add_i32 s2, s2, s14
	s_delay_alu instid0(SALU_CYCLE_1)
	v_add_nc_u16 v8, s2, v0
	v_add_nc_u16 v9, s2, v1
	;; [unrolled: 1-line block ×7, first 2 shown]
	v_perm_b32 v9, v9, v8, 0x5040100
	v_and_b32_e32 v15, 0xffff, v10
	v_perm_b32 v10, v11, v10, 0x5040100
	s_waitcnt lgkmcnt(0)
	s_sub_i32 s7, s0, s14
	s_cmp_lg_u64 s[12:13], 0
	v_cmp_gt_u32_e64 s6, s7, v1
	v_add_nc_u16 v1, s2, v7
	v_cmp_gt_u32_e64 s5, s7, v2
	v_cmp_gt_u32_e64 s4, s7, v3
	v_perm_b32 v2, v13, v12, 0x5040100
	v_and_b32_e32 v3, 0xffff, v14
	v_perm_b32 v1, v1, v14, 0x5040100
	v_cmp_gt_u32_e64 s2, s7, v5
	v_cmp_gt_u32_e64 s0, s7, v7
	v_cndmask_b32_e64 v8, v8, v9, s6
	v_cndmask_b32_e64 v11, v15, v10, s4
	v_cmp_gt_u32_e64 s3, s7, v4
	v_cndmask_b32_e64 v9, v12, v2, s2
	v_cmp_gt_u32_e64 s1, s7, v6
	;; [unrolled: 2-line block ×3, first 2 shown]
	s_cselect_b32 s15, -1, 0
                                        ; implicit-def: $vgpr5
	s_delay_alu instid0(VALU_DEP_1)
	s_and_saveexec_b32 s17, s7
	s_cbranch_execnz .LBB217_59
; %bb.52:
	s_or_b32 exec_lo, exec_lo, s17
                                        ; implicit-def: $vgpr7
	s_and_saveexec_b32 s17, s6
	s_cbranch_execnz .LBB217_66
.LBB217_53:
	s_or_b32 exec_lo, exec_lo, s17
                                        ; implicit-def: $vgpr8
	s_and_saveexec_b32 s17, s5
	s_cbranch_execnz .LBB217_73
.LBB217_54:
	s_or_b32 exec_lo, exec_lo, s17
                                        ; implicit-def: $vgpr10
	s_and_saveexec_b32 s17, s4
	s_cbranch_execnz .LBB217_80
.LBB217_55:
	s_or_b32 exec_lo, exec_lo, s17
                                        ; implicit-def: $vgpr11
	s_and_saveexec_b32 s17, s3
	s_cbranch_execnz .LBB217_87
.LBB217_56:
	s_or_b32 exec_lo, exec_lo, s17
                                        ; implicit-def: $vgpr12
	s_and_saveexec_b32 s17, s2
	s_cbranch_execnz .LBB217_94
.LBB217_57:
	s_or_b32 exec_lo, exec_lo, s17
                                        ; implicit-def: $vgpr9
	s_and_saveexec_b32 s17, s1
	s_cbranch_execnz .LBB217_101
.LBB217_58:
	s_or_b32 exec_lo, exec_lo, s17
                                        ; implicit-def: $vgpr3
	s_and_saveexec_b32 s17, s0
	s_cbranch_execnz .LBB217_108
	s_branch .LBB217_115
.LBB217_59:
	v_mov_b32_e32 v1, 0
	v_mov_b32_e32 v2, 0
	s_and_not1_b32 vcc_lo, exec_lo, s15
	s_cbranch_vccnz .LBB217_63
; %bb.60:
	v_dual_mov_b32 v3, s12 :: v_dual_mov_b32 v4, s13
	s_mov_b32 s18, 0
	.p2align	6
.LBB217_61:                             ; =>This Inner Loop Header: Depth=1
	s_delay_alu instid0(VALU_DEP_1) | instskip(NEXT) | instid1(VALU_DEP_2)
	v_sub_co_u32 v12, vcc_lo, v3, v1
	v_sub_co_ci_u32_e32 v13, vcc_lo, v4, v2, vcc_lo
	s_delay_alu instid0(VALU_DEP_1) | instskip(SKIP_1) | instid1(VALU_DEP_2)
	v_lshrrev_b64 v[14:15], 1, v[12:13]
	v_lshrrev_b64 v[12:13], 6, v[12:13]
	v_add_co_u32 v5, vcc_lo, v14, v1
	s_delay_alu instid0(VALU_DEP_3) | instskip(NEXT) | instid1(VALU_DEP_2)
	v_add_co_ci_u32_e32 v7, vcc_lo, v15, v2, vcc_lo
	v_add_co_u32 v12, vcc_lo, v5, v12
	s_delay_alu instid0(VALU_DEP_2) | instskip(NEXT) | instid1(VALU_DEP_1)
	v_add_co_ci_u32_e32 v13, vcc_lo, v7, v13, vcc_lo
	v_lshlrev_b64 v[14:15], 1, v[12:13]
	s_delay_alu instid0(VALU_DEP_1) | instskip(NEXT) | instid1(VALU_DEP_2)
	v_add_co_u32 v14, vcc_lo, s10, v14
	v_add_co_ci_u32_e32 v15, vcc_lo, s11, v15, vcc_lo
	v_add_co_u32 v7, vcc_lo, v12, 1
	v_add_co_ci_u32_e32 v10, vcc_lo, 0, v13, vcc_lo
	global_load_u16 v5, v[14:15], off
	s_waitcnt vmcnt(0)
	v_cmp_lt_u16_e32 vcc_lo, v5, v8
	v_dual_cndmask_b32 v4, v13, v4 :: v_dual_cndmask_b32 v3, v12, v3
	v_dual_cndmask_b32 v2, v2, v10 :: v_dual_cndmask_b32 v1, v1, v7
	s_delay_alu instid0(VALU_DEP_1) | instskip(SKIP_1) | instid1(SALU_CYCLE_1)
	v_cmp_ge_u64_e32 vcc_lo, v[1:2], v[3:4]
	s_or_b32 s18, vcc_lo, s18
	s_and_not1_b32 exec_lo, exec_lo, s18
	s_cbranch_execnz .LBB217_61
; %bb.62:
	s_or_b32 exec_lo, exec_lo, s18
.LBB217_63:
	s_mov_b32 s19, 0
	s_mov_b32 s18, exec_lo
	v_cmpx_ne_u64_e64 s[12:13], v[1:2]
	s_cbranch_execz .LBB217_65
; %bb.64:
	v_lshlrev_b64 v[1:2], 1, v[1:2]
	s_delay_alu instid0(VALU_DEP_1) | instskip(NEXT) | instid1(VALU_DEP_2)
	v_add_co_u32 v1, vcc_lo, s10, v1
	v_add_co_ci_u32_e32 v2, vcc_lo, s11, v2, vcc_lo
	global_load_u16 v1, v[1:2], off
	s_waitcnt vmcnt(0)
	v_cmp_le_u16_e32 vcc_lo, v1, v8
	s_and_b32 s19, vcc_lo, exec_lo
.LBB217_65:
	s_or_b32 exec_lo, exec_lo, s18
	v_cndmask_b32_e64 v5, 0, 1, s19
	s_or_b32 exec_lo, exec_lo, s17
                                        ; implicit-def: $vgpr7
	s_and_saveexec_b32 s17, s6
	s_cbranch_execz .LBB217_53
.LBB217_66:
	v_mov_b32_e32 v1, 0
	v_lshrrev_b32_e32 v7, 16, v8
	v_mov_b32_e32 v2, 0
	s_and_not1_b32 vcc_lo, exec_lo, s15
	s_cbranch_vccnz .LBB217_70
; %bb.67:
	v_dual_mov_b32 v3, s12 :: v_dual_mov_b32 v4, s13
	s_mov_b32 s18, 0
	.p2align	6
.LBB217_68:                             ; =>This Inner Loop Header: Depth=1
	s_delay_alu instid0(VALU_DEP_1) | instskip(NEXT) | instid1(VALU_DEP_2)
	v_sub_co_u32 v12, vcc_lo, v3, v1
	v_sub_co_ci_u32_e32 v13, vcc_lo, v4, v2, vcc_lo
	s_delay_alu instid0(VALU_DEP_1) | instskip(SKIP_1) | instid1(VALU_DEP_2)
	v_lshrrev_b64 v[14:15], 1, v[12:13]
	v_lshrrev_b64 v[12:13], 6, v[12:13]
	v_add_co_u32 v8, vcc_lo, v14, v1
	s_delay_alu instid0(VALU_DEP_3) | instskip(NEXT) | instid1(VALU_DEP_2)
	v_add_co_ci_u32_e32 v10, vcc_lo, v15, v2, vcc_lo
	v_add_co_u32 v12, vcc_lo, v8, v12
	s_delay_alu instid0(VALU_DEP_2) | instskip(NEXT) | instid1(VALU_DEP_1)
	v_add_co_ci_u32_e32 v13, vcc_lo, v10, v13, vcc_lo
	v_lshlrev_b64 v[14:15], 1, v[12:13]
	s_delay_alu instid0(VALU_DEP_1) | instskip(NEXT) | instid1(VALU_DEP_2)
	v_add_co_u32 v14, vcc_lo, s10, v14
	v_add_co_ci_u32_e32 v15, vcc_lo, s11, v15, vcc_lo
	v_add_co_u32 v10, vcc_lo, v12, 1
	global_load_u16 v8, v[14:15], off
	v_add_co_ci_u32_e32 v14, vcc_lo, 0, v13, vcc_lo
	s_waitcnt vmcnt(0)
	v_cmp_lt_u16_e32 vcc_lo, v8, v7
	v_dual_cndmask_b32 v4, v13, v4 :: v_dual_cndmask_b32 v3, v12, v3
	s_delay_alu instid0(VALU_DEP_3) | instskip(SKIP_1) | instid1(VALU_DEP_1)
	v_cndmask_b32_e32 v2, v2, v14, vcc_lo
	v_cndmask_b32_e32 v1, v1, v10, vcc_lo
	v_cmp_ge_u64_e32 vcc_lo, v[1:2], v[3:4]
	s_or_b32 s18, vcc_lo, s18
	s_delay_alu instid0(SALU_CYCLE_1)
	s_and_not1_b32 exec_lo, exec_lo, s18
	s_cbranch_execnz .LBB217_68
; %bb.69:
	s_or_b32 exec_lo, exec_lo, s18
.LBB217_70:
	s_mov_b32 s19, 0
	s_mov_b32 s18, exec_lo
	v_cmpx_ne_u64_e64 s[12:13], v[1:2]
	s_cbranch_execz .LBB217_72
; %bb.71:
	v_lshlrev_b64 v[1:2], 1, v[1:2]
	s_delay_alu instid0(VALU_DEP_1) | instskip(NEXT) | instid1(VALU_DEP_2)
	v_add_co_u32 v1, vcc_lo, s10, v1
	v_add_co_ci_u32_e32 v2, vcc_lo, s11, v2, vcc_lo
	global_load_u16 v1, v[1:2], off
	s_waitcnt vmcnt(0)
	v_cmp_le_u16_e32 vcc_lo, v1, v7
	s_and_b32 s19, vcc_lo, exec_lo
.LBB217_72:
	s_or_b32 exec_lo, exec_lo, s18
	v_cndmask_b32_e64 v7, 0, 1, s19
	s_or_b32 exec_lo, exec_lo, s17
                                        ; implicit-def: $vgpr8
	s_and_saveexec_b32 s17, s5
	s_cbranch_execz .LBB217_54
.LBB217_73:
	v_mov_b32_e32 v1, 0
	v_mov_b32_e32 v2, 0
	s_and_not1_b32 vcc_lo, exec_lo, s15
	s_cbranch_vccnz .LBB217_77
; %bb.74:
	v_dual_mov_b32 v3, s12 :: v_dual_mov_b32 v4, s13
	s_mov_b32 s18, 0
	.p2align	6
.LBB217_75:                             ; =>This Inner Loop Header: Depth=1
	s_delay_alu instid0(VALU_DEP_1) | instskip(NEXT) | instid1(VALU_DEP_2)
	v_sub_co_u32 v12, vcc_lo, v3, v1
	v_sub_co_ci_u32_e32 v13, vcc_lo, v4, v2, vcc_lo
	s_delay_alu instid0(VALU_DEP_1) | instskip(SKIP_1) | instid1(VALU_DEP_2)
	v_lshrrev_b64 v[14:15], 1, v[12:13]
	v_lshrrev_b64 v[12:13], 6, v[12:13]
	v_add_co_u32 v8, vcc_lo, v14, v1
	s_delay_alu instid0(VALU_DEP_3) | instskip(NEXT) | instid1(VALU_DEP_2)
	v_add_co_ci_u32_e32 v10, vcc_lo, v15, v2, vcc_lo
	v_add_co_u32 v12, vcc_lo, v8, v12
	s_delay_alu instid0(VALU_DEP_2) | instskip(NEXT) | instid1(VALU_DEP_1)
	v_add_co_ci_u32_e32 v13, vcc_lo, v10, v13, vcc_lo
	v_lshlrev_b64 v[14:15], 1, v[12:13]
	s_delay_alu instid0(VALU_DEP_1) | instskip(NEXT) | instid1(VALU_DEP_2)
	v_add_co_u32 v14, vcc_lo, s10, v14
	v_add_co_ci_u32_e32 v15, vcc_lo, s11, v15, vcc_lo
	v_add_co_u32 v10, vcc_lo, v12, 1
	global_load_u16 v8, v[14:15], off
	v_add_co_ci_u32_e32 v14, vcc_lo, 0, v13, vcc_lo
	s_waitcnt vmcnt(0)
	v_cmp_lt_u16_e32 vcc_lo, v8, v11
	v_dual_cndmask_b32 v4, v13, v4 :: v_dual_cndmask_b32 v3, v12, v3
	s_delay_alu instid0(VALU_DEP_3) | instskip(SKIP_1) | instid1(VALU_DEP_1)
	v_cndmask_b32_e32 v2, v2, v14, vcc_lo
	v_cndmask_b32_e32 v1, v1, v10, vcc_lo
	v_cmp_ge_u64_e32 vcc_lo, v[1:2], v[3:4]
	s_or_b32 s18, vcc_lo, s18
	s_delay_alu instid0(SALU_CYCLE_1)
	s_and_not1_b32 exec_lo, exec_lo, s18
	s_cbranch_execnz .LBB217_75
; %bb.76:
	s_or_b32 exec_lo, exec_lo, s18
.LBB217_77:
	s_mov_b32 s19, 0
	s_mov_b32 s18, exec_lo
	v_cmpx_ne_u64_e64 s[12:13], v[1:2]
	s_cbranch_execz .LBB217_79
; %bb.78:
	v_lshlrev_b64 v[1:2], 1, v[1:2]
	s_delay_alu instid0(VALU_DEP_1) | instskip(NEXT) | instid1(VALU_DEP_2)
	v_add_co_u32 v1, vcc_lo, s10, v1
	v_add_co_ci_u32_e32 v2, vcc_lo, s11, v2, vcc_lo
	global_load_u16 v1, v[1:2], off
	s_waitcnt vmcnt(0)
	v_cmp_le_u16_e32 vcc_lo, v1, v11
	s_and_b32 s19, vcc_lo, exec_lo
.LBB217_79:
	s_or_b32 exec_lo, exec_lo, s18
	v_cndmask_b32_e64 v8, 0, 1, s19
	s_or_b32 exec_lo, exec_lo, s17
                                        ; implicit-def: $vgpr10
	s_and_saveexec_b32 s17, s4
	s_cbranch_execz .LBB217_55
.LBB217_80:
	v_mov_b32_e32 v1, 0
	v_lshrrev_b32_e32 v10, 16, v11
	v_mov_b32_e32 v2, 0
	s_and_not1_b32 vcc_lo, exec_lo, s15
	s_cbranch_vccnz .LBB217_84
; %bb.81:
	v_dual_mov_b32 v3, s12 :: v_dual_mov_b32 v4, s13
	s_mov_b32 s18, 0
	.p2align	6
.LBB217_82:                             ; =>This Inner Loop Header: Depth=1
	s_delay_alu instid0(VALU_DEP_1) | instskip(NEXT) | instid1(VALU_DEP_2)
	v_sub_co_u32 v11, vcc_lo, v3, v1
	v_sub_co_ci_u32_e32 v12, vcc_lo, v4, v2, vcc_lo
	s_delay_alu instid0(VALU_DEP_1) | instskip(SKIP_1) | instid1(VALU_DEP_2)
	v_lshrrev_b64 v[13:14], 1, v[11:12]
	v_lshrrev_b64 v[11:12], 6, v[11:12]
	v_add_co_u32 v13, vcc_lo, v13, v1
	s_delay_alu instid0(VALU_DEP_3) | instskip(NEXT) | instid1(VALU_DEP_2)
	v_add_co_ci_u32_e32 v14, vcc_lo, v14, v2, vcc_lo
	v_add_co_u32 v11, vcc_lo, v13, v11
	s_delay_alu instid0(VALU_DEP_2) | instskip(NEXT) | instid1(VALU_DEP_1)
	v_add_co_ci_u32_e32 v12, vcc_lo, v14, v12, vcc_lo
	v_lshlrev_b64 v[13:14], 1, v[11:12]
	s_delay_alu instid0(VALU_DEP_1) | instskip(NEXT) | instid1(VALU_DEP_2)
	v_add_co_u32 v13, vcc_lo, s10, v13
	v_add_co_ci_u32_e32 v14, vcc_lo, s11, v14, vcc_lo
	global_load_u16 v13, v[13:14], off
	v_add_co_u32 v14, vcc_lo, v11, 1
	v_add_co_ci_u32_e32 v15, vcc_lo, 0, v12, vcc_lo
	s_waitcnt vmcnt(0)
	v_cmp_lt_u16_e32 vcc_lo, v13, v10
	v_dual_cndmask_b32 v4, v12, v4 :: v_dual_cndmask_b32 v3, v11, v3
	s_delay_alu instid0(VALU_DEP_3) | instskip(NEXT) | instid1(VALU_DEP_1)
	v_dual_cndmask_b32 v2, v2, v15 :: v_dual_cndmask_b32 v1, v1, v14
	v_cmp_ge_u64_e32 vcc_lo, v[1:2], v[3:4]
	s_or_b32 s18, vcc_lo, s18
	s_delay_alu instid0(SALU_CYCLE_1)
	s_and_not1_b32 exec_lo, exec_lo, s18
	s_cbranch_execnz .LBB217_82
; %bb.83:
	s_or_b32 exec_lo, exec_lo, s18
.LBB217_84:
	s_mov_b32 s19, 0
	s_mov_b32 s18, exec_lo
	v_cmpx_ne_u64_e64 s[12:13], v[1:2]
	s_cbranch_execz .LBB217_86
; %bb.85:
	v_lshlrev_b64 v[1:2], 1, v[1:2]
	s_delay_alu instid0(VALU_DEP_1) | instskip(NEXT) | instid1(VALU_DEP_2)
	v_add_co_u32 v1, vcc_lo, s10, v1
	v_add_co_ci_u32_e32 v2, vcc_lo, s11, v2, vcc_lo
	global_load_u16 v1, v[1:2], off
	s_waitcnt vmcnt(0)
	v_cmp_le_u16_e32 vcc_lo, v1, v10
	s_and_b32 s19, vcc_lo, exec_lo
.LBB217_86:
	s_or_b32 exec_lo, exec_lo, s18
	v_cndmask_b32_e64 v10, 0, 1, s19
	s_or_b32 exec_lo, exec_lo, s17
                                        ; implicit-def: $vgpr11
	s_and_saveexec_b32 s17, s3
	s_cbranch_execz .LBB217_56
.LBB217_87:
	v_mov_b32_e32 v1, 0
	v_mov_b32_e32 v2, 0
	s_and_not1_b32 vcc_lo, exec_lo, s15
	s_cbranch_vccnz .LBB217_91
; %bb.88:
	v_dual_mov_b32 v3, s12 :: v_dual_mov_b32 v4, s13
	s_mov_b32 s18, 0
	.p2align	6
.LBB217_89:                             ; =>This Inner Loop Header: Depth=1
	s_delay_alu instid0(VALU_DEP_1) | instskip(NEXT) | instid1(VALU_DEP_2)
	v_sub_co_u32 v11, vcc_lo, v3, v1
	v_sub_co_ci_u32_e32 v12, vcc_lo, v4, v2, vcc_lo
	s_delay_alu instid0(VALU_DEP_1) | instskip(SKIP_1) | instid1(VALU_DEP_2)
	v_lshrrev_b64 v[13:14], 1, v[11:12]
	v_lshrrev_b64 v[11:12], 6, v[11:12]
	v_add_co_u32 v13, vcc_lo, v13, v1
	s_delay_alu instid0(VALU_DEP_3) | instskip(NEXT) | instid1(VALU_DEP_2)
	v_add_co_ci_u32_e32 v14, vcc_lo, v14, v2, vcc_lo
	v_add_co_u32 v11, vcc_lo, v13, v11
	s_delay_alu instid0(VALU_DEP_2) | instskip(NEXT) | instid1(VALU_DEP_1)
	v_add_co_ci_u32_e32 v12, vcc_lo, v14, v12, vcc_lo
	v_lshlrev_b64 v[13:14], 1, v[11:12]
	s_delay_alu instid0(VALU_DEP_1) | instskip(NEXT) | instid1(VALU_DEP_2)
	v_add_co_u32 v13, vcc_lo, s10, v13
	v_add_co_ci_u32_e32 v14, vcc_lo, s11, v14, vcc_lo
	global_load_u16 v13, v[13:14], off
	v_add_co_u32 v14, vcc_lo, v11, 1
	v_add_co_ci_u32_e32 v15, vcc_lo, 0, v12, vcc_lo
	s_waitcnt vmcnt(0)
	v_cmp_lt_u16_e32 vcc_lo, v13, v9
	v_dual_cndmask_b32 v4, v12, v4 :: v_dual_cndmask_b32 v3, v11, v3
	s_delay_alu instid0(VALU_DEP_3) | instskip(NEXT) | instid1(VALU_DEP_1)
	v_dual_cndmask_b32 v2, v2, v15 :: v_dual_cndmask_b32 v1, v1, v14
	v_cmp_ge_u64_e32 vcc_lo, v[1:2], v[3:4]
	s_or_b32 s18, vcc_lo, s18
	s_delay_alu instid0(SALU_CYCLE_1)
	s_and_not1_b32 exec_lo, exec_lo, s18
	s_cbranch_execnz .LBB217_89
; %bb.90:
	s_or_b32 exec_lo, exec_lo, s18
.LBB217_91:
	s_mov_b32 s19, 0
	s_mov_b32 s18, exec_lo
	v_cmpx_ne_u64_e64 s[12:13], v[1:2]
	s_cbranch_execz .LBB217_93
; %bb.92:
	v_lshlrev_b64 v[1:2], 1, v[1:2]
	s_delay_alu instid0(VALU_DEP_1) | instskip(NEXT) | instid1(VALU_DEP_2)
	v_add_co_u32 v1, vcc_lo, s10, v1
	v_add_co_ci_u32_e32 v2, vcc_lo, s11, v2, vcc_lo
	global_load_u16 v1, v[1:2], off
	s_waitcnt vmcnt(0)
	v_cmp_le_u16_e32 vcc_lo, v1, v9
	s_and_b32 s19, vcc_lo, exec_lo
.LBB217_93:
	s_or_b32 exec_lo, exec_lo, s18
	v_cndmask_b32_e64 v11, 0, 1, s19
	s_or_b32 exec_lo, exec_lo, s17
                                        ; implicit-def: $vgpr12
	s_and_saveexec_b32 s17, s2
	s_cbranch_execz .LBB217_57
.LBB217_94:
	v_mov_b32_e32 v1, 0
	v_lshrrev_b32_e32 v9, 16, v9
	v_mov_b32_e32 v2, 0
	s_and_not1_b32 vcc_lo, exec_lo, s15
	s_cbranch_vccnz .LBB217_98
; %bb.95:
	v_dual_mov_b32 v3, s12 :: v_dual_mov_b32 v4, s13
	s_mov_b32 s18, 0
	.p2align	6
.LBB217_96:                             ; =>This Inner Loop Header: Depth=1
	s_delay_alu instid0(VALU_DEP_1) | instskip(NEXT) | instid1(VALU_DEP_2)
	v_sub_co_u32 v12, vcc_lo, v3, v1
	v_sub_co_ci_u32_e32 v13, vcc_lo, v4, v2, vcc_lo
	s_delay_alu instid0(VALU_DEP_1) | instskip(SKIP_1) | instid1(VALU_DEP_2)
	v_lshrrev_b64 v[14:15], 1, v[12:13]
	v_lshrrev_b64 v[12:13], 6, v[12:13]
	v_add_co_u32 v14, vcc_lo, v14, v1
	s_delay_alu instid0(VALU_DEP_3) | instskip(NEXT) | instid1(VALU_DEP_2)
	v_add_co_ci_u32_e32 v15, vcc_lo, v15, v2, vcc_lo
	v_add_co_u32 v12, vcc_lo, v14, v12
	s_delay_alu instid0(VALU_DEP_2) | instskip(NEXT) | instid1(VALU_DEP_1)
	v_add_co_ci_u32_e32 v13, vcc_lo, v15, v13, vcc_lo
	v_lshlrev_b64 v[14:15], 1, v[12:13]
	s_delay_alu instid0(VALU_DEP_1) | instskip(NEXT) | instid1(VALU_DEP_2)
	v_add_co_u32 v14, vcc_lo, s10, v14
	v_add_co_ci_u32_e32 v15, vcc_lo, s11, v15, vcc_lo
	global_load_u16 v14, v[14:15], off
	v_add_co_u32 v15, vcc_lo, v12, 1
	v_add_co_ci_u32_e32 v16, vcc_lo, 0, v13, vcc_lo
	s_waitcnt vmcnt(0)
	v_cmp_lt_u16_e32 vcc_lo, v14, v9
	v_dual_cndmask_b32 v4, v13, v4 :: v_dual_cndmask_b32 v3, v12, v3
	s_delay_alu instid0(VALU_DEP_3) | instskip(NEXT) | instid1(VALU_DEP_1)
	v_dual_cndmask_b32 v2, v2, v16 :: v_dual_cndmask_b32 v1, v1, v15
	v_cmp_ge_u64_e32 vcc_lo, v[1:2], v[3:4]
	s_or_b32 s18, vcc_lo, s18
	s_delay_alu instid0(SALU_CYCLE_1)
	s_and_not1_b32 exec_lo, exec_lo, s18
	s_cbranch_execnz .LBB217_96
; %bb.97:
	s_or_b32 exec_lo, exec_lo, s18
.LBB217_98:
	s_mov_b32 s19, 0
	s_mov_b32 s18, exec_lo
	v_cmpx_ne_u64_e64 s[12:13], v[1:2]
	s_cbranch_execz .LBB217_100
; %bb.99:
	v_lshlrev_b64 v[1:2], 1, v[1:2]
	s_delay_alu instid0(VALU_DEP_1) | instskip(NEXT) | instid1(VALU_DEP_2)
	v_add_co_u32 v1, vcc_lo, s10, v1
	v_add_co_ci_u32_e32 v2, vcc_lo, s11, v2, vcc_lo
	global_load_u16 v1, v[1:2], off
	s_waitcnt vmcnt(0)
	v_cmp_le_u16_e32 vcc_lo, v1, v9
	s_and_b32 s19, vcc_lo, exec_lo
.LBB217_100:
	s_or_b32 exec_lo, exec_lo, s18
	v_cndmask_b32_e64 v12, 0, 1, s19
	s_or_b32 exec_lo, exec_lo, s17
                                        ; implicit-def: $vgpr9
	s_and_saveexec_b32 s17, s1
	s_cbranch_execz .LBB217_58
.LBB217_101:
	v_mov_b32_e32 v1, 0
	v_mov_b32_e32 v2, 0
	s_and_not1_b32 vcc_lo, exec_lo, s15
	s_cbranch_vccnz .LBB217_105
; %bb.102:
	v_dual_mov_b32 v3, s12 :: v_dual_mov_b32 v4, s13
	s_mov_b32 s18, 0
	.p2align	6
.LBB217_103:                            ; =>This Inner Loop Header: Depth=1
	s_delay_alu instid0(VALU_DEP_1) | instskip(NEXT) | instid1(VALU_DEP_2)
	v_sub_co_u32 v13, vcc_lo, v3, v1
	v_sub_co_ci_u32_e32 v14, vcc_lo, v4, v2, vcc_lo
	s_delay_alu instid0(VALU_DEP_1) | instskip(SKIP_1) | instid1(VALU_DEP_2)
	v_lshrrev_b64 v[15:16], 1, v[13:14]
	v_lshrrev_b64 v[13:14], 6, v[13:14]
	v_add_co_u32 v9, vcc_lo, v15, v1
	s_delay_alu instid0(VALU_DEP_3) | instskip(NEXT) | instid1(VALU_DEP_2)
	v_add_co_ci_u32_e32 v15, vcc_lo, v16, v2, vcc_lo
	v_add_co_u32 v13, vcc_lo, v9, v13
	s_delay_alu instid0(VALU_DEP_2) | instskip(NEXT) | instid1(VALU_DEP_1)
	v_add_co_ci_u32_e32 v14, vcc_lo, v15, v14, vcc_lo
	v_lshlrev_b64 v[15:16], 1, v[13:14]
	s_delay_alu instid0(VALU_DEP_1) | instskip(NEXT) | instid1(VALU_DEP_2)
	v_add_co_u32 v15, vcc_lo, s10, v15
	v_add_co_ci_u32_e32 v16, vcc_lo, s11, v16, vcc_lo
	global_load_u16 v9, v[15:16], off
	v_add_co_u32 v15, vcc_lo, v13, 1
	v_add_co_ci_u32_e32 v16, vcc_lo, 0, v14, vcc_lo
	s_waitcnt vmcnt(0)
	v_cmp_lt_u16_e32 vcc_lo, v9, v6
	v_dual_cndmask_b32 v4, v14, v4 :: v_dual_cndmask_b32 v3, v13, v3
	s_delay_alu instid0(VALU_DEP_3) | instskip(NEXT) | instid1(VALU_DEP_1)
	v_dual_cndmask_b32 v2, v2, v16 :: v_dual_cndmask_b32 v1, v1, v15
	v_cmp_ge_u64_e32 vcc_lo, v[1:2], v[3:4]
	s_or_b32 s18, vcc_lo, s18
	s_delay_alu instid0(SALU_CYCLE_1)
	s_and_not1_b32 exec_lo, exec_lo, s18
	s_cbranch_execnz .LBB217_103
; %bb.104:
	s_or_b32 exec_lo, exec_lo, s18
.LBB217_105:
	s_mov_b32 s19, 0
	s_mov_b32 s18, exec_lo
	v_cmpx_ne_u64_e64 s[12:13], v[1:2]
	s_cbranch_execz .LBB217_107
; %bb.106:
	v_lshlrev_b64 v[1:2], 1, v[1:2]
	s_delay_alu instid0(VALU_DEP_1) | instskip(NEXT) | instid1(VALU_DEP_2)
	v_add_co_u32 v1, vcc_lo, s10, v1
	v_add_co_ci_u32_e32 v2, vcc_lo, s11, v2, vcc_lo
	global_load_u16 v1, v[1:2], off
	s_waitcnt vmcnt(0)
	v_cmp_le_u16_e32 vcc_lo, v1, v6
	s_and_b32 s19, vcc_lo, exec_lo
.LBB217_107:
	s_or_b32 exec_lo, exec_lo, s18
	v_cndmask_b32_e64 v9, 0, 1, s19
	s_or_b32 exec_lo, exec_lo, s17
                                        ; implicit-def: $vgpr3
	s_and_saveexec_b32 s17, s0
	s_cbranch_execz .LBB217_115
.LBB217_108:
	v_mov_b32_e32 v1, 0
	v_lshrrev_b32_e32 v6, 16, v6
	v_mov_b32_e32 v2, 0
	s_and_not1_b32 vcc_lo, exec_lo, s15
	s_cbranch_vccnz .LBB217_112
; %bb.109:
	v_dual_mov_b32 v3, s12 :: v_dual_mov_b32 v4, s13
	s_mov_b32 s15, 0
	.p2align	6
.LBB217_110:                            ; =>This Inner Loop Header: Depth=1
	s_delay_alu instid0(VALU_DEP_1) | instskip(NEXT) | instid1(VALU_DEP_2)
	v_sub_co_u32 v13, vcc_lo, v3, v1
	v_sub_co_ci_u32_e32 v14, vcc_lo, v4, v2, vcc_lo
	s_delay_alu instid0(VALU_DEP_1) | instskip(SKIP_1) | instid1(VALU_DEP_2)
	v_lshrrev_b64 v[15:16], 1, v[13:14]
	v_lshrrev_b64 v[13:14], 6, v[13:14]
	v_add_co_u32 v15, vcc_lo, v15, v1
	s_delay_alu instid0(VALU_DEP_3) | instskip(NEXT) | instid1(VALU_DEP_2)
	v_add_co_ci_u32_e32 v16, vcc_lo, v16, v2, vcc_lo
	v_add_co_u32 v13, vcc_lo, v15, v13
	s_delay_alu instid0(VALU_DEP_2) | instskip(NEXT) | instid1(VALU_DEP_1)
	v_add_co_ci_u32_e32 v14, vcc_lo, v16, v14, vcc_lo
	v_lshlrev_b64 v[15:16], 1, v[13:14]
	s_delay_alu instid0(VALU_DEP_1) | instskip(NEXT) | instid1(VALU_DEP_2)
	v_add_co_u32 v15, vcc_lo, s10, v15
	v_add_co_ci_u32_e32 v16, vcc_lo, s11, v16, vcc_lo
	global_load_u16 v15, v[15:16], off
	v_add_co_u32 v16, vcc_lo, v13, 1
	v_add_co_ci_u32_e32 v17, vcc_lo, 0, v14, vcc_lo
	s_waitcnt vmcnt(0)
	v_cmp_lt_u16_e32 vcc_lo, v15, v6
	v_dual_cndmask_b32 v4, v14, v4 :: v_dual_cndmask_b32 v3, v13, v3
	s_delay_alu instid0(VALU_DEP_3) | instskip(NEXT) | instid1(VALU_DEP_1)
	v_dual_cndmask_b32 v2, v2, v17 :: v_dual_cndmask_b32 v1, v1, v16
	v_cmp_ge_u64_e32 vcc_lo, v[1:2], v[3:4]
	s_or_b32 s15, vcc_lo, s15
	s_delay_alu instid0(SALU_CYCLE_1)
	s_and_not1_b32 exec_lo, exec_lo, s15
	s_cbranch_execnz .LBB217_110
; %bb.111:
	s_or_b32 exec_lo, exec_lo, s15
.LBB217_112:
	s_delay_alu instid0(VALU_DEP_1)
	v_cmp_ne_u64_e32 vcc_lo, s[12:13], v[1:2]
	s_mov_b32 s13, 0
	s_and_saveexec_b32 s12, vcc_lo
	s_cbranch_execz .LBB217_114
; %bb.113:
	v_lshlrev_b64 v[1:2], 1, v[1:2]
	s_delay_alu instid0(VALU_DEP_1) | instskip(NEXT) | instid1(VALU_DEP_2)
	v_add_co_u32 v1, vcc_lo, s10, v1
	v_add_co_ci_u32_e32 v2, vcc_lo, s11, v2, vcc_lo
	global_load_u16 v1, v[1:2], off
	s_waitcnt vmcnt(0)
	v_cmp_le_u16_e32 vcc_lo, v1, v6
	s_and_b32 s13, vcc_lo, exec_lo
.LBB217_114:
	s_or_b32 exec_lo, exec_lo, s12
	v_cndmask_b32_e64 v3, 0, 1, s13
.LBB217_115:
	s_or_b32 exec_lo, exec_lo, s17
	s_add_u32 s8, s8, s14
	s_addc_u32 s9, s9, 0
	v_add_co_u32 v1, s8, s8, v0
	s_delay_alu instid0(VALU_DEP_1) | instskip(SKIP_1) | instid1(SALU_CYCLE_1)
	v_add_co_ci_u32_e64 v2, null, s9, 0, s8
	s_and_saveexec_b32 s8, s7
	s_xor_b32 s7, exec_lo, s8
	s_cbranch_execnz .LBB217_128
; %bb.116:
	s_or_b32 exec_lo, exec_lo, s7
	s_and_saveexec_b32 s7, s6
	s_cbranch_execnz .LBB217_129
.LBB217_117:
	s_or_b32 exec_lo, exec_lo, s7
	s_and_saveexec_b32 s6, s5
	s_cbranch_execnz .LBB217_130
.LBB217_118:
	s_or_b32 exec_lo, exec_lo, s6
	s_and_saveexec_b32 s5, s4
	s_cbranch_execnz .LBB217_131
.LBB217_119:
	s_or_b32 exec_lo, exec_lo, s5
	s_and_saveexec_b32 s4, s3
	s_cbranch_execnz .LBB217_132
.LBB217_120:
	s_or_b32 exec_lo, exec_lo, s4
	s_and_saveexec_b32 s3, s2
	s_cbranch_execnz .LBB217_133
.LBB217_121:
	s_or_b32 exec_lo, exec_lo, s3
	s_and_saveexec_b32 s2, s1
	s_cbranch_execnz .LBB217_134
.LBB217_122:
	s_or_b32 exec_lo, exec_lo, s2
	s_and_saveexec_b32 s1, s0
.LBB217_123:
	s_or_b32 s16, s16, exec_lo
.LBB217_124:
	s_or_b32 exec_lo, exec_lo, s1
.LBB217_125:
	s_and_saveexec_b32 s0, s16
	s_cbranch_execnz .LBB217_127
; %bb.126:
	s_nop 0
	s_sendmsg sendmsg(MSG_DEALLOC_VGPRS)
	s_endpgm
.LBB217_127:
	global_store_b8 v[1:2], v3, off offset:448
	s_nop 0
	s_sendmsg sendmsg(MSG_DEALLOC_VGPRS)
	s_endpgm
.LBB217_128:
	global_store_b8 v[1:2], v5, off
	s_or_b32 exec_lo, exec_lo, s7
	s_and_saveexec_b32 s7, s6
	s_cbranch_execz .LBB217_117
.LBB217_129:
	global_store_b8 v[1:2], v7, off offset:64
	s_or_b32 exec_lo, exec_lo, s7
	s_and_saveexec_b32 s6, s5
	s_cbranch_execz .LBB217_118
.LBB217_130:
	global_store_b8 v[1:2], v8, off offset:128
	s_or_b32 exec_lo, exec_lo, s6
	s_and_saveexec_b32 s5, s4
	s_cbranch_execz .LBB217_119
.LBB217_131:
	global_store_b8 v[1:2], v10, off offset:192
	s_or_b32 exec_lo, exec_lo, s5
	s_and_saveexec_b32 s4, s3
	s_cbranch_execz .LBB217_120
.LBB217_132:
	global_store_b8 v[1:2], v11, off offset:256
	s_or_b32 exec_lo, exec_lo, s4
	s_and_saveexec_b32 s3, s2
	s_cbranch_execz .LBB217_121
.LBB217_133:
	global_store_b8 v[1:2], v12, off offset:320
	s_or_b32 exec_lo, exec_lo, s3
	s_and_saveexec_b32 s2, s1
	s_cbranch_execz .LBB217_122
.LBB217_134:
	global_store_b8 v[1:2], v9, off offset:384
	s_or_b32 exec_lo, exec_lo, s2
	s_and_saveexec_b32 s1, s0
	s_cbranch_execnz .LBB217_123
	s_branch .LBB217_124
	.section	.rodata,"a",@progbits
	.p2align	6, 0x0
	.amdhsa_kernel _ZN7rocprim17ROCPRIM_400000_NS6detail17trampoline_kernelINS0_14default_configENS1_29binary_search_config_selectorItbEEZNS1_14transform_implILb0ES3_S5_N6thrust23THRUST_200600_302600_NS17counting_iteratorItNS8_11use_defaultESA_SA_EEPbZNS1_13binary_searchIS3_S5_PtSB_SC_NS1_16binary_search_opENS8_6detail16wrapped_functionINS0_4lessIvEEbEEEE10hipError_tPvRmT1_T2_T3_mmT4_T5_P12ihipStream_tbEUlRKtE_EESL_SP_SQ_mSR_SU_bEUlT_E_NS1_11comp_targetILNS1_3genE9ELNS1_11target_archE1100ELNS1_3gpuE3ELNS1_3repE0EEENS1_30default_config_static_selectorELNS0_4arch9wavefront6targetE0EEEvSO_
		.amdhsa_group_segment_fixed_size 0
		.amdhsa_private_segment_fixed_size 0
		.amdhsa_kernarg_size 312
		.amdhsa_user_sgpr_count 15
		.amdhsa_user_sgpr_dispatch_ptr 0
		.amdhsa_user_sgpr_queue_ptr 0
		.amdhsa_user_sgpr_kernarg_segment_ptr 1
		.amdhsa_user_sgpr_dispatch_id 0
		.amdhsa_user_sgpr_private_segment_size 0
		.amdhsa_wavefront_size32 1
		.amdhsa_uses_dynamic_stack 0
		.amdhsa_enable_private_segment 0
		.amdhsa_system_sgpr_workgroup_id_x 1
		.amdhsa_system_sgpr_workgroup_id_y 0
		.amdhsa_system_sgpr_workgroup_id_z 0
		.amdhsa_system_sgpr_workgroup_info 0
		.amdhsa_system_vgpr_workitem_id 0
		.amdhsa_next_free_vgpr 18
		.amdhsa_next_free_sgpr 20
		.amdhsa_reserve_vcc 1
		.amdhsa_float_round_mode_32 0
		.amdhsa_float_round_mode_16_64 0
		.amdhsa_float_denorm_mode_32 3
		.amdhsa_float_denorm_mode_16_64 3
		.amdhsa_dx10_clamp 1
		.amdhsa_ieee_mode 1
		.amdhsa_fp16_overflow 0
		.amdhsa_workgroup_processor_mode 1
		.amdhsa_memory_ordered 1
		.amdhsa_forward_progress 0
		.amdhsa_shared_vgpr_count 0
		.amdhsa_exception_fp_ieee_invalid_op 0
		.amdhsa_exception_fp_denorm_src 0
		.amdhsa_exception_fp_ieee_div_zero 0
		.amdhsa_exception_fp_ieee_overflow 0
		.amdhsa_exception_fp_ieee_underflow 0
		.amdhsa_exception_fp_ieee_inexact 0
		.amdhsa_exception_int_div_zero 0
	.end_amdhsa_kernel
	.section	.text._ZN7rocprim17ROCPRIM_400000_NS6detail17trampoline_kernelINS0_14default_configENS1_29binary_search_config_selectorItbEEZNS1_14transform_implILb0ES3_S5_N6thrust23THRUST_200600_302600_NS17counting_iteratorItNS8_11use_defaultESA_SA_EEPbZNS1_13binary_searchIS3_S5_PtSB_SC_NS1_16binary_search_opENS8_6detail16wrapped_functionINS0_4lessIvEEbEEEE10hipError_tPvRmT1_T2_T3_mmT4_T5_P12ihipStream_tbEUlRKtE_EESL_SP_SQ_mSR_SU_bEUlT_E_NS1_11comp_targetILNS1_3genE9ELNS1_11target_archE1100ELNS1_3gpuE3ELNS1_3repE0EEENS1_30default_config_static_selectorELNS0_4arch9wavefront6targetE0EEEvSO_,"axG",@progbits,_ZN7rocprim17ROCPRIM_400000_NS6detail17trampoline_kernelINS0_14default_configENS1_29binary_search_config_selectorItbEEZNS1_14transform_implILb0ES3_S5_N6thrust23THRUST_200600_302600_NS17counting_iteratorItNS8_11use_defaultESA_SA_EEPbZNS1_13binary_searchIS3_S5_PtSB_SC_NS1_16binary_search_opENS8_6detail16wrapped_functionINS0_4lessIvEEbEEEE10hipError_tPvRmT1_T2_T3_mmT4_T5_P12ihipStream_tbEUlRKtE_EESL_SP_SQ_mSR_SU_bEUlT_E_NS1_11comp_targetILNS1_3genE9ELNS1_11target_archE1100ELNS1_3gpuE3ELNS1_3repE0EEENS1_30default_config_static_selectorELNS0_4arch9wavefront6targetE0EEEvSO_,comdat
.Lfunc_end217:
	.size	_ZN7rocprim17ROCPRIM_400000_NS6detail17trampoline_kernelINS0_14default_configENS1_29binary_search_config_selectorItbEEZNS1_14transform_implILb0ES3_S5_N6thrust23THRUST_200600_302600_NS17counting_iteratorItNS8_11use_defaultESA_SA_EEPbZNS1_13binary_searchIS3_S5_PtSB_SC_NS1_16binary_search_opENS8_6detail16wrapped_functionINS0_4lessIvEEbEEEE10hipError_tPvRmT1_T2_T3_mmT4_T5_P12ihipStream_tbEUlRKtE_EESL_SP_SQ_mSR_SU_bEUlT_E_NS1_11comp_targetILNS1_3genE9ELNS1_11target_archE1100ELNS1_3gpuE3ELNS1_3repE0EEENS1_30default_config_static_selectorELNS0_4arch9wavefront6targetE0EEEvSO_, .Lfunc_end217-_ZN7rocprim17ROCPRIM_400000_NS6detail17trampoline_kernelINS0_14default_configENS1_29binary_search_config_selectorItbEEZNS1_14transform_implILb0ES3_S5_N6thrust23THRUST_200600_302600_NS17counting_iteratorItNS8_11use_defaultESA_SA_EEPbZNS1_13binary_searchIS3_S5_PtSB_SC_NS1_16binary_search_opENS8_6detail16wrapped_functionINS0_4lessIvEEbEEEE10hipError_tPvRmT1_T2_T3_mmT4_T5_P12ihipStream_tbEUlRKtE_EESL_SP_SQ_mSR_SU_bEUlT_E_NS1_11comp_targetILNS1_3genE9ELNS1_11target_archE1100ELNS1_3gpuE3ELNS1_3repE0EEENS1_30default_config_static_selectorELNS0_4arch9wavefront6targetE0EEEvSO_
                                        ; -- End function
	.section	.AMDGPU.csdata,"",@progbits
; Kernel info:
; codeLenInByte = 5444
; NumSgprs: 22
; NumVgprs: 18
; ScratchSize: 0
; MemoryBound: 0
; FloatMode: 240
; IeeeMode: 1
; LDSByteSize: 0 bytes/workgroup (compile time only)
; SGPRBlocks: 2
; VGPRBlocks: 2
; NumSGPRsForWavesPerEU: 22
; NumVGPRsForWavesPerEU: 18
; Occupancy: 16
; WaveLimiterHint : 0
; COMPUTE_PGM_RSRC2:SCRATCH_EN: 0
; COMPUTE_PGM_RSRC2:USER_SGPR: 15
; COMPUTE_PGM_RSRC2:TRAP_HANDLER: 0
; COMPUTE_PGM_RSRC2:TGID_X_EN: 1
; COMPUTE_PGM_RSRC2:TGID_Y_EN: 0
; COMPUTE_PGM_RSRC2:TGID_Z_EN: 0
; COMPUTE_PGM_RSRC2:TIDIG_COMP_CNT: 0
	.section	.text._ZN7rocprim17ROCPRIM_400000_NS6detail17trampoline_kernelINS0_14default_configENS1_29binary_search_config_selectorItbEEZNS1_14transform_implILb0ES3_S5_N6thrust23THRUST_200600_302600_NS17counting_iteratorItNS8_11use_defaultESA_SA_EEPbZNS1_13binary_searchIS3_S5_PtSB_SC_NS1_16binary_search_opENS8_6detail16wrapped_functionINS0_4lessIvEEbEEEE10hipError_tPvRmT1_T2_T3_mmT4_T5_P12ihipStream_tbEUlRKtE_EESL_SP_SQ_mSR_SU_bEUlT_E_NS1_11comp_targetILNS1_3genE8ELNS1_11target_archE1030ELNS1_3gpuE2ELNS1_3repE0EEENS1_30default_config_static_selectorELNS0_4arch9wavefront6targetE0EEEvSO_,"axG",@progbits,_ZN7rocprim17ROCPRIM_400000_NS6detail17trampoline_kernelINS0_14default_configENS1_29binary_search_config_selectorItbEEZNS1_14transform_implILb0ES3_S5_N6thrust23THRUST_200600_302600_NS17counting_iteratorItNS8_11use_defaultESA_SA_EEPbZNS1_13binary_searchIS3_S5_PtSB_SC_NS1_16binary_search_opENS8_6detail16wrapped_functionINS0_4lessIvEEbEEEE10hipError_tPvRmT1_T2_T3_mmT4_T5_P12ihipStream_tbEUlRKtE_EESL_SP_SQ_mSR_SU_bEUlT_E_NS1_11comp_targetILNS1_3genE8ELNS1_11target_archE1030ELNS1_3gpuE2ELNS1_3repE0EEENS1_30default_config_static_selectorELNS0_4arch9wavefront6targetE0EEEvSO_,comdat
	.protected	_ZN7rocprim17ROCPRIM_400000_NS6detail17trampoline_kernelINS0_14default_configENS1_29binary_search_config_selectorItbEEZNS1_14transform_implILb0ES3_S5_N6thrust23THRUST_200600_302600_NS17counting_iteratorItNS8_11use_defaultESA_SA_EEPbZNS1_13binary_searchIS3_S5_PtSB_SC_NS1_16binary_search_opENS8_6detail16wrapped_functionINS0_4lessIvEEbEEEE10hipError_tPvRmT1_T2_T3_mmT4_T5_P12ihipStream_tbEUlRKtE_EESL_SP_SQ_mSR_SU_bEUlT_E_NS1_11comp_targetILNS1_3genE8ELNS1_11target_archE1030ELNS1_3gpuE2ELNS1_3repE0EEENS1_30default_config_static_selectorELNS0_4arch9wavefront6targetE0EEEvSO_ ; -- Begin function _ZN7rocprim17ROCPRIM_400000_NS6detail17trampoline_kernelINS0_14default_configENS1_29binary_search_config_selectorItbEEZNS1_14transform_implILb0ES3_S5_N6thrust23THRUST_200600_302600_NS17counting_iteratorItNS8_11use_defaultESA_SA_EEPbZNS1_13binary_searchIS3_S5_PtSB_SC_NS1_16binary_search_opENS8_6detail16wrapped_functionINS0_4lessIvEEbEEEE10hipError_tPvRmT1_T2_T3_mmT4_T5_P12ihipStream_tbEUlRKtE_EESL_SP_SQ_mSR_SU_bEUlT_E_NS1_11comp_targetILNS1_3genE8ELNS1_11target_archE1030ELNS1_3gpuE2ELNS1_3repE0EEENS1_30default_config_static_selectorELNS0_4arch9wavefront6targetE0EEEvSO_
	.globl	_ZN7rocprim17ROCPRIM_400000_NS6detail17trampoline_kernelINS0_14default_configENS1_29binary_search_config_selectorItbEEZNS1_14transform_implILb0ES3_S5_N6thrust23THRUST_200600_302600_NS17counting_iteratorItNS8_11use_defaultESA_SA_EEPbZNS1_13binary_searchIS3_S5_PtSB_SC_NS1_16binary_search_opENS8_6detail16wrapped_functionINS0_4lessIvEEbEEEE10hipError_tPvRmT1_T2_T3_mmT4_T5_P12ihipStream_tbEUlRKtE_EESL_SP_SQ_mSR_SU_bEUlT_E_NS1_11comp_targetILNS1_3genE8ELNS1_11target_archE1030ELNS1_3gpuE2ELNS1_3repE0EEENS1_30default_config_static_selectorELNS0_4arch9wavefront6targetE0EEEvSO_
	.p2align	8
	.type	_ZN7rocprim17ROCPRIM_400000_NS6detail17trampoline_kernelINS0_14default_configENS1_29binary_search_config_selectorItbEEZNS1_14transform_implILb0ES3_S5_N6thrust23THRUST_200600_302600_NS17counting_iteratorItNS8_11use_defaultESA_SA_EEPbZNS1_13binary_searchIS3_S5_PtSB_SC_NS1_16binary_search_opENS8_6detail16wrapped_functionINS0_4lessIvEEbEEEE10hipError_tPvRmT1_T2_T3_mmT4_T5_P12ihipStream_tbEUlRKtE_EESL_SP_SQ_mSR_SU_bEUlT_E_NS1_11comp_targetILNS1_3genE8ELNS1_11target_archE1030ELNS1_3gpuE2ELNS1_3repE0EEENS1_30default_config_static_selectorELNS0_4arch9wavefront6targetE0EEEvSO_,@function
_ZN7rocprim17ROCPRIM_400000_NS6detail17trampoline_kernelINS0_14default_configENS1_29binary_search_config_selectorItbEEZNS1_14transform_implILb0ES3_S5_N6thrust23THRUST_200600_302600_NS17counting_iteratorItNS8_11use_defaultESA_SA_EEPbZNS1_13binary_searchIS3_S5_PtSB_SC_NS1_16binary_search_opENS8_6detail16wrapped_functionINS0_4lessIvEEbEEEE10hipError_tPvRmT1_T2_T3_mmT4_T5_P12ihipStream_tbEUlRKtE_EESL_SP_SQ_mSR_SU_bEUlT_E_NS1_11comp_targetILNS1_3genE8ELNS1_11target_archE1030ELNS1_3gpuE2ELNS1_3repE0EEENS1_30default_config_static_selectorELNS0_4arch9wavefront6targetE0EEEvSO_: ; @_ZN7rocprim17ROCPRIM_400000_NS6detail17trampoline_kernelINS0_14default_configENS1_29binary_search_config_selectorItbEEZNS1_14transform_implILb0ES3_S5_N6thrust23THRUST_200600_302600_NS17counting_iteratorItNS8_11use_defaultESA_SA_EEPbZNS1_13binary_searchIS3_S5_PtSB_SC_NS1_16binary_search_opENS8_6detail16wrapped_functionINS0_4lessIvEEbEEEE10hipError_tPvRmT1_T2_T3_mmT4_T5_P12ihipStream_tbEUlRKtE_EESL_SP_SQ_mSR_SU_bEUlT_E_NS1_11comp_targetILNS1_3genE8ELNS1_11target_archE1030ELNS1_3gpuE2ELNS1_3repE0EEENS1_30default_config_static_selectorELNS0_4arch9wavefront6targetE0EEEvSO_
; %bb.0:
	.section	.rodata,"a",@progbits
	.p2align	6, 0x0
	.amdhsa_kernel _ZN7rocprim17ROCPRIM_400000_NS6detail17trampoline_kernelINS0_14default_configENS1_29binary_search_config_selectorItbEEZNS1_14transform_implILb0ES3_S5_N6thrust23THRUST_200600_302600_NS17counting_iteratorItNS8_11use_defaultESA_SA_EEPbZNS1_13binary_searchIS3_S5_PtSB_SC_NS1_16binary_search_opENS8_6detail16wrapped_functionINS0_4lessIvEEbEEEE10hipError_tPvRmT1_T2_T3_mmT4_T5_P12ihipStream_tbEUlRKtE_EESL_SP_SQ_mSR_SU_bEUlT_E_NS1_11comp_targetILNS1_3genE8ELNS1_11target_archE1030ELNS1_3gpuE2ELNS1_3repE0EEENS1_30default_config_static_selectorELNS0_4arch9wavefront6targetE0EEEvSO_
		.amdhsa_group_segment_fixed_size 0
		.amdhsa_private_segment_fixed_size 0
		.amdhsa_kernarg_size 56
		.amdhsa_user_sgpr_count 15
		.amdhsa_user_sgpr_dispatch_ptr 0
		.amdhsa_user_sgpr_queue_ptr 0
		.amdhsa_user_sgpr_kernarg_segment_ptr 1
		.amdhsa_user_sgpr_dispatch_id 0
		.amdhsa_user_sgpr_private_segment_size 0
		.amdhsa_wavefront_size32 1
		.amdhsa_uses_dynamic_stack 0
		.amdhsa_enable_private_segment 0
		.amdhsa_system_sgpr_workgroup_id_x 1
		.amdhsa_system_sgpr_workgroup_id_y 0
		.amdhsa_system_sgpr_workgroup_id_z 0
		.amdhsa_system_sgpr_workgroup_info 0
		.amdhsa_system_vgpr_workitem_id 0
		.amdhsa_next_free_vgpr 1
		.amdhsa_next_free_sgpr 1
		.amdhsa_reserve_vcc 0
		.amdhsa_float_round_mode_32 0
		.amdhsa_float_round_mode_16_64 0
		.amdhsa_float_denorm_mode_32 3
		.amdhsa_float_denorm_mode_16_64 3
		.amdhsa_dx10_clamp 1
		.amdhsa_ieee_mode 1
		.amdhsa_fp16_overflow 0
		.amdhsa_workgroup_processor_mode 1
		.amdhsa_memory_ordered 1
		.amdhsa_forward_progress 0
		.amdhsa_shared_vgpr_count 0
		.amdhsa_exception_fp_ieee_invalid_op 0
		.amdhsa_exception_fp_denorm_src 0
		.amdhsa_exception_fp_ieee_div_zero 0
		.amdhsa_exception_fp_ieee_overflow 0
		.amdhsa_exception_fp_ieee_underflow 0
		.amdhsa_exception_fp_ieee_inexact 0
		.amdhsa_exception_int_div_zero 0
	.end_amdhsa_kernel
	.section	.text._ZN7rocprim17ROCPRIM_400000_NS6detail17trampoline_kernelINS0_14default_configENS1_29binary_search_config_selectorItbEEZNS1_14transform_implILb0ES3_S5_N6thrust23THRUST_200600_302600_NS17counting_iteratorItNS8_11use_defaultESA_SA_EEPbZNS1_13binary_searchIS3_S5_PtSB_SC_NS1_16binary_search_opENS8_6detail16wrapped_functionINS0_4lessIvEEbEEEE10hipError_tPvRmT1_T2_T3_mmT4_T5_P12ihipStream_tbEUlRKtE_EESL_SP_SQ_mSR_SU_bEUlT_E_NS1_11comp_targetILNS1_3genE8ELNS1_11target_archE1030ELNS1_3gpuE2ELNS1_3repE0EEENS1_30default_config_static_selectorELNS0_4arch9wavefront6targetE0EEEvSO_,"axG",@progbits,_ZN7rocprim17ROCPRIM_400000_NS6detail17trampoline_kernelINS0_14default_configENS1_29binary_search_config_selectorItbEEZNS1_14transform_implILb0ES3_S5_N6thrust23THRUST_200600_302600_NS17counting_iteratorItNS8_11use_defaultESA_SA_EEPbZNS1_13binary_searchIS3_S5_PtSB_SC_NS1_16binary_search_opENS8_6detail16wrapped_functionINS0_4lessIvEEbEEEE10hipError_tPvRmT1_T2_T3_mmT4_T5_P12ihipStream_tbEUlRKtE_EESL_SP_SQ_mSR_SU_bEUlT_E_NS1_11comp_targetILNS1_3genE8ELNS1_11target_archE1030ELNS1_3gpuE2ELNS1_3repE0EEENS1_30default_config_static_selectorELNS0_4arch9wavefront6targetE0EEEvSO_,comdat
.Lfunc_end218:
	.size	_ZN7rocprim17ROCPRIM_400000_NS6detail17trampoline_kernelINS0_14default_configENS1_29binary_search_config_selectorItbEEZNS1_14transform_implILb0ES3_S5_N6thrust23THRUST_200600_302600_NS17counting_iteratorItNS8_11use_defaultESA_SA_EEPbZNS1_13binary_searchIS3_S5_PtSB_SC_NS1_16binary_search_opENS8_6detail16wrapped_functionINS0_4lessIvEEbEEEE10hipError_tPvRmT1_T2_T3_mmT4_T5_P12ihipStream_tbEUlRKtE_EESL_SP_SQ_mSR_SU_bEUlT_E_NS1_11comp_targetILNS1_3genE8ELNS1_11target_archE1030ELNS1_3gpuE2ELNS1_3repE0EEENS1_30default_config_static_selectorELNS0_4arch9wavefront6targetE0EEEvSO_, .Lfunc_end218-_ZN7rocprim17ROCPRIM_400000_NS6detail17trampoline_kernelINS0_14default_configENS1_29binary_search_config_selectorItbEEZNS1_14transform_implILb0ES3_S5_N6thrust23THRUST_200600_302600_NS17counting_iteratorItNS8_11use_defaultESA_SA_EEPbZNS1_13binary_searchIS3_S5_PtSB_SC_NS1_16binary_search_opENS8_6detail16wrapped_functionINS0_4lessIvEEbEEEE10hipError_tPvRmT1_T2_T3_mmT4_T5_P12ihipStream_tbEUlRKtE_EESL_SP_SQ_mSR_SU_bEUlT_E_NS1_11comp_targetILNS1_3genE8ELNS1_11target_archE1030ELNS1_3gpuE2ELNS1_3repE0EEENS1_30default_config_static_selectorELNS0_4arch9wavefront6targetE0EEEvSO_
                                        ; -- End function
	.section	.AMDGPU.csdata,"",@progbits
; Kernel info:
; codeLenInByte = 0
; NumSgprs: 0
; NumVgprs: 0
; ScratchSize: 0
; MemoryBound: 0
; FloatMode: 240
; IeeeMode: 1
; LDSByteSize: 0 bytes/workgroup (compile time only)
; SGPRBlocks: 0
; VGPRBlocks: 0
; NumSGPRsForWavesPerEU: 1
; NumVGPRsForWavesPerEU: 1
; Occupancy: 16
; WaveLimiterHint : 0
; COMPUTE_PGM_RSRC2:SCRATCH_EN: 0
; COMPUTE_PGM_RSRC2:USER_SGPR: 15
; COMPUTE_PGM_RSRC2:TRAP_HANDLER: 0
; COMPUTE_PGM_RSRC2:TGID_X_EN: 1
; COMPUTE_PGM_RSRC2:TGID_Y_EN: 0
; COMPUTE_PGM_RSRC2:TGID_Z_EN: 0
; COMPUTE_PGM_RSRC2:TIDIG_COMP_CNT: 0
	.section	.text._Z20binary_search_kernelIxEvmPT_Pb,"axG",@progbits,_Z20binary_search_kernelIxEvmPT_Pb,comdat
	.protected	_Z20binary_search_kernelIxEvmPT_Pb ; -- Begin function _Z20binary_search_kernelIxEvmPT_Pb
	.globl	_Z20binary_search_kernelIxEvmPT_Pb
	.p2align	8
	.type	_Z20binary_search_kernelIxEvmPT_Pb,@function
_Z20binary_search_kernelIxEvmPT_Pb:     ; @_Z20binary_search_kernelIxEvmPT_Pb
; %bb.0:
	s_clause 0x1
	s_load_b128 s[4:7], s[0:1], 0x0
	s_load_b64 s[2:3], s[0:1], 0x10
	s_waitcnt lgkmcnt(0)
	s_lshl_b64 s[0:1], s[4:5], 3
	s_delay_alu instid0(SALU_CYCLE_1) | instskip(NEXT) | instid1(SALU_CYCLE_1)
	s_ashr_i64 s[8:9], s[0:1], 3
	v_cmp_lt_i64_e64 s0, s[8:9], 1
	s_delay_alu instid0(VALU_DEP_1)
	s_and_b32 vcc_lo, exec_lo, s0
	s_mov_b64 s[0:1], 0
	s_cbranch_vccnz .LBB219_3
; %bb.1:
	s_mov_b64 s[10:11], s[8:9]
	.p2align	6
.LBB219_2:                              ; =>This Inner Loop Header: Depth=1
	s_delay_alu instid0(SALU_CYCLE_1) | instskip(SKIP_1) | instid1(SALU_CYCLE_1)
	s_sub_u32 s12, s10, s0
	s_subb_u32 s13, s11, s1
	s_lshr_b32 s14, s13, 31
	s_delay_alu instid0(SALU_CYCLE_1) | instskip(SKIP_1) | instid1(SALU_CYCLE_1)
	s_add_u32 s12, s12, s14
	s_addc_u32 s13, s13, 0
	s_ashr_i64 s[12:13], s[12:13], 1
	s_delay_alu instid0(SALU_CYCLE_1) | instskip(SKIP_1) | instid1(SALU_CYCLE_1)
	s_add_u32 s12, s12, s0
	s_addc_u32 s13, s13, s1
	s_lshl_b64 s[14:15], s[12:13], 3
	s_delay_alu instid0(SALU_CYCLE_1)
	s_add_u32 s14, s6, s14
	s_addc_u32 s15, s7, s15
	s_load_b64 s[14:15], s[14:15], 0x0
	s_waitcnt lgkmcnt(0)
	v_cmp_lt_i64_e64 s14, s[14:15], 0
	s_add_u32 s15, s12, 1
	s_addc_u32 s16, s13, 0
	s_delay_alu instid0(VALU_DEP_1) | instskip(SKIP_4) | instid1(SALU_CYCLE_1)
	s_and_b32 s14, s14, exec_lo
	s_cselect_b32 s1, s16, s1
	s_cselect_b32 s0, s15, s0
	;; [unrolled: 1-line block ×4, first 2 shown]
	v_cmp_lt_i64_e64 s12, s[0:1], s[10:11]
	s_delay_alu instid0(VALU_DEP_1)
	s_and_b32 vcc_lo, exec_lo, s12
	s_cbranch_vccnz .LBB219_2
.LBB219_3:
	v_cmp_gt_i64_e64 s10, s[8:9], 0
	s_cmp_eq_u64 s[0:1], s[4:5]
	s_mov_b32 s11, 0
	s_cbranch_scc1 .LBB219_5
; %bb.4:
	s_lshl_b64 s[0:1], s[0:1], 3
	s_delay_alu instid0(SALU_CYCLE_1)
	s_add_u32 s0, s6, s0
	s_addc_u32 s1, s7, s1
	s_load_b64 s[0:1], s[0:1], 0x0
	s_waitcnt lgkmcnt(0)
	v_cmp_lt_i64_e64 s11, s[0:1], 1
.LBB219_5:
	s_delay_alu instid0(VALU_DEP_1) | instskip(NEXT) | instid1(VALU_DEP_2)
	v_cndmask_b32_e64 v0, 0, 1, s10
	v_cndmask_b32_e64 v1, 0, 1, s11
	s_and_not1_b32 vcc_lo, exec_lo, s10
	s_mov_b64 s[10:11], 0
	s_delay_alu instid0(VALU_DEP_2)
	v_cmp_ne_u32_e64 s0, 1, v0
	v_mov_b32_e32 v0, 0
	global_store_b8 v0, v1, s[2:3]
	s_cbranch_vccnz .LBB219_8
; %bb.6:
	s_mov_b64 s[12:13], s[8:9]
	.p2align	6
.LBB219_7:                              ; =>This Inner Loop Header: Depth=1
	s_delay_alu instid0(SALU_CYCLE_1) | instskip(SKIP_1) | instid1(SALU_CYCLE_1)
	s_sub_u32 s1, s12, s10
	s_subb_u32 s15, s13, s11
	s_lshr_b32 s14, s15, 31
	s_delay_alu instid0(SALU_CYCLE_1) | instskip(SKIP_1) | instid1(SALU_CYCLE_1)
	s_add_u32 s14, s1, s14
	s_addc_u32 s15, s15, 0
	s_ashr_i64 s[14:15], s[14:15], 1
	s_delay_alu instid0(SALU_CYCLE_1) | instskip(SKIP_1) | instid1(SALU_CYCLE_1)
	s_add_u32 s14, s14, s10
	s_addc_u32 s15, s15, s11
	s_lshl_b64 s[16:17], s[14:15], 3
	s_delay_alu instid0(SALU_CYCLE_1)
	s_add_u32 s16, s6, s16
	s_addc_u32 s17, s7, s17
	s_load_b64 s[16:17], s[16:17], 0x0
	s_waitcnt lgkmcnt(0)
	v_cmp_lt_i64_e64 s1, s[16:17], 1
	s_add_u32 s16, s14, 1
	s_addc_u32 s17, s15, 0
	s_delay_alu instid0(VALU_DEP_1) | instskip(SKIP_4) | instid1(SALU_CYCLE_1)
	s_and_b32 s1, s1, exec_lo
	s_cselect_b32 s11, s17, s11
	s_cselect_b32 s10, s16, s10
	;; [unrolled: 1-line block ×4, first 2 shown]
	v_cmp_lt_i64_e64 s1, s[10:11], s[12:13]
	s_delay_alu instid0(VALU_DEP_1)
	s_and_b32 vcc_lo, exec_lo, s1
	s_cbranch_vccnz .LBB219_7
.LBB219_8:
	s_cmp_eq_u64 s[10:11], s[4:5]
	s_mov_b32 s1, 0
	s_cbranch_scc1 .LBB219_10
; %bb.9:
	s_lshl_b64 s[10:11], s[10:11], 3
	s_delay_alu instid0(SALU_CYCLE_1)
	s_add_u32 s10, s6, s10
	s_addc_u32 s11, s7, s11
	s_load_b64 s[10:11], s[10:11], 0x0
	s_waitcnt lgkmcnt(0)
	v_cmp_lt_i64_e64 s1, s[10:11], 2
.LBB219_10:
	s_delay_alu instid0(VALU_DEP_1)
	v_cndmask_b32_e64 v0, 0, 1, s1
	v_mov_b32_e32 v1, 0
	s_and_b32 vcc_lo, exec_lo, s0
	s_mov_b64 s[10:11], 0
	global_store_b8 v1, v0, s[2:3] offset:1
	s_cbranch_vccnz .LBB219_13
; %bb.11:
	s_mov_b64 s[12:13], s[8:9]
	.p2align	6
.LBB219_12:                             ; =>This Inner Loop Header: Depth=1
	s_delay_alu instid0(SALU_CYCLE_1) | instskip(SKIP_1) | instid1(SALU_CYCLE_1)
	s_sub_u32 s1, s12, s10
	s_subb_u32 s15, s13, s11
	s_lshr_b32 s14, s15, 31
	s_delay_alu instid0(SALU_CYCLE_1) | instskip(SKIP_1) | instid1(SALU_CYCLE_1)
	s_add_u32 s14, s1, s14
	s_addc_u32 s15, s15, 0
	s_ashr_i64 s[14:15], s[14:15], 1
	s_delay_alu instid0(SALU_CYCLE_1) | instskip(SKIP_1) | instid1(SALU_CYCLE_1)
	s_add_u32 s14, s14, s10
	s_addc_u32 s15, s15, s11
	s_lshl_b64 s[16:17], s[14:15], 3
	s_delay_alu instid0(SALU_CYCLE_1)
	s_add_u32 s16, s6, s16
	s_addc_u32 s17, s7, s17
	s_load_b64 s[16:17], s[16:17], 0x0
	s_waitcnt lgkmcnt(0)
	v_cmp_lt_i64_e64 s1, s[16:17], 2
	s_add_u32 s16, s14, 1
	s_addc_u32 s17, s15, 0
	s_delay_alu instid0(VALU_DEP_1) | instskip(SKIP_4) | instid1(SALU_CYCLE_1)
	s_and_b32 s1, s1, exec_lo
	s_cselect_b32 s11, s17, s11
	s_cselect_b32 s10, s16, s10
	;; [unrolled: 1-line block ×4, first 2 shown]
	v_cmp_lt_i64_e64 s1, s[10:11], s[12:13]
	s_delay_alu instid0(VALU_DEP_1)
	s_and_b32 vcc_lo, exec_lo, s1
	s_cbranch_vccnz .LBB219_12
.LBB219_13:
	s_cmp_eq_u64 s[10:11], s[4:5]
	s_mov_b32 s1, 0
	s_cbranch_scc1 .LBB219_15
; %bb.14:
	s_lshl_b64 s[10:11], s[10:11], 3
	s_delay_alu instid0(SALU_CYCLE_1)
	s_add_u32 s10, s6, s10
	s_addc_u32 s11, s7, s11
	s_load_b64 s[10:11], s[10:11], 0x0
	s_waitcnt lgkmcnt(0)
	v_cmp_lt_i64_e64 s1, s[10:11], 3
.LBB219_15:
	s_delay_alu instid0(VALU_DEP_1)
	v_cndmask_b32_e64 v0, 0, 1, s1
	v_mov_b32_e32 v1, 0
	s_and_b32 vcc_lo, exec_lo, s0
	s_mov_b64 s[10:11], 0
	global_store_b8 v1, v0, s[2:3] offset:2
	s_cbranch_vccnz .LBB219_18
; %bb.16:
	s_mov_b64 s[12:13], s[8:9]
	.p2align	6
.LBB219_17:                             ; =>This Inner Loop Header: Depth=1
	s_delay_alu instid0(SALU_CYCLE_1) | instskip(SKIP_1) | instid1(SALU_CYCLE_1)
	s_sub_u32 s1, s12, s10
	s_subb_u32 s15, s13, s11
	s_lshr_b32 s14, s15, 31
	s_delay_alu instid0(SALU_CYCLE_1) | instskip(SKIP_1) | instid1(SALU_CYCLE_1)
	s_add_u32 s14, s1, s14
	s_addc_u32 s15, s15, 0
	s_ashr_i64 s[14:15], s[14:15], 1
	s_delay_alu instid0(SALU_CYCLE_1) | instskip(SKIP_1) | instid1(SALU_CYCLE_1)
	s_add_u32 s14, s14, s10
	s_addc_u32 s15, s15, s11
	s_lshl_b64 s[16:17], s[14:15], 3
	s_delay_alu instid0(SALU_CYCLE_1)
	s_add_u32 s16, s6, s16
	s_addc_u32 s17, s7, s17
	s_load_b64 s[16:17], s[16:17], 0x0
	s_waitcnt lgkmcnt(0)
	v_cmp_lt_i64_e64 s1, s[16:17], 3
	s_add_u32 s16, s14, 1
	s_addc_u32 s17, s15, 0
	s_delay_alu instid0(VALU_DEP_1) | instskip(SKIP_4) | instid1(SALU_CYCLE_1)
	s_and_b32 s1, s1, exec_lo
	s_cselect_b32 s11, s17, s11
	s_cselect_b32 s10, s16, s10
	;; [unrolled: 1-line block ×4, first 2 shown]
	v_cmp_lt_i64_e64 s1, s[10:11], s[12:13]
	s_delay_alu instid0(VALU_DEP_1)
	s_and_b32 vcc_lo, exec_lo, s1
	s_cbranch_vccnz .LBB219_17
.LBB219_18:
	s_cmp_eq_u64 s[10:11], s[4:5]
	s_mov_b32 s1, 0
	s_cbranch_scc1 .LBB219_20
; %bb.19:
	s_lshl_b64 s[10:11], s[10:11], 3
	s_delay_alu instid0(SALU_CYCLE_1)
	s_add_u32 s10, s6, s10
	s_addc_u32 s11, s7, s11
	s_load_b64 s[10:11], s[10:11], 0x0
	s_waitcnt lgkmcnt(0)
	v_cmp_lt_i64_e64 s1, s[10:11], 4
.LBB219_20:
	s_delay_alu instid0(VALU_DEP_1)
	v_cndmask_b32_e64 v0, 0, 1, s1
	v_mov_b32_e32 v1, 0
	s_and_b32 vcc_lo, exec_lo, s0
	s_mov_b64 s[10:11], 0
	global_store_b8 v1, v0, s[2:3] offset:3
	s_cbranch_vccnz .LBB219_23
; %bb.21:
	s_mov_b64 s[12:13], s[8:9]
	.p2align	6
.LBB219_22:                             ; =>This Inner Loop Header: Depth=1
	s_delay_alu instid0(SALU_CYCLE_1) | instskip(SKIP_1) | instid1(SALU_CYCLE_1)
	s_sub_u32 s1, s12, s10
	s_subb_u32 s15, s13, s11
	s_lshr_b32 s14, s15, 31
	s_delay_alu instid0(SALU_CYCLE_1) | instskip(SKIP_1) | instid1(SALU_CYCLE_1)
	s_add_u32 s14, s1, s14
	s_addc_u32 s15, s15, 0
	s_ashr_i64 s[14:15], s[14:15], 1
	s_delay_alu instid0(SALU_CYCLE_1) | instskip(SKIP_1) | instid1(SALU_CYCLE_1)
	s_add_u32 s14, s14, s10
	s_addc_u32 s15, s15, s11
	s_lshl_b64 s[16:17], s[14:15], 3
	s_delay_alu instid0(SALU_CYCLE_1)
	s_add_u32 s16, s6, s16
	s_addc_u32 s17, s7, s17
	s_load_b64 s[16:17], s[16:17], 0x0
	s_waitcnt lgkmcnt(0)
	v_cmp_lt_i64_e64 s1, s[16:17], 4
	s_add_u32 s16, s14, 1
	s_addc_u32 s17, s15, 0
	s_delay_alu instid0(VALU_DEP_1) | instskip(SKIP_4) | instid1(SALU_CYCLE_1)
	s_and_b32 s1, s1, exec_lo
	s_cselect_b32 s11, s17, s11
	s_cselect_b32 s10, s16, s10
	;; [unrolled: 1-line block ×4, first 2 shown]
	v_cmp_lt_i64_e64 s1, s[10:11], s[12:13]
	s_delay_alu instid0(VALU_DEP_1)
	s_and_b32 vcc_lo, exec_lo, s1
	s_cbranch_vccnz .LBB219_22
.LBB219_23:
	s_cmp_eq_u64 s[10:11], s[4:5]
	s_mov_b32 s1, 0
	s_cbranch_scc1 .LBB219_25
; %bb.24:
	s_lshl_b64 s[10:11], s[10:11], 3
	s_delay_alu instid0(SALU_CYCLE_1)
	s_add_u32 s10, s6, s10
	s_addc_u32 s11, s7, s11
	s_load_b64 s[10:11], s[10:11], 0x0
	s_waitcnt lgkmcnt(0)
	v_cmp_lt_i64_e64 s1, s[10:11], 5
.LBB219_25:
	s_delay_alu instid0(VALU_DEP_1)
	v_cndmask_b32_e64 v0, 0, 1, s1
	v_mov_b32_e32 v1, 0
	s_and_b32 vcc_lo, exec_lo, s0
	s_mov_b64 s[10:11], 0
	global_store_b8 v1, v0, s[2:3] offset:4
	s_cbranch_vccnz .LBB219_28
; %bb.26:
	s_mov_b64 s[12:13], s[8:9]
	.p2align	6
.LBB219_27:                             ; =>This Inner Loop Header: Depth=1
	s_delay_alu instid0(SALU_CYCLE_1) | instskip(SKIP_1) | instid1(SALU_CYCLE_1)
	s_sub_u32 s1, s12, s10
	s_subb_u32 s15, s13, s11
	s_lshr_b32 s14, s15, 31
	s_delay_alu instid0(SALU_CYCLE_1) | instskip(SKIP_1) | instid1(SALU_CYCLE_1)
	s_add_u32 s14, s1, s14
	s_addc_u32 s15, s15, 0
	s_ashr_i64 s[14:15], s[14:15], 1
	s_delay_alu instid0(SALU_CYCLE_1) | instskip(SKIP_1) | instid1(SALU_CYCLE_1)
	s_add_u32 s14, s14, s10
	s_addc_u32 s15, s15, s11
	s_lshl_b64 s[16:17], s[14:15], 3
	s_delay_alu instid0(SALU_CYCLE_1)
	s_add_u32 s16, s6, s16
	s_addc_u32 s17, s7, s17
	s_load_b64 s[16:17], s[16:17], 0x0
	s_waitcnt lgkmcnt(0)
	v_cmp_lt_i64_e64 s1, s[16:17], 5
	s_add_u32 s16, s14, 1
	s_addc_u32 s17, s15, 0
	s_delay_alu instid0(VALU_DEP_1) | instskip(SKIP_4) | instid1(SALU_CYCLE_1)
	s_and_b32 s1, s1, exec_lo
	s_cselect_b32 s11, s17, s11
	s_cselect_b32 s10, s16, s10
	;; [unrolled: 1-line block ×4, first 2 shown]
	v_cmp_lt_i64_e64 s1, s[10:11], s[12:13]
	s_delay_alu instid0(VALU_DEP_1)
	s_and_b32 vcc_lo, exec_lo, s1
	s_cbranch_vccnz .LBB219_27
.LBB219_28:
	s_cmp_eq_u64 s[10:11], s[4:5]
	s_mov_b32 s1, 0
	s_cbranch_scc1 .LBB219_30
; %bb.29:
	s_lshl_b64 s[10:11], s[10:11], 3
	s_delay_alu instid0(SALU_CYCLE_1)
	s_add_u32 s10, s6, s10
	s_addc_u32 s11, s7, s11
	s_load_b64 s[10:11], s[10:11], 0x0
	s_waitcnt lgkmcnt(0)
	v_cmp_lt_i64_e64 s1, s[10:11], 6
.LBB219_30:
	s_delay_alu instid0(VALU_DEP_1)
	v_cndmask_b32_e64 v0, 0, 1, s1
	v_mov_b32_e32 v1, 0
	s_and_b32 vcc_lo, exec_lo, s0
	s_mov_b64 s[10:11], 0
	global_store_b8 v1, v0, s[2:3] offset:5
	s_cbranch_vccnz .LBB219_33
; %bb.31:
	s_mov_b64 s[12:13], s[8:9]
	.p2align	6
.LBB219_32:                             ; =>This Inner Loop Header: Depth=1
	s_delay_alu instid0(SALU_CYCLE_1) | instskip(SKIP_1) | instid1(SALU_CYCLE_1)
	s_sub_u32 s1, s12, s10
	s_subb_u32 s15, s13, s11
	s_lshr_b32 s14, s15, 31
	s_delay_alu instid0(SALU_CYCLE_1) | instskip(SKIP_1) | instid1(SALU_CYCLE_1)
	s_add_u32 s14, s1, s14
	s_addc_u32 s15, s15, 0
	s_ashr_i64 s[14:15], s[14:15], 1
	s_delay_alu instid0(SALU_CYCLE_1) | instskip(SKIP_1) | instid1(SALU_CYCLE_1)
	s_add_u32 s14, s14, s10
	s_addc_u32 s15, s15, s11
	s_lshl_b64 s[16:17], s[14:15], 3
	s_delay_alu instid0(SALU_CYCLE_1)
	s_add_u32 s16, s6, s16
	s_addc_u32 s17, s7, s17
	s_load_b64 s[16:17], s[16:17], 0x0
	s_waitcnt lgkmcnt(0)
	v_cmp_lt_i64_e64 s1, s[16:17], 6
	s_add_u32 s16, s14, 1
	s_addc_u32 s17, s15, 0
	s_delay_alu instid0(VALU_DEP_1) | instskip(SKIP_4) | instid1(SALU_CYCLE_1)
	s_and_b32 s1, s1, exec_lo
	s_cselect_b32 s11, s17, s11
	s_cselect_b32 s10, s16, s10
	;; [unrolled: 1-line block ×4, first 2 shown]
	v_cmp_lt_i64_e64 s1, s[10:11], s[12:13]
	s_delay_alu instid0(VALU_DEP_1)
	s_and_b32 vcc_lo, exec_lo, s1
	s_cbranch_vccnz .LBB219_32
.LBB219_33:
	s_cmp_eq_u64 s[10:11], s[4:5]
	s_mov_b32 s1, 0
	s_cbranch_scc1 .LBB219_35
; %bb.34:
	s_lshl_b64 s[10:11], s[10:11], 3
	s_delay_alu instid0(SALU_CYCLE_1)
	s_add_u32 s10, s6, s10
	s_addc_u32 s11, s7, s11
	s_load_b64 s[10:11], s[10:11], 0x0
	s_waitcnt lgkmcnt(0)
	v_cmp_lt_i64_e64 s1, s[10:11], 7
.LBB219_35:
	s_delay_alu instid0(VALU_DEP_1)
	v_cndmask_b32_e64 v0, 0, 1, s1
	v_mov_b32_e32 v1, 0
	s_and_b32 vcc_lo, exec_lo, s0
	s_mov_b64 s[10:11], 0
	global_store_b8 v1, v0, s[2:3] offset:6
	s_cbranch_vccnz .LBB219_38
; %bb.36:
	s_mov_b64 s[12:13], s[8:9]
	.p2align	6
.LBB219_37:                             ; =>This Inner Loop Header: Depth=1
	s_delay_alu instid0(SALU_CYCLE_1) | instskip(SKIP_1) | instid1(SALU_CYCLE_1)
	s_sub_u32 s1, s12, s10
	s_subb_u32 s15, s13, s11
	s_lshr_b32 s14, s15, 31
	s_delay_alu instid0(SALU_CYCLE_1) | instskip(SKIP_1) | instid1(SALU_CYCLE_1)
	s_add_u32 s14, s1, s14
	s_addc_u32 s15, s15, 0
	s_ashr_i64 s[14:15], s[14:15], 1
	s_delay_alu instid0(SALU_CYCLE_1) | instskip(SKIP_1) | instid1(SALU_CYCLE_1)
	s_add_u32 s14, s14, s10
	s_addc_u32 s15, s15, s11
	s_lshl_b64 s[16:17], s[14:15], 3
	s_delay_alu instid0(SALU_CYCLE_1)
	s_add_u32 s16, s6, s16
	s_addc_u32 s17, s7, s17
	s_load_b64 s[16:17], s[16:17], 0x0
	s_waitcnt lgkmcnt(0)
	v_cmp_lt_i64_e64 s1, s[16:17], 7
	s_add_u32 s16, s14, 1
	s_addc_u32 s17, s15, 0
	s_delay_alu instid0(VALU_DEP_1) | instskip(SKIP_4) | instid1(SALU_CYCLE_1)
	s_and_b32 s1, s1, exec_lo
	s_cselect_b32 s11, s17, s11
	s_cselect_b32 s10, s16, s10
	;; [unrolled: 1-line block ×4, first 2 shown]
	v_cmp_lt_i64_e64 s1, s[10:11], s[12:13]
	s_delay_alu instid0(VALU_DEP_1)
	s_and_b32 vcc_lo, exec_lo, s1
	s_cbranch_vccnz .LBB219_37
.LBB219_38:
	s_cmp_eq_u64 s[10:11], s[4:5]
	s_mov_b32 s1, 0
	s_cbranch_scc1 .LBB219_40
; %bb.39:
	s_lshl_b64 s[10:11], s[10:11], 3
	s_delay_alu instid0(SALU_CYCLE_1)
	s_add_u32 s10, s6, s10
	s_addc_u32 s11, s7, s11
	s_load_b64 s[10:11], s[10:11], 0x0
	s_waitcnt lgkmcnt(0)
	v_cmp_lt_i64_e64 s1, s[10:11], 8
.LBB219_40:
	s_delay_alu instid0(VALU_DEP_1)
	v_cndmask_b32_e64 v0, 0, 1, s1
	v_mov_b32_e32 v1, 0
	s_and_b32 vcc_lo, exec_lo, s0
	s_mov_b64 s[10:11], 0
	global_store_b8 v1, v0, s[2:3] offset:7
	s_cbranch_vccnz .LBB219_43
; %bb.41:
	s_mov_b64 s[12:13], s[8:9]
	.p2align	6
.LBB219_42:                             ; =>This Inner Loop Header: Depth=1
	s_delay_alu instid0(SALU_CYCLE_1) | instskip(SKIP_1) | instid1(SALU_CYCLE_1)
	s_sub_u32 s1, s12, s10
	s_subb_u32 s15, s13, s11
	s_lshr_b32 s14, s15, 31
	s_delay_alu instid0(SALU_CYCLE_1) | instskip(SKIP_1) | instid1(SALU_CYCLE_1)
	s_add_u32 s14, s1, s14
	s_addc_u32 s15, s15, 0
	s_ashr_i64 s[14:15], s[14:15], 1
	s_delay_alu instid0(SALU_CYCLE_1) | instskip(SKIP_1) | instid1(SALU_CYCLE_1)
	s_add_u32 s14, s14, s10
	s_addc_u32 s15, s15, s11
	s_lshl_b64 s[16:17], s[14:15], 3
	s_delay_alu instid0(SALU_CYCLE_1)
	s_add_u32 s16, s6, s16
	s_addc_u32 s17, s7, s17
	s_load_b64 s[16:17], s[16:17], 0x0
	s_waitcnt lgkmcnt(0)
	v_cmp_lt_i64_e64 s1, s[16:17], 8
	s_add_u32 s16, s14, 1
	s_addc_u32 s17, s15, 0
	s_delay_alu instid0(VALU_DEP_1) | instskip(SKIP_4) | instid1(SALU_CYCLE_1)
	s_and_b32 s1, s1, exec_lo
	s_cselect_b32 s11, s17, s11
	s_cselect_b32 s10, s16, s10
	;; [unrolled: 1-line block ×4, first 2 shown]
	v_cmp_lt_i64_e64 s1, s[10:11], s[12:13]
	s_delay_alu instid0(VALU_DEP_1)
	s_and_b32 vcc_lo, exec_lo, s1
	s_cbranch_vccnz .LBB219_42
.LBB219_43:
	s_cmp_eq_u64 s[10:11], s[4:5]
	s_mov_b32 s1, 0
	s_cbranch_scc1 .LBB219_45
; %bb.44:
	s_lshl_b64 s[10:11], s[10:11], 3
	s_delay_alu instid0(SALU_CYCLE_1)
	s_add_u32 s10, s6, s10
	s_addc_u32 s11, s7, s11
	s_load_b64 s[10:11], s[10:11], 0x0
	s_waitcnt lgkmcnt(0)
	v_cmp_lt_i64_e64 s1, s[10:11], 9
.LBB219_45:
	s_delay_alu instid0(VALU_DEP_1)
	v_cndmask_b32_e64 v0, 0, 1, s1
	v_mov_b32_e32 v1, 0
	s_and_b32 vcc_lo, exec_lo, s0
	s_mov_b64 s[0:1], 0
	global_store_b8 v1, v0, s[2:3] offset:8
	s_cbranch_vccnz .LBB219_47
	.p2align	6
.LBB219_46:                             ; =>This Inner Loop Header: Depth=1
	s_sub_u32 s10, s8, s0
	s_subb_u32 s11, s9, s1
	s_delay_alu instid0(SALU_CYCLE_1) | instskip(NEXT) | instid1(SALU_CYCLE_1)
	s_lshr_b32 s12, s11, 31
	s_add_u32 s10, s10, s12
	s_addc_u32 s11, s11, 0
	s_delay_alu instid0(SALU_CYCLE_1) | instskip(NEXT) | instid1(SALU_CYCLE_1)
	s_ashr_i64 s[10:11], s[10:11], 1
	s_add_u32 s10, s10, s0
	s_addc_u32 s11, s11, s1
	s_delay_alu instid0(SALU_CYCLE_1) | instskip(NEXT) | instid1(SALU_CYCLE_1)
	s_lshl_b64 s[12:13], s[10:11], 3
	s_add_u32 s12, s6, s12
	s_addc_u32 s13, s7, s13
	s_load_b64 s[12:13], s[12:13], 0x0
	s_waitcnt lgkmcnt(0)
	v_cmp_lt_i64_e64 s12, s[12:13], 9
	s_add_u32 s13, s10, 1
	s_addc_u32 s14, s11, 0
	s_delay_alu instid0(VALU_DEP_1) | instskip(SKIP_4) | instid1(SALU_CYCLE_1)
	s_and_b32 s12, s12, exec_lo
	s_cselect_b32 s1, s14, s1
	s_cselect_b32 s0, s13, s0
	;; [unrolled: 1-line block ×4, first 2 shown]
	v_cmp_lt_i64_e64 s10, s[0:1], s[8:9]
	s_delay_alu instid0(VALU_DEP_1)
	s_and_b32 vcc_lo, exec_lo, s10
	s_cbranch_vccnz .LBB219_46
.LBB219_47:
	s_cmp_eq_u64 s[0:1], s[4:5]
	s_mov_b32 s4, 0
	s_cbranch_scc1 .LBB219_49
; %bb.48:
	s_lshl_b64 s[0:1], s[0:1], 3
	s_delay_alu instid0(SALU_CYCLE_1)
	s_add_u32 s0, s6, s0
	s_addc_u32 s1, s7, s1
	s_load_b64 s[0:1], s[0:1], 0x0
	s_waitcnt lgkmcnt(0)
	v_cmp_lt_i64_e64 s4, s[0:1], 10
.LBB219_49:
	v_mov_b32_e32 v0, 0
	s_delay_alu instid0(VALU_DEP_2)
	v_cndmask_b32_e64 v1, 0, 1, s4
	global_store_b8 v0, v1, s[2:3] offset:9
	s_nop 0
	s_sendmsg sendmsg(MSG_DEALLOC_VGPRS)
	s_endpgm
	.section	.rodata,"a",@progbits
	.p2align	6, 0x0
	.amdhsa_kernel _Z20binary_search_kernelIxEvmPT_Pb
		.amdhsa_group_segment_fixed_size 0
		.amdhsa_private_segment_fixed_size 0
		.amdhsa_kernarg_size 24
		.amdhsa_user_sgpr_count 15
		.amdhsa_user_sgpr_dispatch_ptr 0
		.amdhsa_user_sgpr_queue_ptr 0
		.amdhsa_user_sgpr_kernarg_segment_ptr 1
		.amdhsa_user_sgpr_dispatch_id 0
		.amdhsa_user_sgpr_private_segment_size 0
		.amdhsa_wavefront_size32 1
		.amdhsa_uses_dynamic_stack 0
		.amdhsa_enable_private_segment 0
		.amdhsa_system_sgpr_workgroup_id_x 1
		.amdhsa_system_sgpr_workgroup_id_y 0
		.amdhsa_system_sgpr_workgroup_id_z 0
		.amdhsa_system_sgpr_workgroup_info 0
		.amdhsa_system_vgpr_workitem_id 0
		.amdhsa_next_free_vgpr 2
		.amdhsa_next_free_sgpr 18
		.amdhsa_reserve_vcc 1
		.amdhsa_float_round_mode_32 0
		.amdhsa_float_round_mode_16_64 0
		.amdhsa_float_denorm_mode_32 3
		.amdhsa_float_denorm_mode_16_64 3
		.amdhsa_dx10_clamp 1
		.amdhsa_ieee_mode 1
		.amdhsa_fp16_overflow 0
		.amdhsa_workgroup_processor_mode 1
		.amdhsa_memory_ordered 1
		.amdhsa_forward_progress 0
		.amdhsa_shared_vgpr_count 0
		.amdhsa_exception_fp_ieee_invalid_op 0
		.amdhsa_exception_fp_denorm_src 0
		.amdhsa_exception_fp_ieee_div_zero 0
		.amdhsa_exception_fp_ieee_overflow 0
		.amdhsa_exception_fp_ieee_underflow 0
		.amdhsa_exception_fp_ieee_inexact 0
		.amdhsa_exception_int_div_zero 0
	.end_amdhsa_kernel
	.section	.text._Z20binary_search_kernelIxEvmPT_Pb,"axG",@progbits,_Z20binary_search_kernelIxEvmPT_Pb,comdat
.Lfunc_end219:
	.size	_Z20binary_search_kernelIxEvmPT_Pb, .Lfunc_end219-_Z20binary_search_kernelIxEvmPT_Pb
                                        ; -- End function
	.section	.AMDGPU.csdata,"",@progbits
; Kernel info:
; codeLenInByte = 2280
; NumSgprs: 20
; NumVgprs: 2
; ScratchSize: 0
; MemoryBound: 0
; FloatMode: 240
; IeeeMode: 1
; LDSByteSize: 0 bytes/workgroup (compile time only)
; SGPRBlocks: 2
; VGPRBlocks: 0
; NumSGPRsForWavesPerEU: 20
; NumVGPRsForWavesPerEU: 2
; Occupancy: 16
; WaveLimiterHint : 0
; COMPUTE_PGM_RSRC2:SCRATCH_EN: 0
; COMPUTE_PGM_RSRC2:USER_SGPR: 15
; COMPUTE_PGM_RSRC2:TRAP_HANDLER: 0
; COMPUTE_PGM_RSRC2:TGID_X_EN: 1
; COMPUTE_PGM_RSRC2:TGID_Y_EN: 0
; COMPUTE_PGM_RSRC2:TGID_Z_EN: 0
; COMPUTE_PGM_RSRC2:TIDIG_COMP_CNT: 0
	.section	.text._ZN7rocprim17ROCPRIM_400000_NS6detail17trampoline_kernelINS0_14default_configENS1_29binary_search_config_selectorIxbEEZNS1_14transform_implILb0ES3_S5_N6thrust23THRUST_200600_302600_NS17counting_iteratorIxNS8_11use_defaultESA_SA_EEPbZNS1_13binary_searchIS3_S5_PxSB_SC_NS1_16binary_search_opENS8_6detail16wrapped_functionINS0_4lessIvEEbEEEE10hipError_tPvRmT1_T2_T3_mmT4_T5_P12ihipStream_tbEUlRKxE_EESL_SP_SQ_mSR_SU_bEUlT_E_NS1_11comp_targetILNS1_3genE0ELNS1_11target_archE4294967295ELNS1_3gpuE0ELNS1_3repE0EEENS1_30default_config_static_selectorELNS0_4arch9wavefront6targetE0EEEvSO_,"axG",@progbits,_ZN7rocprim17ROCPRIM_400000_NS6detail17trampoline_kernelINS0_14default_configENS1_29binary_search_config_selectorIxbEEZNS1_14transform_implILb0ES3_S5_N6thrust23THRUST_200600_302600_NS17counting_iteratorIxNS8_11use_defaultESA_SA_EEPbZNS1_13binary_searchIS3_S5_PxSB_SC_NS1_16binary_search_opENS8_6detail16wrapped_functionINS0_4lessIvEEbEEEE10hipError_tPvRmT1_T2_T3_mmT4_T5_P12ihipStream_tbEUlRKxE_EESL_SP_SQ_mSR_SU_bEUlT_E_NS1_11comp_targetILNS1_3genE0ELNS1_11target_archE4294967295ELNS1_3gpuE0ELNS1_3repE0EEENS1_30default_config_static_selectorELNS0_4arch9wavefront6targetE0EEEvSO_,comdat
	.protected	_ZN7rocprim17ROCPRIM_400000_NS6detail17trampoline_kernelINS0_14default_configENS1_29binary_search_config_selectorIxbEEZNS1_14transform_implILb0ES3_S5_N6thrust23THRUST_200600_302600_NS17counting_iteratorIxNS8_11use_defaultESA_SA_EEPbZNS1_13binary_searchIS3_S5_PxSB_SC_NS1_16binary_search_opENS8_6detail16wrapped_functionINS0_4lessIvEEbEEEE10hipError_tPvRmT1_T2_T3_mmT4_T5_P12ihipStream_tbEUlRKxE_EESL_SP_SQ_mSR_SU_bEUlT_E_NS1_11comp_targetILNS1_3genE0ELNS1_11target_archE4294967295ELNS1_3gpuE0ELNS1_3repE0EEENS1_30default_config_static_selectorELNS0_4arch9wavefront6targetE0EEEvSO_ ; -- Begin function _ZN7rocprim17ROCPRIM_400000_NS6detail17trampoline_kernelINS0_14default_configENS1_29binary_search_config_selectorIxbEEZNS1_14transform_implILb0ES3_S5_N6thrust23THRUST_200600_302600_NS17counting_iteratorIxNS8_11use_defaultESA_SA_EEPbZNS1_13binary_searchIS3_S5_PxSB_SC_NS1_16binary_search_opENS8_6detail16wrapped_functionINS0_4lessIvEEbEEEE10hipError_tPvRmT1_T2_T3_mmT4_T5_P12ihipStream_tbEUlRKxE_EESL_SP_SQ_mSR_SU_bEUlT_E_NS1_11comp_targetILNS1_3genE0ELNS1_11target_archE4294967295ELNS1_3gpuE0ELNS1_3repE0EEENS1_30default_config_static_selectorELNS0_4arch9wavefront6targetE0EEEvSO_
	.globl	_ZN7rocprim17ROCPRIM_400000_NS6detail17trampoline_kernelINS0_14default_configENS1_29binary_search_config_selectorIxbEEZNS1_14transform_implILb0ES3_S5_N6thrust23THRUST_200600_302600_NS17counting_iteratorIxNS8_11use_defaultESA_SA_EEPbZNS1_13binary_searchIS3_S5_PxSB_SC_NS1_16binary_search_opENS8_6detail16wrapped_functionINS0_4lessIvEEbEEEE10hipError_tPvRmT1_T2_T3_mmT4_T5_P12ihipStream_tbEUlRKxE_EESL_SP_SQ_mSR_SU_bEUlT_E_NS1_11comp_targetILNS1_3genE0ELNS1_11target_archE4294967295ELNS1_3gpuE0ELNS1_3repE0EEENS1_30default_config_static_selectorELNS0_4arch9wavefront6targetE0EEEvSO_
	.p2align	8
	.type	_ZN7rocprim17ROCPRIM_400000_NS6detail17trampoline_kernelINS0_14default_configENS1_29binary_search_config_selectorIxbEEZNS1_14transform_implILb0ES3_S5_N6thrust23THRUST_200600_302600_NS17counting_iteratorIxNS8_11use_defaultESA_SA_EEPbZNS1_13binary_searchIS3_S5_PxSB_SC_NS1_16binary_search_opENS8_6detail16wrapped_functionINS0_4lessIvEEbEEEE10hipError_tPvRmT1_T2_T3_mmT4_T5_P12ihipStream_tbEUlRKxE_EESL_SP_SQ_mSR_SU_bEUlT_E_NS1_11comp_targetILNS1_3genE0ELNS1_11target_archE4294967295ELNS1_3gpuE0ELNS1_3repE0EEENS1_30default_config_static_selectorELNS0_4arch9wavefront6targetE0EEEvSO_,@function
_ZN7rocprim17ROCPRIM_400000_NS6detail17trampoline_kernelINS0_14default_configENS1_29binary_search_config_selectorIxbEEZNS1_14transform_implILb0ES3_S5_N6thrust23THRUST_200600_302600_NS17counting_iteratorIxNS8_11use_defaultESA_SA_EEPbZNS1_13binary_searchIS3_S5_PxSB_SC_NS1_16binary_search_opENS8_6detail16wrapped_functionINS0_4lessIvEEbEEEE10hipError_tPvRmT1_T2_T3_mmT4_T5_P12ihipStream_tbEUlRKxE_EESL_SP_SQ_mSR_SU_bEUlT_E_NS1_11comp_targetILNS1_3genE0ELNS1_11target_archE4294967295ELNS1_3gpuE0ELNS1_3repE0EEENS1_30default_config_static_selectorELNS0_4arch9wavefront6targetE0EEEvSO_: ; @_ZN7rocprim17ROCPRIM_400000_NS6detail17trampoline_kernelINS0_14default_configENS1_29binary_search_config_selectorIxbEEZNS1_14transform_implILb0ES3_S5_N6thrust23THRUST_200600_302600_NS17counting_iteratorIxNS8_11use_defaultESA_SA_EEPbZNS1_13binary_searchIS3_S5_PxSB_SC_NS1_16binary_search_opENS8_6detail16wrapped_functionINS0_4lessIvEEbEEEE10hipError_tPvRmT1_T2_T3_mmT4_T5_P12ihipStream_tbEUlRKxE_EESL_SP_SQ_mSR_SU_bEUlT_E_NS1_11comp_targetILNS1_3genE0ELNS1_11target_archE4294967295ELNS1_3gpuE0ELNS1_3repE0EEENS1_30default_config_static_selectorELNS0_4arch9wavefront6targetE0EEEvSO_
; %bb.0:
	.section	.rodata,"a",@progbits
	.p2align	6, 0x0
	.amdhsa_kernel _ZN7rocprim17ROCPRIM_400000_NS6detail17trampoline_kernelINS0_14default_configENS1_29binary_search_config_selectorIxbEEZNS1_14transform_implILb0ES3_S5_N6thrust23THRUST_200600_302600_NS17counting_iteratorIxNS8_11use_defaultESA_SA_EEPbZNS1_13binary_searchIS3_S5_PxSB_SC_NS1_16binary_search_opENS8_6detail16wrapped_functionINS0_4lessIvEEbEEEE10hipError_tPvRmT1_T2_T3_mmT4_T5_P12ihipStream_tbEUlRKxE_EESL_SP_SQ_mSR_SU_bEUlT_E_NS1_11comp_targetILNS1_3genE0ELNS1_11target_archE4294967295ELNS1_3gpuE0ELNS1_3repE0EEENS1_30default_config_static_selectorELNS0_4arch9wavefront6targetE0EEEvSO_
		.amdhsa_group_segment_fixed_size 0
		.amdhsa_private_segment_fixed_size 0
		.amdhsa_kernarg_size 56
		.amdhsa_user_sgpr_count 15
		.amdhsa_user_sgpr_dispatch_ptr 0
		.amdhsa_user_sgpr_queue_ptr 0
		.amdhsa_user_sgpr_kernarg_segment_ptr 1
		.amdhsa_user_sgpr_dispatch_id 0
		.amdhsa_user_sgpr_private_segment_size 0
		.amdhsa_wavefront_size32 1
		.amdhsa_uses_dynamic_stack 0
		.amdhsa_enable_private_segment 0
		.amdhsa_system_sgpr_workgroup_id_x 1
		.amdhsa_system_sgpr_workgroup_id_y 0
		.amdhsa_system_sgpr_workgroup_id_z 0
		.amdhsa_system_sgpr_workgroup_info 0
		.amdhsa_system_vgpr_workitem_id 0
		.amdhsa_next_free_vgpr 1
		.amdhsa_next_free_sgpr 1
		.amdhsa_reserve_vcc 0
		.amdhsa_float_round_mode_32 0
		.amdhsa_float_round_mode_16_64 0
		.amdhsa_float_denorm_mode_32 3
		.amdhsa_float_denorm_mode_16_64 3
		.amdhsa_dx10_clamp 1
		.amdhsa_ieee_mode 1
		.amdhsa_fp16_overflow 0
		.amdhsa_workgroup_processor_mode 1
		.amdhsa_memory_ordered 1
		.amdhsa_forward_progress 0
		.amdhsa_shared_vgpr_count 0
		.amdhsa_exception_fp_ieee_invalid_op 0
		.amdhsa_exception_fp_denorm_src 0
		.amdhsa_exception_fp_ieee_div_zero 0
		.amdhsa_exception_fp_ieee_overflow 0
		.amdhsa_exception_fp_ieee_underflow 0
		.amdhsa_exception_fp_ieee_inexact 0
		.amdhsa_exception_int_div_zero 0
	.end_amdhsa_kernel
	.section	.text._ZN7rocprim17ROCPRIM_400000_NS6detail17trampoline_kernelINS0_14default_configENS1_29binary_search_config_selectorIxbEEZNS1_14transform_implILb0ES3_S5_N6thrust23THRUST_200600_302600_NS17counting_iteratorIxNS8_11use_defaultESA_SA_EEPbZNS1_13binary_searchIS3_S5_PxSB_SC_NS1_16binary_search_opENS8_6detail16wrapped_functionINS0_4lessIvEEbEEEE10hipError_tPvRmT1_T2_T3_mmT4_T5_P12ihipStream_tbEUlRKxE_EESL_SP_SQ_mSR_SU_bEUlT_E_NS1_11comp_targetILNS1_3genE0ELNS1_11target_archE4294967295ELNS1_3gpuE0ELNS1_3repE0EEENS1_30default_config_static_selectorELNS0_4arch9wavefront6targetE0EEEvSO_,"axG",@progbits,_ZN7rocprim17ROCPRIM_400000_NS6detail17trampoline_kernelINS0_14default_configENS1_29binary_search_config_selectorIxbEEZNS1_14transform_implILb0ES3_S5_N6thrust23THRUST_200600_302600_NS17counting_iteratorIxNS8_11use_defaultESA_SA_EEPbZNS1_13binary_searchIS3_S5_PxSB_SC_NS1_16binary_search_opENS8_6detail16wrapped_functionINS0_4lessIvEEbEEEE10hipError_tPvRmT1_T2_T3_mmT4_T5_P12ihipStream_tbEUlRKxE_EESL_SP_SQ_mSR_SU_bEUlT_E_NS1_11comp_targetILNS1_3genE0ELNS1_11target_archE4294967295ELNS1_3gpuE0ELNS1_3repE0EEENS1_30default_config_static_selectorELNS0_4arch9wavefront6targetE0EEEvSO_,comdat
.Lfunc_end220:
	.size	_ZN7rocprim17ROCPRIM_400000_NS6detail17trampoline_kernelINS0_14default_configENS1_29binary_search_config_selectorIxbEEZNS1_14transform_implILb0ES3_S5_N6thrust23THRUST_200600_302600_NS17counting_iteratorIxNS8_11use_defaultESA_SA_EEPbZNS1_13binary_searchIS3_S5_PxSB_SC_NS1_16binary_search_opENS8_6detail16wrapped_functionINS0_4lessIvEEbEEEE10hipError_tPvRmT1_T2_T3_mmT4_T5_P12ihipStream_tbEUlRKxE_EESL_SP_SQ_mSR_SU_bEUlT_E_NS1_11comp_targetILNS1_3genE0ELNS1_11target_archE4294967295ELNS1_3gpuE0ELNS1_3repE0EEENS1_30default_config_static_selectorELNS0_4arch9wavefront6targetE0EEEvSO_, .Lfunc_end220-_ZN7rocprim17ROCPRIM_400000_NS6detail17trampoline_kernelINS0_14default_configENS1_29binary_search_config_selectorIxbEEZNS1_14transform_implILb0ES3_S5_N6thrust23THRUST_200600_302600_NS17counting_iteratorIxNS8_11use_defaultESA_SA_EEPbZNS1_13binary_searchIS3_S5_PxSB_SC_NS1_16binary_search_opENS8_6detail16wrapped_functionINS0_4lessIvEEbEEEE10hipError_tPvRmT1_T2_T3_mmT4_T5_P12ihipStream_tbEUlRKxE_EESL_SP_SQ_mSR_SU_bEUlT_E_NS1_11comp_targetILNS1_3genE0ELNS1_11target_archE4294967295ELNS1_3gpuE0ELNS1_3repE0EEENS1_30default_config_static_selectorELNS0_4arch9wavefront6targetE0EEEvSO_
                                        ; -- End function
	.section	.AMDGPU.csdata,"",@progbits
; Kernel info:
; codeLenInByte = 0
; NumSgprs: 0
; NumVgprs: 0
; ScratchSize: 0
; MemoryBound: 0
; FloatMode: 240
; IeeeMode: 1
; LDSByteSize: 0 bytes/workgroup (compile time only)
; SGPRBlocks: 0
; VGPRBlocks: 0
; NumSGPRsForWavesPerEU: 1
; NumVGPRsForWavesPerEU: 1
; Occupancy: 16
; WaveLimiterHint : 0
; COMPUTE_PGM_RSRC2:SCRATCH_EN: 0
; COMPUTE_PGM_RSRC2:USER_SGPR: 15
; COMPUTE_PGM_RSRC2:TRAP_HANDLER: 0
; COMPUTE_PGM_RSRC2:TGID_X_EN: 1
; COMPUTE_PGM_RSRC2:TGID_Y_EN: 0
; COMPUTE_PGM_RSRC2:TGID_Z_EN: 0
; COMPUTE_PGM_RSRC2:TIDIG_COMP_CNT: 0
	.section	.text._ZN7rocprim17ROCPRIM_400000_NS6detail17trampoline_kernelINS0_14default_configENS1_29binary_search_config_selectorIxbEEZNS1_14transform_implILb0ES3_S5_N6thrust23THRUST_200600_302600_NS17counting_iteratorIxNS8_11use_defaultESA_SA_EEPbZNS1_13binary_searchIS3_S5_PxSB_SC_NS1_16binary_search_opENS8_6detail16wrapped_functionINS0_4lessIvEEbEEEE10hipError_tPvRmT1_T2_T3_mmT4_T5_P12ihipStream_tbEUlRKxE_EESL_SP_SQ_mSR_SU_bEUlT_E_NS1_11comp_targetILNS1_3genE5ELNS1_11target_archE942ELNS1_3gpuE9ELNS1_3repE0EEENS1_30default_config_static_selectorELNS0_4arch9wavefront6targetE0EEEvSO_,"axG",@progbits,_ZN7rocprim17ROCPRIM_400000_NS6detail17trampoline_kernelINS0_14default_configENS1_29binary_search_config_selectorIxbEEZNS1_14transform_implILb0ES3_S5_N6thrust23THRUST_200600_302600_NS17counting_iteratorIxNS8_11use_defaultESA_SA_EEPbZNS1_13binary_searchIS3_S5_PxSB_SC_NS1_16binary_search_opENS8_6detail16wrapped_functionINS0_4lessIvEEbEEEE10hipError_tPvRmT1_T2_T3_mmT4_T5_P12ihipStream_tbEUlRKxE_EESL_SP_SQ_mSR_SU_bEUlT_E_NS1_11comp_targetILNS1_3genE5ELNS1_11target_archE942ELNS1_3gpuE9ELNS1_3repE0EEENS1_30default_config_static_selectorELNS0_4arch9wavefront6targetE0EEEvSO_,comdat
	.protected	_ZN7rocprim17ROCPRIM_400000_NS6detail17trampoline_kernelINS0_14default_configENS1_29binary_search_config_selectorIxbEEZNS1_14transform_implILb0ES3_S5_N6thrust23THRUST_200600_302600_NS17counting_iteratorIxNS8_11use_defaultESA_SA_EEPbZNS1_13binary_searchIS3_S5_PxSB_SC_NS1_16binary_search_opENS8_6detail16wrapped_functionINS0_4lessIvEEbEEEE10hipError_tPvRmT1_T2_T3_mmT4_T5_P12ihipStream_tbEUlRKxE_EESL_SP_SQ_mSR_SU_bEUlT_E_NS1_11comp_targetILNS1_3genE5ELNS1_11target_archE942ELNS1_3gpuE9ELNS1_3repE0EEENS1_30default_config_static_selectorELNS0_4arch9wavefront6targetE0EEEvSO_ ; -- Begin function _ZN7rocprim17ROCPRIM_400000_NS6detail17trampoline_kernelINS0_14default_configENS1_29binary_search_config_selectorIxbEEZNS1_14transform_implILb0ES3_S5_N6thrust23THRUST_200600_302600_NS17counting_iteratorIxNS8_11use_defaultESA_SA_EEPbZNS1_13binary_searchIS3_S5_PxSB_SC_NS1_16binary_search_opENS8_6detail16wrapped_functionINS0_4lessIvEEbEEEE10hipError_tPvRmT1_T2_T3_mmT4_T5_P12ihipStream_tbEUlRKxE_EESL_SP_SQ_mSR_SU_bEUlT_E_NS1_11comp_targetILNS1_3genE5ELNS1_11target_archE942ELNS1_3gpuE9ELNS1_3repE0EEENS1_30default_config_static_selectorELNS0_4arch9wavefront6targetE0EEEvSO_
	.globl	_ZN7rocprim17ROCPRIM_400000_NS6detail17trampoline_kernelINS0_14default_configENS1_29binary_search_config_selectorIxbEEZNS1_14transform_implILb0ES3_S5_N6thrust23THRUST_200600_302600_NS17counting_iteratorIxNS8_11use_defaultESA_SA_EEPbZNS1_13binary_searchIS3_S5_PxSB_SC_NS1_16binary_search_opENS8_6detail16wrapped_functionINS0_4lessIvEEbEEEE10hipError_tPvRmT1_T2_T3_mmT4_T5_P12ihipStream_tbEUlRKxE_EESL_SP_SQ_mSR_SU_bEUlT_E_NS1_11comp_targetILNS1_3genE5ELNS1_11target_archE942ELNS1_3gpuE9ELNS1_3repE0EEENS1_30default_config_static_selectorELNS0_4arch9wavefront6targetE0EEEvSO_
	.p2align	8
	.type	_ZN7rocprim17ROCPRIM_400000_NS6detail17trampoline_kernelINS0_14default_configENS1_29binary_search_config_selectorIxbEEZNS1_14transform_implILb0ES3_S5_N6thrust23THRUST_200600_302600_NS17counting_iteratorIxNS8_11use_defaultESA_SA_EEPbZNS1_13binary_searchIS3_S5_PxSB_SC_NS1_16binary_search_opENS8_6detail16wrapped_functionINS0_4lessIvEEbEEEE10hipError_tPvRmT1_T2_T3_mmT4_T5_P12ihipStream_tbEUlRKxE_EESL_SP_SQ_mSR_SU_bEUlT_E_NS1_11comp_targetILNS1_3genE5ELNS1_11target_archE942ELNS1_3gpuE9ELNS1_3repE0EEENS1_30default_config_static_selectorELNS0_4arch9wavefront6targetE0EEEvSO_,@function
_ZN7rocprim17ROCPRIM_400000_NS6detail17trampoline_kernelINS0_14default_configENS1_29binary_search_config_selectorIxbEEZNS1_14transform_implILb0ES3_S5_N6thrust23THRUST_200600_302600_NS17counting_iteratorIxNS8_11use_defaultESA_SA_EEPbZNS1_13binary_searchIS3_S5_PxSB_SC_NS1_16binary_search_opENS8_6detail16wrapped_functionINS0_4lessIvEEbEEEE10hipError_tPvRmT1_T2_T3_mmT4_T5_P12ihipStream_tbEUlRKxE_EESL_SP_SQ_mSR_SU_bEUlT_E_NS1_11comp_targetILNS1_3genE5ELNS1_11target_archE942ELNS1_3gpuE9ELNS1_3repE0EEENS1_30default_config_static_selectorELNS0_4arch9wavefront6targetE0EEEvSO_: ; @_ZN7rocprim17ROCPRIM_400000_NS6detail17trampoline_kernelINS0_14default_configENS1_29binary_search_config_selectorIxbEEZNS1_14transform_implILb0ES3_S5_N6thrust23THRUST_200600_302600_NS17counting_iteratorIxNS8_11use_defaultESA_SA_EEPbZNS1_13binary_searchIS3_S5_PxSB_SC_NS1_16binary_search_opENS8_6detail16wrapped_functionINS0_4lessIvEEbEEEE10hipError_tPvRmT1_T2_T3_mmT4_T5_P12ihipStream_tbEUlRKxE_EESL_SP_SQ_mSR_SU_bEUlT_E_NS1_11comp_targetILNS1_3genE5ELNS1_11target_archE942ELNS1_3gpuE9ELNS1_3repE0EEENS1_30default_config_static_selectorELNS0_4arch9wavefront6targetE0EEEvSO_
; %bb.0:
	.section	.rodata,"a",@progbits
	.p2align	6, 0x0
	.amdhsa_kernel _ZN7rocprim17ROCPRIM_400000_NS6detail17trampoline_kernelINS0_14default_configENS1_29binary_search_config_selectorIxbEEZNS1_14transform_implILb0ES3_S5_N6thrust23THRUST_200600_302600_NS17counting_iteratorIxNS8_11use_defaultESA_SA_EEPbZNS1_13binary_searchIS3_S5_PxSB_SC_NS1_16binary_search_opENS8_6detail16wrapped_functionINS0_4lessIvEEbEEEE10hipError_tPvRmT1_T2_T3_mmT4_T5_P12ihipStream_tbEUlRKxE_EESL_SP_SQ_mSR_SU_bEUlT_E_NS1_11comp_targetILNS1_3genE5ELNS1_11target_archE942ELNS1_3gpuE9ELNS1_3repE0EEENS1_30default_config_static_selectorELNS0_4arch9wavefront6targetE0EEEvSO_
		.amdhsa_group_segment_fixed_size 0
		.amdhsa_private_segment_fixed_size 0
		.amdhsa_kernarg_size 56
		.amdhsa_user_sgpr_count 15
		.amdhsa_user_sgpr_dispatch_ptr 0
		.amdhsa_user_sgpr_queue_ptr 0
		.amdhsa_user_sgpr_kernarg_segment_ptr 1
		.amdhsa_user_sgpr_dispatch_id 0
		.amdhsa_user_sgpr_private_segment_size 0
		.amdhsa_wavefront_size32 1
		.amdhsa_uses_dynamic_stack 0
		.amdhsa_enable_private_segment 0
		.amdhsa_system_sgpr_workgroup_id_x 1
		.amdhsa_system_sgpr_workgroup_id_y 0
		.amdhsa_system_sgpr_workgroup_id_z 0
		.amdhsa_system_sgpr_workgroup_info 0
		.amdhsa_system_vgpr_workitem_id 0
		.amdhsa_next_free_vgpr 1
		.amdhsa_next_free_sgpr 1
		.amdhsa_reserve_vcc 0
		.amdhsa_float_round_mode_32 0
		.amdhsa_float_round_mode_16_64 0
		.amdhsa_float_denorm_mode_32 3
		.amdhsa_float_denorm_mode_16_64 3
		.amdhsa_dx10_clamp 1
		.amdhsa_ieee_mode 1
		.amdhsa_fp16_overflow 0
		.amdhsa_workgroup_processor_mode 1
		.amdhsa_memory_ordered 1
		.amdhsa_forward_progress 0
		.amdhsa_shared_vgpr_count 0
		.amdhsa_exception_fp_ieee_invalid_op 0
		.amdhsa_exception_fp_denorm_src 0
		.amdhsa_exception_fp_ieee_div_zero 0
		.amdhsa_exception_fp_ieee_overflow 0
		.amdhsa_exception_fp_ieee_underflow 0
		.amdhsa_exception_fp_ieee_inexact 0
		.amdhsa_exception_int_div_zero 0
	.end_amdhsa_kernel
	.section	.text._ZN7rocprim17ROCPRIM_400000_NS6detail17trampoline_kernelINS0_14default_configENS1_29binary_search_config_selectorIxbEEZNS1_14transform_implILb0ES3_S5_N6thrust23THRUST_200600_302600_NS17counting_iteratorIxNS8_11use_defaultESA_SA_EEPbZNS1_13binary_searchIS3_S5_PxSB_SC_NS1_16binary_search_opENS8_6detail16wrapped_functionINS0_4lessIvEEbEEEE10hipError_tPvRmT1_T2_T3_mmT4_T5_P12ihipStream_tbEUlRKxE_EESL_SP_SQ_mSR_SU_bEUlT_E_NS1_11comp_targetILNS1_3genE5ELNS1_11target_archE942ELNS1_3gpuE9ELNS1_3repE0EEENS1_30default_config_static_selectorELNS0_4arch9wavefront6targetE0EEEvSO_,"axG",@progbits,_ZN7rocprim17ROCPRIM_400000_NS6detail17trampoline_kernelINS0_14default_configENS1_29binary_search_config_selectorIxbEEZNS1_14transform_implILb0ES3_S5_N6thrust23THRUST_200600_302600_NS17counting_iteratorIxNS8_11use_defaultESA_SA_EEPbZNS1_13binary_searchIS3_S5_PxSB_SC_NS1_16binary_search_opENS8_6detail16wrapped_functionINS0_4lessIvEEbEEEE10hipError_tPvRmT1_T2_T3_mmT4_T5_P12ihipStream_tbEUlRKxE_EESL_SP_SQ_mSR_SU_bEUlT_E_NS1_11comp_targetILNS1_3genE5ELNS1_11target_archE942ELNS1_3gpuE9ELNS1_3repE0EEENS1_30default_config_static_selectorELNS0_4arch9wavefront6targetE0EEEvSO_,comdat
.Lfunc_end221:
	.size	_ZN7rocprim17ROCPRIM_400000_NS6detail17trampoline_kernelINS0_14default_configENS1_29binary_search_config_selectorIxbEEZNS1_14transform_implILb0ES3_S5_N6thrust23THRUST_200600_302600_NS17counting_iteratorIxNS8_11use_defaultESA_SA_EEPbZNS1_13binary_searchIS3_S5_PxSB_SC_NS1_16binary_search_opENS8_6detail16wrapped_functionINS0_4lessIvEEbEEEE10hipError_tPvRmT1_T2_T3_mmT4_T5_P12ihipStream_tbEUlRKxE_EESL_SP_SQ_mSR_SU_bEUlT_E_NS1_11comp_targetILNS1_3genE5ELNS1_11target_archE942ELNS1_3gpuE9ELNS1_3repE0EEENS1_30default_config_static_selectorELNS0_4arch9wavefront6targetE0EEEvSO_, .Lfunc_end221-_ZN7rocprim17ROCPRIM_400000_NS6detail17trampoline_kernelINS0_14default_configENS1_29binary_search_config_selectorIxbEEZNS1_14transform_implILb0ES3_S5_N6thrust23THRUST_200600_302600_NS17counting_iteratorIxNS8_11use_defaultESA_SA_EEPbZNS1_13binary_searchIS3_S5_PxSB_SC_NS1_16binary_search_opENS8_6detail16wrapped_functionINS0_4lessIvEEbEEEE10hipError_tPvRmT1_T2_T3_mmT4_T5_P12ihipStream_tbEUlRKxE_EESL_SP_SQ_mSR_SU_bEUlT_E_NS1_11comp_targetILNS1_3genE5ELNS1_11target_archE942ELNS1_3gpuE9ELNS1_3repE0EEENS1_30default_config_static_selectorELNS0_4arch9wavefront6targetE0EEEvSO_
                                        ; -- End function
	.section	.AMDGPU.csdata,"",@progbits
; Kernel info:
; codeLenInByte = 0
; NumSgprs: 0
; NumVgprs: 0
; ScratchSize: 0
; MemoryBound: 0
; FloatMode: 240
; IeeeMode: 1
; LDSByteSize: 0 bytes/workgroup (compile time only)
; SGPRBlocks: 0
; VGPRBlocks: 0
; NumSGPRsForWavesPerEU: 1
; NumVGPRsForWavesPerEU: 1
; Occupancy: 16
; WaveLimiterHint : 0
; COMPUTE_PGM_RSRC2:SCRATCH_EN: 0
; COMPUTE_PGM_RSRC2:USER_SGPR: 15
; COMPUTE_PGM_RSRC2:TRAP_HANDLER: 0
; COMPUTE_PGM_RSRC2:TGID_X_EN: 1
; COMPUTE_PGM_RSRC2:TGID_Y_EN: 0
; COMPUTE_PGM_RSRC2:TGID_Z_EN: 0
; COMPUTE_PGM_RSRC2:TIDIG_COMP_CNT: 0
	.section	.text._ZN7rocprim17ROCPRIM_400000_NS6detail17trampoline_kernelINS0_14default_configENS1_29binary_search_config_selectorIxbEEZNS1_14transform_implILb0ES3_S5_N6thrust23THRUST_200600_302600_NS17counting_iteratorIxNS8_11use_defaultESA_SA_EEPbZNS1_13binary_searchIS3_S5_PxSB_SC_NS1_16binary_search_opENS8_6detail16wrapped_functionINS0_4lessIvEEbEEEE10hipError_tPvRmT1_T2_T3_mmT4_T5_P12ihipStream_tbEUlRKxE_EESL_SP_SQ_mSR_SU_bEUlT_E_NS1_11comp_targetILNS1_3genE4ELNS1_11target_archE910ELNS1_3gpuE8ELNS1_3repE0EEENS1_30default_config_static_selectorELNS0_4arch9wavefront6targetE0EEEvSO_,"axG",@progbits,_ZN7rocprim17ROCPRIM_400000_NS6detail17trampoline_kernelINS0_14default_configENS1_29binary_search_config_selectorIxbEEZNS1_14transform_implILb0ES3_S5_N6thrust23THRUST_200600_302600_NS17counting_iteratorIxNS8_11use_defaultESA_SA_EEPbZNS1_13binary_searchIS3_S5_PxSB_SC_NS1_16binary_search_opENS8_6detail16wrapped_functionINS0_4lessIvEEbEEEE10hipError_tPvRmT1_T2_T3_mmT4_T5_P12ihipStream_tbEUlRKxE_EESL_SP_SQ_mSR_SU_bEUlT_E_NS1_11comp_targetILNS1_3genE4ELNS1_11target_archE910ELNS1_3gpuE8ELNS1_3repE0EEENS1_30default_config_static_selectorELNS0_4arch9wavefront6targetE0EEEvSO_,comdat
	.protected	_ZN7rocprim17ROCPRIM_400000_NS6detail17trampoline_kernelINS0_14default_configENS1_29binary_search_config_selectorIxbEEZNS1_14transform_implILb0ES3_S5_N6thrust23THRUST_200600_302600_NS17counting_iteratorIxNS8_11use_defaultESA_SA_EEPbZNS1_13binary_searchIS3_S5_PxSB_SC_NS1_16binary_search_opENS8_6detail16wrapped_functionINS0_4lessIvEEbEEEE10hipError_tPvRmT1_T2_T3_mmT4_T5_P12ihipStream_tbEUlRKxE_EESL_SP_SQ_mSR_SU_bEUlT_E_NS1_11comp_targetILNS1_3genE4ELNS1_11target_archE910ELNS1_3gpuE8ELNS1_3repE0EEENS1_30default_config_static_selectorELNS0_4arch9wavefront6targetE0EEEvSO_ ; -- Begin function _ZN7rocprim17ROCPRIM_400000_NS6detail17trampoline_kernelINS0_14default_configENS1_29binary_search_config_selectorIxbEEZNS1_14transform_implILb0ES3_S5_N6thrust23THRUST_200600_302600_NS17counting_iteratorIxNS8_11use_defaultESA_SA_EEPbZNS1_13binary_searchIS3_S5_PxSB_SC_NS1_16binary_search_opENS8_6detail16wrapped_functionINS0_4lessIvEEbEEEE10hipError_tPvRmT1_T2_T3_mmT4_T5_P12ihipStream_tbEUlRKxE_EESL_SP_SQ_mSR_SU_bEUlT_E_NS1_11comp_targetILNS1_3genE4ELNS1_11target_archE910ELNS1_3gpuE8ELNS1_3repE0EEENS1_30default_config_static_selectorELNS0_4arch9wavefront6targetE0EEEvSO_
	.globl	_ZN7rocprim17ROCPRIM_400000_NS6detail17trampoline_kernelINS0_14default_configENS1_29binary_search_config_selectorIxbEEZNS1_14transform_implILb0ES3_S5_N6thrust23THRUST_200600_302600_NS17counting_iteratorIxNS8_11use_defaultESA_SA_EEPbZNS1_13binary_searchIS3_S5_PxSB_SC_NS1_16binary_search_opENS8_6detail16wrapped_functionINS0_4lessIvEEbEEEE10hipError_tPvRmT1_T2_T3_mmT4_T5_P12ihipStream_tbEUlRKxE_EESL_SP_SQ_mSR_SU_bEUlT_E_NS1_11comp_targetILNS1_3genE4ELNS1_11target_archE910ELNS1_3gpuE8ELNS1_3repE0EEENS1_30default_config_static_selectorELNS0_4arch9wavefront6targetE0EEEvSO_
	.p2align	8
	.type	_ZN7rocprim17ROCPRIM_400000_NS6detail17trampoline_kernelINS0_14default_configENS1_29binary_search_config_selectorIxbEEZNS1_14transform_implILb0ES3_S5_N6thrust23THRUST_200600_302600_NS17counting_iteratorIxNS8_11use_defaultESA_SA_EEPbZNS1_13binary_searchIS3_S5_PxSB_SC_NS1_16binary_search_opENS8_6detail16wrapped_functionINS0_4lessIvEEbEEEE10hipError_tPvRmT1_T2_T3_mmT4_T5_P12ihipStream_tbEUlRKxE_EESL_SP_SQ_mSR_SU_bEUlT_E_NS1_11comp_targetILNS1_3genE4ELNS1_11target_archE910ELNS1_3gpuE8ELNS1_3repE0EEENS1_30default_config_static_selectorELNS0_4arch9wavefront6targetE0EEEvSO_,@function
_ZN7rocprim17ROCPRIM_400000_NS6detail17trampoline_kernelINS0_14default_configENS1_29binary_search_config_selectorIxbEEZNS1_14transform_implILb0ES3_S5_N6thrust23THRUST_200600_302600_NS17counting_iteratorIxNS8_11use_defaultESA_SA_EEPbZNS1_13binary_searchIS3_S5_PxSB_SC_NS1_16binary_search_opENS8_6detail16wrapped_functionINS0_4lessIvEEbEEEE10hipError_tPvRmT1_T2_T3_mmT4_T5_P12ihipStream_tbEUlRKxE_EESL_SP_SQ_mSR_SU_bEUlT_E_NS1_11comp_targetILNS1_3genE4ELNS1_11target_archE910ELNS1_3gpuE8ELNS1_3repE0EEENS1_30default_config_static_selectorELNS0_4arch9wavefront6targetE0EEEvSO_: ; @_ZN7rocprim17ROCPRIM_400000_NS6detail17trampoline_kernelINS0_14default_configENS1_29binary_search_config_selectorIxbEEZNS1_14transform_implILb0ES3_S5_N6thrust23THRUST_200600_302600_NS17counting_iteratorIxNS8_11use_defaultESA_SA_EEPbZNS1_13binary_searchIS3_S5_PxSB_SC_NS1_16binary_search_opENS8_6detail16wrapped_functionINS0_4lessIvEEbEEEE10hipError_tPvRmT1_T2_T3_mmT4_T5_P12ihipStream_tbEUlRKxE_EESL_SP_SQ_mSR_SU_bEUlT_E_NS1_11comp_targetILNS1_3genE4ELNS1_11target_archE910ELNS1_3gpuE8ELNS1_3repE0EEENS1_30default_config_static_selectorELNS0_4arch9wavefront6targetE0EEEvSO_
; %bb.0:
	.section	.rodata,"a",@progbits
	.p2align	6, 0x0
	.amdhsa_kernel _ZN7rocprim17ROCPRIM_400000_NS6detail17trampoline_kernelINS0_14default_configENS1_29binary_search_config_selectorIxbEEZNS1_14transform_implILb0ES3_S5_N6thrust23THRUST_200600_302600_NS17counting_iteratorIxNS8_11use_defaultESA_SA_EEPbZNS1_13binary_searchIS3_S5_PxSB_SC_NS1_16binary_search_opENS8_6detail16wrapped_functionINS0_4lessIvEEbEEEE10hipError_tPvRmT1_T2_T3_mmT4_T5_P12ihipStream_tbEUlRKxE_EESL_SP_SQ_mSR_SU_bEUlT_E_NS1_11comp_targetILNS1_3genE4ELNS1_11target_archE910ELNS1_3gpuE8ELNS1_3repE0EEENS1_30default_config_static_selectorELNS0_4arch9wavefront6targetE0EEEvSO_
		.amdhsa_group_segment_fixed_size 0
		.amdhsa_private_segment_fixed_size 0
		.amdhsa_kernarg_size 56
		.amdhsa_user_sgpr_count 15
		.amdhsa_user_sgpr_dispatch_ptr 0
		.amdhsa_user_sgpr_queue_ptr 0
		.amdhsa_user_sgpr_kernarg_segment_ptr 1
		.amdhsa_user_sgpr_dispatch_id 0
		.amdhsa_user_sgpr_private_segment_size 0
		.amdhsa_wavefront_size32 1
		.amdhsa_uses_dynamic_stack 0
		.amdhsa_enable_private_segment 0
		.amdhsa_system_sgpr_workgroup_id_x 1
		.amdhsa_system_sgpr_workgroup_id_y 0
		.amdhsa_system_sgpr_workgroup_id_z 0
		.amdhsa_system_sgpr_workgroup_info 0
		.amdhsa_system_vgpr_workitem_id 0
		.amdhsa_next_free_vgpr 1
		.amdhsa_next_free_sgpr 1
		.amdhsa_reserve_vcc 0
		.amdhsa_float_round_mode_32 0
		.amdhsa_float_round_mode_16_64 0
		.amdhsa_float_denorm_mode_32 3
		.amdhsa_float_denorm_mode_16_64 3
		.amdhsa_dx10_clamp 1
		.amdhsa_ieee_mode 1
		.amdhsa_fp16_overflow 0
		.amdhsa_workgroup_processor_mode 1
		.amdhsa_memory_ordered 1
		.amdhsa_forward_progress 0
		.amdhsa_shared_vgpr_count 0
		.amdhsa_exception_fp_ieee_invalid_op 0
		.amdhsa_exception_fp_denorm_src 0
		.amdhsa_exception_fp_ieee_div_zero 0
		.amdhsa_exception_fp_ieee_overflow 0
		.amdhsa_exception_fp_ieee_underflow 0
		.amdhsa_exception_fp_ieee_inexact 0
		.amdhsa_exception_int_div_zero 0
	.end_amdhsa_kernel
	.section	.text._ZN7rocprim17ROCPRIM_400000_NS6detail17trampoline_kernelINS0_14default_configENS1_29binary_search_config_selectorIxbEEZNS1_14transform_implILb0ES3_S5_N6thrust23THRUST_200600_302600_NS17counting_iteratorIxNS8_11use_defaultESA_SA_EEPbZNS1_13binary_searchIS3_S5_PxSB_SC_NS1_16binary_search_opENS8_6detail16wrapped_functionINS0_4lessIvEEbEEEE10hipError_tPvRmT1_T2_T3_mmT4_T5_P12ihipStream_tbEUlRKxE_EESL_SP_SQ_mSR_SU_bEUlT_E_NS1_11comp_targetILNS1_3genE4ELNS1_11target_archE910ELNS1_3gpuE8ELNS1_3repE0EEENS1_30default_config_static_selectorELNS0_4arch9wavefront6targetE0EEEvSO_,"axG",@progbits,_ZN7rocprim17ROCPRIM_400000_NS6detail17trampoline_kernelINS0_14default_configENS1_29binary_search_config_selectorIxbEEZNS1_14transform_implILb0ES3_S5_N6thrust23THRUST_200600_302600_NS17counting_iteratorIxNS8_11use_defaultESA_SA_EEPbZNS1_13binary_searchIS3_S5_PxSB_SC_NS1_16binary_search_opENS8_6detail16wrapped_functionINS0_4lessIvEEbEEEE10hipError_tPvRmT1_T2_T3_mmT4_T5_P12ihipStream_tbEUlRKxE_EESL_SP_SQ_mSR_SU_bEUlT_E_NS1_11comp_targetILNS1_3genE4ELNS1_11target_archE910ELNS1_3gpuE8ELNS1_3repE0EEENS1_30default_config_static_selectorELNS0_4arch9wavefront6targetE0EEEvSO_,comdat
.Lfunc_end222:
	.size	_ZN7rocprim17ROCPRIM_400000_NS6detail17trampoline_kernelINS0_14default_configENS1_29binary_search_config_selectorIxbEEZNS1_14transform_implILb0ES3_S5_N6thrust23THRUST_200600_302600_NS17counting_iteratorIxNS8_11use_defaultESA_SA_EEPbZNS1_13binary_searchIS3_S5_PxSB_SC_NS1_16binary_search_opENS8_6detail16wrapped_functionINS0_4lessIvEEbEEEE10hipError_tPvRmT1_T2_T3_mmT4_T5_P12ihipStream_tbEUlRKxE_EESL_SP_SQ_mSR_SU_bEUlT_E_NS1_11comp_targetILNS1_3genE4ELNS1_11target_archE910ELNS1_3gpuE8ELNS1_3repE0EEENS1_30default_config_static_selectorELNS0_4arch9wavefront6targetE0EEEvSO_, .Lfunc_end222-_ZN7rocprim17ROCPRIM_400000_NS6detail17trampoline_kernelINS0_14default_configENS1_29binary_search_config_selectorIxbEEZNS1_14transform_implILb0ES3_S5_N6thrust23THRUST_200600_302600_NS17counting_iteratorIxNS8_11use_defaultESA_SA_EEPbZNS1_13binary_searchIS3_S5_PxSB_SC_NS1_16binary_search_opENS8_6detail16wrapped_functionINS0_4lessIvEEbEEEE10hipError_tPvRmT1_T2_T3_mmT4_T5_P12ihipStream_tbEUlRKxE_EESL_SP_SQ_mSR_SU_bEUlT_E_NS1_11comp_targetILNS1_3genE4ELNS1_11target_archE910ELNS1_3gpuE8ELNS1_3repE0EEENS1_30default_config_static_selectorELNS0_4arch9wavefront6targetE0EEEvSO_
                                        ; -- End function
	.section	.AMDGPU.csdata,"",@progbits
; Kernel info:
; codeLenInByte = 0
; NumSgprs: 0
; NumVgprs: 0
; ScratchSize: 0
; MemoryBound: 0
; FloatMode: 240
; IeeeMode: 1
; LDSByteSize: 0 bytes/workgroup (compile time only)
; SGPRBlocks: 0
; VGPRBlocks: 0
; NumSGPRsForWavesPerEU: 1
; NumVGPRsForWavesPerEU: 1
; Occupancy: 16
; WaveLimiterHint : 0
; COMPUTE_PGM_RSRC2:SCRATCH_EN: 0
; COMPUTE_PGM_RSRC2:USER_SGPR: 15
; COMPUTE_PGM_RSRC2:TRAP_HANDLER: 0
; COMPUTE_PGM_RSRC2:TGID_X_EN: 1
; COMPUTE_PGM_RSRC2:TGID_Y_EN: 0
; COMPUTE_PGM_RSRC2:TGID_Z_EN: 0
; COMPUTE_PGM_RSRC2:TIDIG_COMP_CNT: 0
	.section	.text._ZN7rocprim17ROCPRIM_400000_NS6detail17trampoline_kernelINS0_14default_configENS1_29binary_search_config_selectorIxbEEZNS1_14transform_implILb0ES3_S5_N6thrust23THRUST_200600_302600_NS17counting_iteratorIxNS8_11use_defaultESA_SA_EEPbZNS1_13binary_searchIS3_S5_PxSB_SC_NS1_16binary_search_opENS8_6detail16wrapped_functionINS0_4lessIvEEbEEEE10hipError_tPvRmT1_T2_T3_mmT4_T5_P12ihipStream_tbEUlRKxE_EESL_SP_SQ_mSR_SU_bEUlT_E_NS1_11comp_targetILNS1_3genE3ELNS1_11target_archE908ELNS1_3gpuE7ELNS1_3repE0EEENS1_30default_config_static_selectorELNS0_4arch9wavefront6targetE0EEEvSO_,"axG",@progbits,_ZN7rocprim17ROCPRIM_400000_NS6detail17trampoline_kernelINS0_14default_configENS1_29binary_search_config_selectorIxbEEZNS1_14transform_implILb0ES3_S5_N6thrust23THRUST_200600_302600_NS17counting_iteratorIxNS8_11use_defaultESA_SA_EEPbZNS1_13binary_searchIS3_S5_PxSB_SC_NS1_16binary_search_opENS8_6detail16wrapped_functionINS0_4lessIvEEbEEEE10hipError_tPvRmT1_T2_T3_mmT4_T5_P12ihipStream_tbEUlRKxE_EESL_SP_SQ_mSR_SU_bEUlT_E_NS1_11comp_targetILNS1_3genE3ELNS1_11target_archE908ELNS1_3gpuE7ELNS1_3repE0EEENS1_30default_config_static_selectorELNS0_4arch9wavefront6targetE0EEEvSO_,comdat
	.protected	_ZN7rocprim17ROCPRIM_400000_NS6detail17trampoline_kernelINS0_14default_configENS1_29binary_search_config_selectorIxbEEZNS1_14transform_implILb0ES3_S5_N6thrust23THRUST_200600_302600_NS17counting_iteratorIxNS8_11use_defaultESA_SA_EEPbZNS1_13binary_searchIS3_S5_PxSB_SC_NS1_16binary_search_opENS8_6detail16wrapped_functionINS0_4lessIvEEbEEEE10hipError_tPvRmT1_T2_T3_mmT4_T5_P12ihipStream_tbEUlRKxE_EESL_SP_SQ_mSR_SU_bEUlT_E_NS1_11comp_targetILNS1_3genE3ELNS1_11target_archE908ELNS1_3gpuE7ELNS1_3repE0EEENS1_30default_config_static_selectorELNS0_4arch9wavefront6targetE0EEEvSO_ ; -- Begin function _ZN7rocprim17ROCPRIM_400000_NS6detail17trampoline_kernelINS0_14default_configENS1_29binary_search_config_selectorIxbEEZNS1_14transform_implILb0ES3_S5_N6thrust23THRUST_200600_302600_NS17counting_iteratorIxNS8_11use_defaultESA_SA_EEPbZNS1_13binary_searchIS3_S5_PxSB_SC_NS1_16binary_search_opENS8_6detail16wrapped_functionINS0_4lessIvEEbEEEE10hipError_tPvRmT1_T2_T3_mmT4_T5_P12ihipStream_tbEUlRKxE_EESL_SP_SQ_mSR_SU_bEUlT_E_NS1_11comp_targetILNS1_3genE3ELNS1_11target_archE908ELNS1_3gpuE7ELNS1_3repE0EEENS1_30default_config_static_selectorELNS0_4arch9wavefront6targetE0EEEvSO_
	.globl	_ZN7rocprim17ROCPRIM_400000_NS6detail17trampoline_kernelINS0_14default_configENS1_29binary_search_config_selectorIxbEEZNS1_14transform_implILb0ES3_S5_N6thrust23THRUST_200600_302600_NS17counting_iteratorIxNS8_11use_defaultESA_SA_EEPbZNS1_13binary_searchIS3_S5_PxSB_SC_NS1_16binary_search_opENS8_6detail16wrapped_functionINS0_4lessIvEEbEEEE10hipError_tPvRmT1_T2_T3_mmT4_T5_P12ihipStream_tbEUlRKxE_EESL_SP_SQ_mSR_SU_bEUlT_E_NS1_11comp_targetILNS1_3genE3ELNS1_11target_archE908ELNS1_3gpuE7ELNS1_3repE0EEENS1_30default_config_static_selectorELNS0_4arch9wavefront6targetE0EEEvSO_
	.p2align	8
	.type	_ZN7rocprim17ROCPRIM_400000_NS6detail17trampoline_kernelINS0_14default_configENS1_29binary_search_config_selectorIxbEEZNS1_14transform_implILb0ES3_S5_N6thrust23THRUST_200600_302600_NS17counting_iteratorIxNS8_11use_defaultESA_SA_EEPbZNS1_13binary_searchIS3_S5_PxSB_SC_NS1_16binary_search_opENS8_6detail16wrapped_functionINS0_4lessIvEEbEEEE10hipError_tPvRmT1_T2_T3_mmT4_T5_P12ihipStream_tbEUlRKxE_EESL_SP_SQ_mSR_SU_bEUlT_E_NS1_11comp_targetILNS1_3genE3ELNS1_11target_archE908ELNS1_3gpuE7ELNS1_3repE0EEENS1_30default_config_static_selectorELNS0_4arch9wavefront6targetE0EEEvSO_,@function
_ZN7rocprim17ROCPRIM_400000_NS6detail17trampoline_kernelINS0_14default_configENS1_29binary_search_config_selectorIxbEEZNS1_14transform_implILb0ES3_S5_N6thrust23THRUST_200600_302600_NS17counting_iteratorIxNS8_11use_defaultESA_SA_EEPbZNS1_13binary_searchIS3_S5_PxSB_SC_NS1_16binary_search_opENS8_6detail16wrapped_functionINS0_4lessIvEEbEEEE10hipError_tPvRmT1_T2_T3_mmT4_T5_P12ihipStream_tbEUlRKxE_EESL_SP_SQ_mSR_SU_bEUlT_E_NS1_11comp_targetILNS1_3genE3ELNS1_11target_archE908ELNS1_3gpuE7ELNS1_3repE0EEENS1_30default_config_static_selectorELNS0_4arch9wavefront6targetE0EEEvSO_: ; @_ZN7rocprim17ROCPRIM_400000_NS6detail17trampoline_kernelINS0_14default_configENS1_29binary_search_config_selectorIxbEEZNS1_14transform_implILb0ES3_S5_N6thrust23THRUST_200600_302600_NS17counting_iteratorIxNS8_11use_defaultESA_SA_EEPbZNS1_13binary_searchIS3_S5_PxSB_SC_NS1_16binary_search_opENS8_6detail16wrapped_functionINS0_4lessIvEEbEEEE10hipError_tPvRmT1_T2_T3_mmT4_T5_P12ihipStream_tbEUlRKxE_EESL_SP_SQ_mSR_SU_bEUlT_E_NS1_11comp_targetILNS1_3genE3ELNS1_11target_archE908ELNS1_3gpuE7ELNS1_3repE0EEENS1_30default_config_static_selectorELNS0_4arch9wavefront6targetE0EEEvSO_
; %bb.0:
	.section	.rodata,"a",@progbits
	.p2align	6, 0x0
	.amdhsa_kernel _ZN7rocprim17ROCPRIM_400000_NS6detail17trampoline_kernelINS0_14default_configENS1_29binary_search_config_selectorIxbEEZNS1_14transform_implILb0ES3_S5_N6thrust23THRUST_200600_302600_NS17counting_iteratorIxNS8_11use_defaultESA_SA_EEPbZNS1_13binary_searchIS3_S5_PxSB_SC_NS1_16binary_search_opENS8_6detail16wrapped_functionINS0_4lessIvEEbEEEE10hipError_tPvRmT1_T2_T3_mmT4_T5_P12ihipStream_tbEUlRKxE_EESL_SP_SQ_mSR_SU_bEUlT_E_NS1_11comp_targetILNS1_3genE3ELNS1_11target_archE908ELNS1_3gpuE7ELNS1_3repE0EEENS1_30default_config_static_selectorELNS0_4arch9wavefront6targetE0EEEvSO_
		.amdhsa_group_segment_fixed_size 0
		.amdhsa_private_segment_fixed_size 0
		.amdhsa_kernarg_size 56
		.amdhsa_user_sgpr_count 15
		.amdhsa_user_sgpr_dispatch_ptr 0
		.amdhsa_user_sgpr_queue_ptr 0
		.amdhsa_user_sgpr_kernarg_segment_ptr 1
		.amdhsa_user_sgpr_dispatch_id 0
		.amdhsa_user_sgpr_private_segment_size 0
		.amdhsa_wavefront_size32 1
		.amdhsa_uses_dynamic_stack 0
		.amdhsa_enable_private_segment 0
		.amdhsa_system_sgpr_workgroup_id_x 1
		.amdhsa_system_sgpr_workgroup_id_y 0
		.amdhsa_system_sgpr_workgroup_id_z 0
		.amdhsa_system_sgpr_workgroup_info 0
		.amdhsa_system_vgpr_workitem_id 0
		.amdhsa_next_free_vgpr 1
		.amdhsa_next_free_sgpr 1
		.amdhsa_reserve_vcc 0
		.amdhsa_float_round_mode_32 0
		.amdhsa_float_round_mode_16_64 0
		.amdhsa_float_denorm_mode_32 3
		.amdhsa_float_denorm_mode_16_64 3
		.amdhsa_dx10_clamp 1
		.amdhsa_ieee_mode 1
		.amdhsa_fp16_overflow 0
		.amdhsa_workgroup_processor_mode 1
		.amdhsa_memory_ordered 1
		.amdhsa_forward_progress 0
		.amdhsa_shared_vgpr_count 0
		.amdhsa_exception_fp_ieee_invalid_op 0
		.amdhsa_exception_fp_denorm_src 0
		.amdhsa_exception_fp_ieee_div_zero 0
		.amdhsa_exception_fp_ieee_overflow 0
		.amdhsa_exception_fp_ieee_underflow 0
		.amdhsa_exception_fp_ieee_inexact 0
		.amdhsa_exception_int_div_zero 0
	.end_amdhsa_kernel
	.section	.text._ZN7rocprim17ROCPRIM_400000_NS6detail17trampoline_kernelINS0_14default_configENS1_29binary_search_config_selectorIxbEEZNS1_14transform_implILb0ES3_S5_N6thrust23THRUST_200600_302600_NS17counting_iteratorIxNS8_11use_defaultESA_SA_EEPbZNS1_13binary_searchIS3_S5_PxSB_SC_NS1_16binary_search_opENS8_6detail16wrapped_functionINS0_4lessIvEEbEEEE10hipError_tPvRmT1_T2_T3_mmT4_T5_P12ihipStream_tbEUlRKxE_EESL_SP_SQ_mSR_SU_bEUlT_E_NS1_11comp_targetILNS1_3genE3ELNS1_11target_archE908ELNS1_3gpuE7ELNS1_3repE0EEENS1_30default_config_static_selectorELNS0_4arch9wavefront6targetE0EEEvSO_,"axG",@progbits,_ZN7rocprim17ROCPRIM_400000_NS6detail17trampoline_kernelINS0_14default_configENS1_29binary_search_config_selectorIxbEEZNS1_14transform_implILb0ES3_S5_N6thrust23THRUST_200600_302600_NS17counting_iteratorIxNS8_11use_defaultESA_SA_EEPbZNS1_13binary_searchIS3_S5_PxSB_SC_NS1_16binary_search_opENS8_6detail16wrapped_functionINS0_4lessIvEEbEEEE10hipError_tPvRmT1_T2_T3_mmT4_T5_P12ihipStream_tbEUlRKxE_EESL_SP_SQ_mSR_SU_bEUlT_E_NS1_11comp_targetILNS1_3genE3ELNS1_11target_archE908ELNS1_3gpuE7ELNS1_3repE0EEENS1_30default_config_static_selectorELNS0_4arch9wavefront6targetE0EEEvSO_,comdat
.Lfunc_end223:
	.size	_ZN7rocprim17ROCPRIM_400000_NS6detail17trampoline_kernelINS0_14default_configENS1_29binary_search_config_selectorIxbEEZNS1_14transform_implILb0ES3_S5_N6thrust23THRUST_200600_302600_NS17counting_iteratorIxNS8_11use_defaultESA_SA_EEPbZNS1_13binary_searchIS3_S5_PxSB_SC_NS1_16binary_search_opENS8_6detail16wrapped_functionINS0_4lessIvEEbEEEE10hipError_tPvRmT1_T2_T3_mmT4_T5_P12ihipStream_tbEUlRKxE_EESL_SP_SQ_mSR_SU_bEUlT_E_NS1_11comp_targetILNS1_3genE3ELNS1_11target_archE908ELNS1_3gpuE7ELNS1_3repE0EEENS1_30default_config_static_selectorELNS0_4arch9wavefront6targetE0EEEvSO_, .Lfunc_end223-_ZN7rocprim17ROCPRIM_400000_NS6detail17trampoline_kernelINS0_14default_configENS1_29binary_search_config_selectorIxbEEZNS1_14transform_implILb0ES3_S5_N6thrust23THRUST_200600_302600_NS17counting_iteratorIxNS8_11use_defaultESA_SA_EEPbZNS1_13binary_searchIS3_S5_PxSB_SC_NS1_16binary_search_opENS8_6detail16wrapped_functionINS0_4lessIvEEbEEEE10hipError_tPvRmT1_T2_T3_mmT4_T5_P12ihipStream_tbEUlRKxE_EESL_SP_SQ_mSR_SU_bEUlT_E_NS1_11comp_targetILNS1_3genE3ELNS1_11target_archE908ELNS1_3gpuE7ELNS1_3repE0EEENS1_30default_config_static_selectorELNS0_4arch9wavefront6targetE0EEEvSO_
                                        ; -- End function
	.section	.AMDGPU.csdata,"",@progbits
; Kernel info:
; codeLenInByte = 0
; NumSgprs: 0
; NumVgprs: 0
; ScratchSize: 0
; MemoryBound: 0
; FloatMode: 240
; IeeeMode: 1
; LDSByteSize: 0 bytes/workgroup (compile time only)
; SGPRBlocks: 0
; VGPRBlocks: 0
; NumSGPRsForWavesPerEU: 1
; NumVGPRsForWavesPerEU: 1
; Occupancy: 16
; WaveLimiterHint : 0
; COMPUTE_PGM_RSRC2:SCRATCH_EN: 0
; COMPUTE_PGM_RSRC2:USER_SGPR: 15
; COMPUTE_PGM_RSRC2:TRAP_HANDLER: 0
; COMPUTE_PGM_RSRC2:TGID_X_EN: 1
; COMPUTE_PGM_RSRC2:TGID_Y_EN: 0
; COMPUTE_PGM_RSRC2:TGID_Z_EN: 0
; COMPUTE_PGM_RSRC2:TIDIG_COMP_CNT: 0
	.section	.text._ZN7rocprim17ROCPRIM_400000_NS6detail17trampoline_kernelINS0_14default_configENS1_29binary_search_config_selectorIxbEEZNS1_14transform_implILb0ES3_S5_N6thrust23THRUST_200600_302600_NS17counting_iteratorIxNS8_11use_defaultESA_SA_EEPbZNS1_13binary_searchIS3_S5_PxSB_SC_NS1_16binary_search_opENS8_6detail16wrapped_functionINS0_4lessIvEEbEEEE10hipError_tPvRmT1_T2_T3_mmT4_T5_P12ihipStream_tbEUlRKxE_EESL_SP_SQ_mSR_SU_bEUlT_E_NS1_11comp_targetILNS1_3genE2ELNS1_11target_archE906ELNS1_3gpuE6ELNS1_3repE0EEENS1_30default_config_static_selectorELNS0_4arch9wavefront6targetE0EEEvSO_,"axG",@progbits,_ZN7rocprim17ROCPRIM_400000_NS6detail17trampoline_kernelINS0_14default_configENS1_29binary_search_config_selectorIxbEEZNS1_14transform_implILb0ES3_S5_N6thrust23THRUST_200600_302600_NS17counting_iteratorIxNS8_11use_defaultESA_SA_EEPbZNS1_13binary_searchIS3_S5_PxSB_SC_NS1_16binary_search_opENS8_6detail16wrapped_functionINS0_4lessIvEEbEEEE10hipError_tPvRmT1_T2_T3_mmT4_T5_P12ihipStream_tbEUlRKxE_EESL_SP_SQ_mSR_SU_bEUlT_E_NS1_11comp_targetILNS1_3genE2ELNS1_11target_archE906ELNS1_3gpuE6ELNS1_3repE0EEENS1_30default_config_static_selectorELNS0_4arch9wavefront6targetE0EEEvSO_,comdat
	.protected	_ZN7rocprim17ROCPRIM_400000_NS6detail17trampoline_kernelINS0_14default_configENS1_29binary_search_config_selectorIxbEEZNS1_14transform_implILb0ES3_S5_N6thrust23THRUST_200600_302600_NS17counting_iteratorIxNS8_11use_defaultESA_SA_EEPbZNS1_13binary_searchIS3_S5_PxSB_SC_NS1_16binary_search_opENS8_6detail16wrapped_functionINS0_4lessIvEEbEEEE10hipError_tPvRmT1_T2_T3_mmT4_T5_P12ihipStream_tbEUlRKxE_EESL_SP_SQ_mSR_SU_bEUlT_E_NS1_11comp_targetILNS1_3genE2ELNS1_11target_archE906ELNS1_3gpuE6ELNS1_3repE0EEENS1_30default_config_static_selectorELNS0_4arch9wavefront6targetE0EEEvSO_ ; -- Begin function _ZN7rocprim17ROCPRIM_400000_NS6detail17trampoline_kernelINS0_14default_configENS1_29binary_search_config_selectorIxbEEZNS1_14transform_implILb0ES3_S5_N6thrust23THRUST_200600_302600_NS17counting_iteratorIxNS8_11use_defaultESA_SA_EEPbZNS1_13binary_searchIS3_S5_PxSB_SC_NS1_16binary_search_opENS8_6detail16wrapped_functionINS0_4lessIvEEbEEEE10hipError_tPvRmT1_T2_T3_mmT4_T5_P12ihipStream_tbEUlRKxE_EESL_SP_SQ_mSR_SU_bEUlT_E_NS1_11comp_targetILNS1_3genE2ELNS1_11target_archE906ELNS1_3gpuE6ELNS1_3repE0EEENS1_30default_config_static_selectorELNS0_4arch9wavefront6targetE0EEEvSO_
	.globl	_ZN7rocprim17ROCPRIM_400000_NS6detail17trampoline_kernelINS0_14default_configENS1_29binary_search_config_selectorIxbEEZNS1_14transform_implILb0ES3_S5_N6thrust23THRUST_200600_302600_NS17counting_iteratorIxNS8_11use_defaultESA_SA_EEPbZNS1_13binary_searchIS3_S5_PxSB_SC_NS1_16binary_search_opENS8_6detail16wrapped_functionINS0_4lessIvEEbEEEE10hipError_tPvRmT1_T2_T3_mmT4_T5_P12ihipStream_tbEUlRKxE_EESL_SP_SQ_mSR_SU_bEUlT_E_NS1_11comp_targetILNS1_3genE2ELNS1_11target_archE906ELNS1_3gpuE6ELNS1_3repE0EEENS1_30default_config_static_selectorELNS0_4arch9wavefront6targetE0EEEvSO_
	.p2align	8
	.type	_ZN7rocprim17ROCPRIM_400000_NS6detail17trampoline_kernelINS0_14default_configENS1_29binary_search_config_selectorIxbEEZNS1_14transform_implILb0ES3_S5_N6thrust23THRUST_200600_302600_NS17counting_iteratorIxNS8_11use_defaultESA_SA_EEPbZNS1_13binary_searchIS3_S5_PxSB_SC_NS1_16binary_search_opENS8_6detail16wrapped_functionINS0_4lessIvEEbEEEE10hipError_tPvRmT1_T2_T3_mmT4_T5_P12ihipStream_tbEUlRKxE_EESL_SP_SQ_mSR_SU_bEUlT_E_NS1_11comp_targetILNS1_3genE2ELNS1_11target_archE906ELNS1_3gpuE6ELNS1_3repE0EEENS1_30default_config_static_selectorELNS0_4arch9wavefront6targetE0EEEvSO_,@function
_ZN7rocprim17ROCPRIM_400000_NS6detail17trampoline_kernelINS0_14default_configENS1_29binary_search_config_selectorIxbEEZNS1_14transform_implILb0ES3_S5_N6thrust23THRUST_200600_302600_NS17counting_iteratorIxNS8_11use_defaultESA_SA_EEPbZNS1_13binary_searchIS3_S5_PxSB_SC_NS1_16binary_search_opENS8_6detail16wrapped_functionINS0_4lessIvEEbEEEE10hipError_tPvRmT1_T2_T3_mmT4_T5_P12ihipStream_tbEUlRKxE_EESL_SP_SQ_mSR_SU_bEUlT_E_NS1_11comp_targetILNS1_3genE2ELNS1_11target_archE906ELNS1_3gpuE6ELNS1_3repE0EEENS1_30default_config_static_selectorELNS0_4arch9wavefront6targetE0EEEvSO_: ; @_ZN7rocprim17ROCPRIM_400000_NS6detail17trampoline_kernelINS0_14default_configENS1_29binary_search_config_selectorIxbEEZNS1_14transform_implILb0ES3_S5_N6thrust23THRUST_200600_302600_NS17counting_iteratorIxNS8_11use_defaultESA_SA_EEPbZNS1_13binary_searchIS3_S5_PxSB_SC_NS1_16binary_search_opENS8_6detail16wrapped_functionINS0_4lessIvEEbEEEE10hipError_tPvRmT1_T2_T3_mmT4_T5_P12ihipStream_tbEUlRKxE_EESL_SP_SQ_mSR_SU_bEUlT_E_NS1_11comp_targetILNS1_3genE2ELNS1_11target_archE906ELNS1_3gpuE6ELNS1_3repE0EEENS1_30default_config_static_selectorELNS0_4arch9wavefront6targetE0EEEvSO_
; %bb.0:
	.section	.rodata,"a",@progbits
	.p2align	6, 0x0
	.amdhsa_kernel _ZN7rocprim17ROCPRIM_400000_NS6detail17trampoline_kernelINS0_14default_configENS1_29binary_search_config_selectorIxbEEZNS1_14transform_implILb0ES3_S5_N6thrust23THRUST_200600_302600_NS17counting_iteratorIxNS8_11use_defaultESA_SA_EEPbZNS1_13binary_searchIS3_S5_PxSB_SC_NS1_16binary_search_opENS8_6detail16wrapped_functionINS0_4lessIvEEbEEEE10hipError_tPvRmT1_T2_T3_mmT4_T5_P12ihipStream_tbEUlRKxE_EESL_SP_SQ_mSR_SU_bEUlT_E_NS1_11comp_targetILNS1_3genE2ELNS1_11target_archE906ELNS1_3gpuE6ELNS1_3repE0EEENS1_30default_config_static_selectorELNS0_4arch9wavefront6targetE0EEEvSO_
		.amdhsa_group_segment_fixed_size 0
		.amdhsa_private_segment_fixed_size 0
		.amdhsa_kernarg_size 56
		.amdhsa_user_sgpr_count 15
		.amdhsa_user_sgpr_dispatch_ptr 0
		.amdhsa_user_sgpr_queue_ptr 0
		.amdhsa_user_sgpr_kernarg_segment_ptr 1
		.amdhsa_user_sgpr_dispatch_id 0
		.amdhsa_user_sgpr_private_segment_size 0
		.amdhsa_wavefront_size32 1
		.amdhsa_uses_dynamic_stack 0
		.amdhsa_enable_private_segment 0
		.amdhsa_system_sgpr_workgroup_id_x 1
		.amdhsa_system_sgpr_workgroup_id_y 0
		.amdhsa_system_sgpr_workgroup_id_z 0
		.amdhsa_system_sgpr_workgroup_info 0
		.amdhsa_system_vgpr_workitem_id 0
		.amdhsa_next_free_vgpr 1
		.amdhsa_next_free_sgpr 1
		.amdhsa_reserve_vcc 0
		.amdhsa_float_round_mode_32 0
		.amdhsa_float_round_mode_16_64 0
		.amdhsa_float_denorm_mode_32 3
		.amdhsa_float_denorm_mode_16_64 3
		.amdhsa_dx10_clamp 1
		.amdhsa_ieee_mode 1
		.amdhsa_fp16_overflow 0
		.amdhsa_workgroup_processor_mode 1
		.amdhsa_memory_ordered 1
		.amdhsa_forward_progress 0
		.amdhsa_shared_vgpr_count 0
		.amdhsa_exception_fp_ieee_invalid_op 0
		.amdhsa_exception_fp_denorm_src 0
		.amdhsa_exception_fp_ieee_div_zero 0
		.amdhsa_exception_fp_ieee_overflow 0
		.amdhsa_exception_fp_ieee_underflow 0
		.amdhsa_exception_fp_ieee_inexact 0
		.amdhsa_exception_int_div_zero 0
	.end_amdhsa_kernel
	.section	.text._ZN7rocprim17ROCPRIM_400000_NS6detail17trampoline_kernelINS0_14default_configENS1_29binary_search_config_selectorIxbEEZNS1_14transform_implILb0ES3_S5_N6thrust23THRUST_200600_302600_NS17counting_iteratorIxNS8_11use_defaultESA_SA_EEPbZNS1_13binary_searchIS3_S5_PxSB_SC_NS1_16binary_search_opENS8_6detail16wrapped_functionINS0_4lessIvEEbEEEE10hipError_tPvRmT1_T2_T3_mmT4_T5_P12ihipStream_tbEUlRKxE_EESL_SP_SQ_mSR_SU_bEUlT_E_NS1_11comp_targetILNS1_3genE2ELNS1_11target_archE906ELNS1_3gpuE6ELNS1_3repE0EEENS1_30default_config_static_selectorELNS0_4arch9wavefront6targetE0EEEvSO_,"axG",@progbits,_ZN7rocprim17ROCPRIM_400000_NS6detail17trampoline_kernelINS0_14default_configENS1_29binary_search_config_selectorIxbEEZNS1_14transform_implILb0ES3_S5_N6thrust23THRUST_200600_302600_NS17counting_iteratorIxNS8_11use_defaultESA_SA_EEPbZNS1_13binary_searchIS3_S5_PxSB_SC_NS1_16binary_search_opENS8_6detail16wrapped_functionINS0_4lessIvEEbEEEE10hipError_tPvRmT1_T2_T3_mmT4_T5_P12ihipStream_tbEUlRKxE_EESL_SP_SQ_mSR_SU_bEUlT_E_NS1_11comp_targetILNS1_3genE2ELNS1_11target_archE906ELNS1_3gpuE6ELNS1_3repE0EEENS1_30default_config_static_selectorELNS0_4arch9wavefront6targetE0EEEvSO_,comdat
.Lfunc_end224:
	.size	_ZN7rocprim17ROCPRIM_400000_NS6detail17trampoline_kernelINS0_14default_configENS1_29binary_search_config_selectorIxbEEZNS1_14transform_implILb0ES3_S5_N6thrust23THRUST_200600_302600_NS17counting_iteratorIxNS8_11use_defaultESA_SA_EEPbZNS1_13binary_searchIS3_S5_PxSB_SC_NS1_16binary_search_opENS8_6detail16wrapped_functionINS0_4lessIvEEbEEEE10hipError_tPvRmT1_T2_T3_mmT4_T5_P12ihipStream_tbEUlRKxE_EESL_SP_SQ_mSR_SU_bEUlT_E_NS1_11comp_targetILNS1_3genE2ELNS1_11target_archE906ELNS1_3gpuE6ELNS1_3repE0EEENS1_30default_config_static_selectorELNS0_4arch9wavefront6targetE0EEEvSO_, .Lfunc_end224-_ZN7rocprim17ROCPRIM_400000_NS6detail17trampoline_kernelINS0_14default_configENS1_29binary_search_config_selectorIxbEEZNS1_14transform_implILb0ES3_S5_N6thrust23THRUST_200600_302600_NS17counting_iteratorIxNS8_11use_defaultESA_SA_EEPbZNS1_13binary_searchIS3_S5_PxSB_SC_NS1_16binary_search_opENS8_6detail16wrapped_functionINS0_4lessIvEEbEEEE10hipError_tPvRmT1_T2_T3_mmT4_T5_P12ihipStream_tbEUlRKxE_EESL_SP_SQ_mSR_SU_bEUlT_E_NS1_11comp_targetILNS1_3genE2ELNS1_11target_archE906ELNS1_3gpuE6ELNS1_3repE0EEENS1_30default_config_static_selectorELNS0_4arch9wavefront6targetE0EEEvSO_
                                        ; -- End function
	.section	.AMDGPU.csdata,"",@progbits
; Kernel info:
; codeLenInByte = 0
; NumSgprs: 0
; NumVgprs: 0
; ScratchSize: 0
; MemoryBound: 0
; FloatMode: 240
; IeeeMode: 1
; LDSByteSize: 0 bytes/workgroup (compile time only)
; SGPRBlocks: 0
; VGPRBlocks: 0
; NumSGPRsForWavesPerEU: 1
; NumVGPRsForWavesPerEU: 1
; Occupancy: 16
; WaveLimiterHint : 0
; COMPUTE_PGM_RSRC2:SCRATCH_EN: 0
; COMPUTE_PGM_RSRC2:USER_SGPR: 15
; COMPUTE_PGM_RSRC2:TRAP_HANDLER: 0
; COMPUTE_PGM_RSRC2:TGID_X_EN: 1
; COMPUTE_PGM_RSRC2:TGID_Y_EN: 0
; COMPUTE_PGM_RSRC2:TGID_Z_EN: 0
; COMPUTE_PGM_RSRC2:TIDIG_COMP_CNT: 0
	.section	.text._ZN7rocprim17ROCPRIM_400000_NS6detail17trampoline_kernelINS0_14default_configENS1_29binary_search_config_selectorIxbEEZNS1_14transform_implILb0ES3_S5_N6thrust23THRUST_200600_302600_NS17counting_iteratorIxNS8_11use_defaultESA_SA_EEPbZNS1_13binary_searchIS3_S5_PxSB_SC_NS1_16binary_search_opENS8_6detail16wrapped_functionINS0_4lessIvEEbEEEE10hipError_tPvRmT1_T2_T3_mmT4_T5_P12ihipStream_tbEUlRKxE_EESL_SP_SQ_mSR_SU_bEUlT_E_NS1_11comp_targetILNS1_3genE10ELNS1_11target_archE1201ELNS1_3gpuE5ELNS1_3repE0EEENS1_30default_config_static_selectorELNS0_4arch9wavefront6targetE0EEEvSO_,"axG",@progbits,_ZN7rocprim17ROCPRIM_400000_NS6detail17trampoline_kernelINS0_14default_configENS1_29binary_search_config_selectorIxbEEZNS1_14transform_implILb0ES3_S5_N6thrust23THRUST_200600_302600_NS17counting_iteratorIxNS8_11use_defaultESA_SA_EEPbZNS1_13binary_searchIS3_S5_PxSB_SC_NS1_16binary_search_opENS8_6detail16wrapped_functionINS0_4lessIvEEbEEEE10hipError_tPvRmT1_T2_T3_mmT4_T5_P12ihipStream_tbEUlRKxE_EESL_SP_SQ_mSR_SU_bEUlT_E_NS1_11comp_targetILNS1_3genE10ELNS1_11target_archE1201ELNS1_3gpuE5ELNS1_3repE0EEENS1_30default_config_static_selectorELNS0_4arch9wavefront6targetE0EEEvSO_,comdat
	.protected	_ZN7rocprim17ROCPRIM_400000_NS6detail17trampoline_kernelINS0_14default_configENS1_29binary_search_config_selectorIxbEEZNS1_14transform_implILb0ES3_S5_N6thrust23THRUST_200600_302600_NS17counting_iteratorIxNS8_11use_defaultESA_SA_EEPbZNS1_13binary_searchIS3_S5_PxSB_SC_NS1_16binary_search_opENS8_6detail16wrapped_functionINS0_4lessIvEEbEEEE10hipError_tPvRmT1_T2_T3_mmT4_T5_P12ihipStream_tbEUlRKxE_EESL_SP_SQ_mSR_SU_bEUlT_E_NS1_11comp_targetILNS1_3genE10ELNS1_11target_archE1201ELNS1_3gpuE5ELNS1_3repE0EEENS1_30default_config_static_selectorELNS0_4arch9wavefront6targetE0EEEvSO_ ; -- Begin function _ZN7rocprim17ROCPRIM_400000_NS6detail17trampoline_kernelINS0_14default_configENS1_29binary_search_config_selectorIxbEEZNS1_14transform_implILb0ES3_S5_N6thrust23THRUST_200600_302600_NS17counting_iteratorIxNS8_11use_defaultESA_SA_EEPbZNS1_13binary_searchIS3_S5_PxSB_SC_NS1_16binary_search_opENS8_6detail16wrapped_functionINS0_4lessIvEEbEEEE10hipError_tPvRmT1_T2_T3_mmT4_T5_P12ihipStream_tbEUlRKxE_EESL_SP_SQ_mSR_SU_bEUlT_E_NS1_11comp_targetILNS1_3genE10ELNS1_11target_archE1201ELNS1_3gpuE5ELNS1_3repE0EEENS1_30default_config_static_selectorELNS0_4arch9wavefront6targetE0EEEvSO_
	.globl	_ZN7rocprim17ROCPRIM_400000_NS6detail17trampoline_kernelINS0_14default_configENS1_29binary_search_config_selectorIxbEEZNS1_14transform_implILb0ES3_S5_N6thrust23THRUST_200600_302600_NS17counting_iteratorIxNS8_11use_defaultESA_SA_EEPbZNS1_13binary_searchIS3_S5_PxSB_SC_NS1_16binary_search_opENS8_6detail16wrapped_functionINS0_4lessIvEEbEEEE10hipError_tPvRmT1_T2_T3_mmT4_T5_P12ihipStream_tbEUlRKxE_EESL_SP_SQ_mSR_SU_bEUlT_E_NS1_11comp_targetILNS1_3genE10ELNS1_11target_archE1201ELNS1_3gpuE5ELNS1_3repE0EEENS1_30default_config_static_selectorELNS0_4arch9wavefront6targetE0EEEvSO_
	.p2align	8
	.type	_ZN7rocprim17ROCPRIM_400000_NS6detail17trampoline_kernelINS0_14default_configENS1_29binary_search_config_selectorIxbEEZNS1_14transform_implILb0ES3_S5_N6thrust23THRUST_200600_302600_NS17counting_iteratorIxNS8_11use_defaultESA_SA_EEPbZNS1_13binary_searchIS3_S5_PxSB_SC_NS1_16binary_search_opENS8_6detail16wrapped_functionINS0_4lessIvEEbEEEE10hipError_tPvRmT1_T2_T3_mmT4_T5_P12ihipStream_tbEUlRKxE_EESL_SP_SQ_mSR_SU_bEUlT_E_NS1_11comp_targetILNS1_3genE10ELNS1_11target_archE1201ELNS1_3gpuE5ELNS1_3repE0EEENS1_30default_config_static_selectorELNS0_4arch9wavefront6targetE0EEEvSO_,@function
_ZN7rocprim17ROCPRIM_400000_NS6detail17trampoline_kernelINS0_14default_configENS1_29binary_search_config_selectorIxbEEZNS1_14transform_implILb0ES3_S5_N6thrust23THRUST_200600_302600_NS17counting_iteratorIxNS8_11use_defaultESA_SA_EEPbZNS1_13binary_searchIS3_S5_PxSB_SC_NS1_16binary_search_opENS8_6detail16wrapped_functionINS0_4lessIvEEbEEEE10hipError_tPvRmT1_T2_T3_mmT4_T5_P12ihipStream_tbEUlRKxE_EESL_SP_SQ_mSR_SU_bEUlT_E_NS1_11comp_targetILNS1_3genE10ELNS1_11target_archE1201ELNS1_3gpuE5ELNS1_3repE0EEENS1_30default_config_static_selectorELNS0_4arch9wavefront6targetE0EEEvSO_: ; @_ZN7rocprim17ROCPRIM_400000_NS6detail17trampoline_kernelINS0_14default_configENS1_29binary_search_config_selectorIxbEEZNS1_14transform_implILb0ES3_S5_N6thrust23THRUST_200600_302600_NS17counting_iteratorIxNS8_11use_defaultESA_SA_EEPbZNS1_13binary_searchIS3_S5_PxSB_SC_NS1_16binary_search_opENS8_6detail16wrapped_functionINS0_4lessIvEEbEEEE10hipError_tPvRmT1_T2_T3_mmT4_T5_P12ihipStream_tbEUlRKxE_EESL_SP_SQ_mSR_SU_bEUlT_E_NS1_11comp_targetILNS1_3genE10ELNS1_11target_archE1201ELNS1_3gpuE5ELNS1_3repE0EEENS1_30default_config_static_selectorELNS0_4arch9wavefront6targetE0EEEvSO_
; %bb.0:
	.section	.rodata,"a",@progbits
	.p2align	6, 0x0
	.amdhsa_kernel _ZN7rocprim17ROCPRIM_400000_NS6detail17trampoline_kernelINS0_14default_configENS1_29binary_search_config_selectorIxbEEZNS1_14transform_implILb0ES3_S5_N6thrust23THRUST_200600_302600_NS17counting_iteratorIxNS8_11use_defaultESA_SA_EEPbZNS1_13binary_searchIS3_S5_PxSB_SC_NS1_16binary_search_opENS8_6detail16wrapped_functionINS0_4lessIvEEbEEEE10hipError_tPvRmT1_T2_T3_mmT4_T5_P12ihipStream_tbEUlRKxE_EESL_SP_SQ_mSR_SU_bEUlT_E_NS1_11comp_targetILNS1_3genE10ELNS1_11target_archE1201ELNS1_3gpuE5ELNS1_3repE0EEENS1_30default_config_static_selectorELNS0_4arch9wavefront6targetE0EEEvSO_
		.amdhsa_group_segment_fixed_size 0
		.amdhsa_private_segment_fixed_size 0
		.amdhsa_kernarg_size 56
		.amdhsa_user_sgpr_count 15
		.amdhsa_user_sgpr_dispatch_ptr 0
		.amdhsa_user_sgpr_queue_ptr 0
		.amdhsa_user_sgpr_kernarg_segment_ptr 1
		.amdhsa_user_sgpr_dispatch_id 0
		.amdhsa_user_sgpr_private_segment_size 0
		.amdhsa_wavefront_size32 1
		.amdhsa_uses_dynamic_stack 0
		.amdhsa_enable_private_segment 0
		.amdhsa_system_sgpr_workgroup_id_x 1
		.amdhsa_system_sgpr_workgroup_id_y 0
		.amdhsa_system_sgpr_workgroup_id_z 0
		.amdhsa_system_sgpr_workgroup_info 0
		.amdhsa_system_vgpr_workitem_id 0
		.amdhsa_next_free_vgpr 1
		.amdhsa_next_free_sgpr 1
		.amdhsa_reserve_vcc 0
		.amdhsa_float_round_mode_32 0
		.amdhsa_float_round_mode_16_64 0
		.amdhsa_float_denorm_mode_32 3
		.amdhsa_float_denorm_mode_16_64 3
		.amdhsa_dx10_clamp 1
		.amdhsa_ieee_mode 1
		.amdhsa_fp16_overflow 0
		.amdhsa_workgroup_processor_mode 1
		.amdhsa_memory_ordered 1
		.amdhsa_forward_progress 0
		.amdhsa_shared_vgpr_count 0
		.amdhsa_exception_fp_ieee_invalid_op 0
		.amdhsa_exception_fp_denorm_src 0
		.amdhsa_exception_fp_ieee_div_zero 0
		.amdhsa_exception_fp_ieee_overflow 0
		.amdhsa_exception_fp_ieee_underflow 0
		.amdhsa_exception_fp_ieee_inexact 0
		.amdhsa_exception_int_div_zero 0
	.end_amdhsa_kernel
	.section	.text._ZN7rocprim17ROCPRIM_400000_NS6detail17trampoline_kernelINS0_14default_configENS1_29binary_search_config_selectorIxbEEZNS1_14transform_implILb0ES3_S5_N6thrust23THRUST_200600_302600_NS17counting_iteratorIxNS8_11use_defaultESA_SA_EEPbZNS1_13binary_searchIS3_S5_PxSB_SC_NS1_16binary_search_opENS8_6detail16wrapped_functionINS0_4lessIvEEbEEEE10hipError_tPvRmT1_T2_T3_mmT4_T5_P12ihipStream_tbEUlRKxE_EESL_SP_SQ_mSR_SU_bEUlT_E_NS1_11comp_targetILNS1_3genE10ELNS1_11target_archE1201ELNS1_3gpuE5ELNS1_3repE0EEENS1_30default_config_static_selectorELNS0_4arch9wavefront6targetE0EEEvSO_,"axG",@progbits,_ZN7rocprim17ROCPRIM_400000_NS6detail17trampoline_kernelINS0_14default_configENS1_29binary_search_config_selectorIxbEEZNS1_14transform_implILb0ES3_S5_N6thrust23THRUST_200600_302600_NS17counting_iteratorIxNS8_11use_defaultESA_SA_EEPbZNS1_13binary_searchIS3_S5_PxSB_SC_NS1_16binary_search_opENS8_6detail16wrapped_functionINS0_4lessIvEEbEEEE10hipError_tPvRmT1_T2_T3_mmT4_T5_P12ihipStream_tbEUlRKxE_EESL_SP_SQ_mSR_SU_bEUlT_E_NS1_11comp_targetILNS1_3genE10ELNS1_11target_archE1201ELNS1_3gpuE5ELNS1_3repE0EEENS1_30default_config_static_selectorELNS0_4arch9wavefront6targetE0EEEvSO_,comdat
.Lfunc_end225:
	.size	_ZN7rocprim17ROCPRIM_400000_NS6detail17trampoline_kernelINS0_14default_configENS1_29binary_search_config_selectorIxbEEZNS1_14transform_implILb0ES3_S5_N6thrust23THRUST_200600_302600_NS17counting_iteratorIxNS8_11use_defaultESA_SA_EEPbZNS1_13binary_searchIS3_S5_PxSB_SC_NS1_16binary_search_opENS8_6detail16wrapped_functionINS0_4lessIvEEbEEEE10hipError_tPvRmT1_T2_T3_mmT4_T5_P12ihipStream_tbEUlRKxE_EESL_SP_SQ_mSR_SU_bEUlT_E_NS1_11comp_targetILNS1_3genE10ELNS1_11target_archE1201ELNS1_3gpuE5ELNS1_3repE0EEENS1_30default_config_static_selectorELNS0_4arch9wavefront6targetE0EEEvSO_, .Lfunc_end225-_ZN7rocprim17ROCPRIM_400000_NS6detail17trampoline_kernelINS0_14default_configENS1_29binary_search_config_selectorIxbEEZNS1_14transform_implILb0ES3_S5_N6thrust23THRUST_200600_302600_NS17counting_iteratorIxNS8_11use_defaultESA_SA_EEPbZNS1_13binary_searchIS3_S5_PxSB_SC_NS1_16binary_search_opENS8_6detail16wrapped_functionINS0_4lessIvEEbEEEE10hipError_tPvRmT1_T2_T3_mmT4_T5_P12ihipStream_tbEUlRKxE_EESL_SP_SQ_mSR_SU_bEUlT_E_NS1_11comp_targetILNS1_3genE10ELNS1_11target_archE1201ELNS1_3gpuE5ELNS1_3repE0EEENS1_30default_config_static_selectorELNS0_4arch9wavefront6targetE0EEEvSO_
                                        ; -- End function
	.section	.AMDGPU.csdata,"",@progbits
; Kernel info:
; codeLenInByte = 0
; NumSgprs: 0
; NumVgprs: 0
; ScratchSize: 0
; MemoryBound: 0
; FloatMode: 240
; IeeeMode: 1
; LDSByteSize: 0 bytes/workgroup (compile time only)
; SGPRBlocks: 0
; VGPRBlocks: 0
; NumSGPRsForWavesPerEU: 1
; NumVGPRsForWavesPerEU: 1
; Occupancy: 16
; WaveLimiterHint : 0
; COMPUTE_PGM_RSRC2:SCRATCH_EN: 0
; COMPUTE_PGM_RSRC2:USER_SGPR: 15
; COMPUTE_PGM_RSRC2:TRAP_HANDLER: 0
; COMPUTE_PGM_RSRC2:TGID_X_EN: 1
; COMPUTE_PGM_RSRC2:TGID_Y_EN: 0
; COMPUTE_PGM_RSRC2:TGID_Z_EN: 0
; COMPUTE_PGM_RSRC2:TIDIG_COMP_CNT: 0
	.section	.text._ZN7rocprim17ROCPRIM_400000_NS6detail17trampoline_kernelINS0_14default_configENS1_29binary_search_config_selectorIxbEEZNS1_14transform_implILb0ES3_S5_N6thrust23THRUST_200600_302600_NS17counting_iteratorIxNS8_11use_defaultESA_SA_EEPbZNS1_13binary_searchIS3_S5_PxSB_SC_NS1_16binary_search_opENS8_6detail16wrapped_functionINS0_4lessIvEEbEEEE10hipError_tPvRmT1_T2_T3_mmT4_T5_P12ihipStream_tbEUlRKxE_EESL_SP_SQ_mSR_SU_bEUlT_E_NS1_11comp_targetILNS1_3genE10ELNS1_11target_archE1200ELNS1_3gpuE4ELNS1_3repE0EEENS1_30default_config_static_selectorELNS0_4arch9wavefront6targetE0EEEvSO_,"axG",@progbits,_ZN7rocprim17ROCPRIM_400000_NS6detail17trampoline_kernelINS0_14default_configENS1_29binary_search_config_selectorIxbEEZNS1_14transform_implILb0ES3_S5_N6thrust23THRUST_200600_302600_NS17counting_iteratorIxNS8_11use_defaultESA_SA_EEPbZNS1_13binary_searchIS3_S5_PxSB_SC_NS1_16binary_search_opENS8_6detail16wrapped_functionINS0_4lessIvEEbEEEE10hipError_tPvRmT1_T2_T3_mmT4_T5_P12ihipStream_tbEUlRKxE_EESL_SP_SQ_mSR_SU_bEUlT_E_NS1_11comp_targetILNS1_3genE10ELNS1_11target_archE1200ELNS1_3gpuE4ELNS1_3repE0EEENS1_30default_config_static_selectorELNS0_4arch9wavefront6targetE0EEEvSO_,comdat
	.protected	_ZN7rocprim17ROCPRIM_400000_NS6detail17trampoline_kernelINS0_14default_configENS1_29binary_search_config_selectorIxbEEZNS1_14transform_implILb0ES3_S5_N6thrust23THRUST_200600_302600_NS17counting_iteratorIxNS8_11use_defaultESA_SA_EEPbZNS1_13binary_searchIS3_S5_PxSB_SC_NS1_16binary_search_opENS8_6detail16wrapped_functionINS0_4lessIvEEbEEEE10hipError_tPvRmT1_T2_T3_mmT4_T5_P12ihipStream_tbEUlRKxE_EESL_SP_SQ_mSR_SU_bEUlT_E_NS1_11comp_targetILNS1_3genE10ELNS1_11target_archE1200ELNS1_3gpuE4ELNS1_3repE0EEENS1_30default_config_static_selectorELNS0_4arch9wavefront6targetE0EEEvSO_ ; -- Begin function _ZN7rocprim17ROCPRIM_400000_NS6detail17trampoline_kernelINS0_14default_configENS1_29binary_search_config_selectorIxbEEZNS1_14transform_implILb0ES3_S5_N6thrust23THRUST_200600_302600_NS17counting_iteratorIxNS8_11use_defaultESA_SA_EEPbZNS1_13binary_searchIS3_S5_PxSB_SC_NS1_16binary_search_opENS8_6detail16wrapped_functionINS0_4lessIvEEbEEEE10hipError_tPvRmT1_T2_T3_mmT4_T5_P12ihipStream_tbEUlRKxE_EESL_SP_SQ_mSR_SU_bEUlT_E_NS1_11comp_targetILNS1_3genE10ELNS1_11target_archE1200ELNS1_3gpuE4ELNS1_3repE0EEENS1_30default_config_static_selectorELNS0_4arch9wavefront6targetE0EEEvSO_
	.globl	_ZN7rocprim17ROCPRIM_400000_NS6detail17trampoline_kernelINS0_14default_configENS1_29binary_search_config_selectorIxbEEZNS1_14transform_implILb0ES3_S5_N6thrust23THRUST_200600_302600_NS17counting_iteratorIxNS8_11use_defaultESA_SA_EEPbZNS1_13binary_searchIS3_S5_PxSB_SC_NS1_16binary_search_opENS8_6detail16wrapped_functionINS0_4lessIvEEbEEEE10hipError_tPvRmT1_T2_T3_mmT4_T5_P12ihipStream_tbEUlRKxE_EESL_SP_SQ_mSR_SU_bEUlT_E_NS1_11comp_targetILNS1_3genE10ELNS1_11target_archE1200ELNS1_3gpuE4ELNS1_3repE0EEENS1_30default_config_static_selectorELNS0_4arch9wavefront6targetE0EEEvSO_
	.p2align	8
	.type	_ZN7rocprim17ROCPRIM_400000_NS6detail17trampoline_kernelINS0_14default_configENS1_29binary_search_config_selectorIxbEEZNS1_14transform_implILb0ES3_S5_N6thrust23THRUST_200600_302600_NS17counting_iteratorIxNS8_11use_defaultESA_SA_EEPbZNS1_13binary_searchIS3_S5_PxSB_SC_NS1_16binary_search_opENS8_6detail16wrapped_functionINS0_4lessIvEEbEEEE10hipError_tPvRmT1_T2_T3_mmT4_T5_P12ihipStream_tbEUlRKxE_EESL_SP_SQ_mSR_SU_bEUlT_E_NS1_11comp_targetILNS1_3genE10ELNS1_11target_archE1200ELNS1_3gpuE4ELNS1_3repE0EEENS1_30default_config_static_selectorELNS0_4arch9wavefront6targetE0EEEvSO_,@function
_ZN7rocprim17ROCPRIM_400000_NS6detail17trampoline_kernelINS0_14default_configENS1_29binary_search_config_selectorIxbEEZNS1_14transform_implILb0ES3_S5_N6thrust23THRUST_200600_302600_NS17counting_iteratorIxNS8_11use_defaultESA_SA_EEPbZNS1_13binary_searchIS3_S5_PxSB_SC_NS1_16binary_search_opENS8_6detail16wrapped_functionINS0_4lessIvEEbEEEE10hipError_tPvRmT1_T2_T3_mmT4_T5_P12ihipStream_tbEUlRKxE_EESL_SP_SQ_mSR_SU_bEUlT_E_NS1_11comp_targetILNS1_3genE10ELNS1_11target_archE1200ELNS1_3gpuE4ELNS1_3repE0EEENS1_30default_config_static_selectorELNS0_4arch9wavefront6targetE0EEEvSO_: ; @_ZN7rocprim17ROCPRIM_400000_NS6detail17trampoline_kernelINS0_14default_configENS1_29binary_search_config_selectorIxbEEZNS1_14transform_implILb0ES3_S5_N6thrust23THRUST_200600_302600_NS17counting_iteratorIxNS8_11use_defaultESA_SA_EEPbZNS1_13binary_searchIS3_S5_PxSB_SC_NS1_16binary_search_opENS8_6detail16wrapped_functionINS0_4lessIvEEbEEEE10hipError_tPvRmT1_T2_T3_mmT4_T5_P12ihipStream_tbEUlRKxE_EESL_SP_SQ_mSR_SU_bEUlT_E_NS1_11comp_targetILNS1_3genE10ELNS1_11target_archE1200ELNS1_3gpuE4ELNS1_3repE0EEENS1_30default_config_static_selectorELNS0_4arch9wavefront6targetE0EEEvSO_
; %bb.0:
	.section	.rodata,"a",@progbits
	.p2align	6, 0x0
	.amdhsa_kernel _ZN7rocprim17ROCPRIM_400000_NS6detail17trampoline_kernelINS0_14default_configENS1_29binary_search_config_selectorIxbEEZNS1_14transform_implILb0ES3_S5_N6thrust23THRUST_200600_302600_NS17counting_iteratorIxNS8_11use_defaultESA_SA_EEPbZNS1_13binary_searchIS3_S5_PxSB_SC_NS1_16binary_search_opENS8_6detail16wrapped_functionINS0_4lessIvEEbEEEE10hipError_tPvRmT1_T2_T3_mmT4_T5_P12ihipStream_tbEUlRKxE_EESL_SP_SQ_mSR_SU_bEUlT_E_NS1_11comp_targetILNS1_3genE10ELNS1_11target_archE1200ELNS1_3gpuE4ELNS1_3repE0EEENS1_30default_config_static_selectorELNS0_4arch9wavefront6targetE0EEEvSO_
		.amdhsa_group_segment_fixed_size 0
		.amdhsa_private_segment_fixed_size 0
		.amdhsa_kernarg_size 56
		.amdhsa_user_sgpr_count 15
		.amdhsa_user_sgpr_dispatch_ptr 0
		.amdhsa_user_sgpr_queue_ptr 0
		.amdhsa_user_sgpr_kernarg_segment_ptr 1
		.amdhsa_user_sgpr_dispatch_id 0
		.amdhsa_user_sgpr_private_segment_size 0
		.amdhsa_wavefront_size32 1
		.amdhsa_uses_dynamic_stack 0
		.amdhsa_enable_private_segment 0
		.amdhsa_system_sgpr_workgroup_id_x 1
		.amdhsa_system_sgpr_workgroup_id_y 0
		.amdhsa_system_sgpr_workgroup_id_z 0
		.amdhsa_system_sgpr_workgroup_info 0
		.amdhsa_system_vgpr_workitem_id 0
		.amdhsa_next_free_vgpr 1
		.amdhsa_next_free_sgpr 1
		.amdhsa_reserve_vcc 0
		.amdhsa_float_round_mode_32 0
		.amdhsa_float_round_mode_16_64 0
		.amdhsa_float_denorm_mode_32 3
		.amdhsa_float_denorm_mode_16_64 3
		.amdhsa_dx10_clamp 1
		.amdhsa_ieee_mode 1
		.amdhsa_fp16_overflow 0
		.amdhsa_workgroup_processor_mode 1
		.amdhsa_memory_ordered 1
		.amdhsa_forward_progress 0
		.amdhsa_shared_vgpr_count 0
		.amdhsa_exception_fp_ieee_invalid_op 0
		.amdhsa_exception_fp_denorm_src 0
		.amdhsa_exception_fp_ieee_div_zero 0
		.amdhsa_exception_fp_ieee_overflow 0
		.amdhsa_exception_fp_ieee_underflow 0
		.amdhsa_exception_fp_ieee_inexact 0
		.amdhsa_exception_int_div_zero 0
	.end_amdhsa_kernel
	.section	.text._ZN7rocprim17ROCPRIM_400000_NS6detail17trampoline_kernelINS0_14default_configENS1_29binary_search_config_selectorIxbEEZNS1_14transform_implILb0ES3_S5_N6thrust23THRUST_200600_302600_NS17counting_iteratorIxNS8_11use_defaultESA_SA_EEPbZNS1_13binary_searchIS3_S5_PxSB_SC_NS1_16binary_search_opENS8_6detail16wrapped_functionINS0_4lessIvEEbEEEE10hipError_tPvRmT1_T2_T3_mmT4_T5_P12ihipStream_tbEUlRKxE_EESL_SP_SQ_mSR_SU_bEUlT_E_NS1_11comp_targetILNS1_3genE10ELNS1_11target_archE1200ELNS1_3gpuE4ELNS1_3repE0EEENS1_30default_config_static_selectorELNS0_4arch9wavefront6targetE0EEEvSO_,"axG",@progbits,_ZN7rocprim17ROCPRIM_400000_NS6detail17trampoline_kernelINS0_14default_configENS1_29binary_search_config_selectorIxbEEZNS1_14transform_implILb0ES3_S5_N6thrust23THRUST_200600_302600_NS17counting_iteratorIxNS8_11use_defaultESA_SA_EEPbZNS1_13binary_searchIS3_S5_PxSB_SC_NS1_16binary_search_opENS8_6detail16wrapped_functionINS0_4lessIvEEbEEEE10hipError_tPvRmT1_T2_T3_mmT4_T5_P12ihipStream_tbEUlRKxE_EESL_SP_SQ_mSR_SU_bEUlT_E_NS1_11comp_targetILNS1_3genE10ELNS1_11target_archE1200ELNS1_3gpuE4ELNS1_3repE0EEENS1_30default_config_static_selectorELNS0_4arch9wavefront6targetE0EEEvSO_,comdat
.Lfunc_end226:
	.size	_ZN7rocprim17ROCPRIM_400000_NS6detail17trampoline_kernelINS0_14default_configENS1_29binary_search_config_selectorIxbEEZNS1_14transform_implILb0ES3_S5_N6thrust23THRUST_200600_302600_NS17counting_iteratorIxNS8_11use_defaultESA_SA_EEPbZNS1_13binary_searchIS3_S5_PxSB_SC_NS1_16binary_search_opENS8_6detail16wrapped_functionINS0_4lessIvEEbEEEE10hipError_tPvRmT1_T2_T3_mmT4_T5_P12ihipStream_tbEUlRKxE_EESL_SP_SQ_mSR_SU_bEUlT_E_NS1_11comp_targetILNS1_3genE10ELNS1_11target_archE1200ELNS1_3gpuE4ELNS1_3repE0EEENS1_30default_config_static_selectorELNS0_4arch9wavefront6targetE0EEEvSO_, .Lfunc_end226-_ZN7rocprim17ROCPRIM_400000_NS6detail17trampoline_kernelINS0_14default_configENS1_29binary_search_config_selectorIxbEEZNS1_14transform_implILb0ES3_S5_N6thrust23THRUST_200600_302600_NS17counting_iteratorIxNS8_11use_defaultESA_SA_EEPbZNS1_13binary_searchIS3_S5_PxSB_SC_NS1_16binary_search_opENS8_6detail16wrapped_functionINS0_4lessIvEEbEEEE10hipError_tPvRmT1_T2_T3_mmT4_T5_P12ihipStream_tbEUlRKxE_EESL_SP_SQ_mSR_SU_bEUlT_E_NS1_11comp_targetILNS1_3genE10ELNS1_11target_archE1200ELNS1_3gpuE4ELNS1_3repE0EEENS1_30default_config_static_selectorELNS0_4arch9wavefront6targetE0EEEvSO_
                                        ; -- End function
	.section	.AMDGPU.csdata,"",@progbits
; Kernel info:
; codeLenInByte = 0
; NumSgprs: 0
; NumVgprs: 0
; ScratchSize: 0
; MemoryBound: 0
; FloatMode: 240
; IeeeMode: 1
; LDSByteSize: 0 bytes/workgroup (compile time only)
; SGPRBlocks: 0
; VGPRBlocks: 0
; NumSGPRsForWavesPerEU: 1
; NumVGPRsForWavesPerEU: 1
; Occupancy: 16
; WaveLimiterHint : 0
; COMPUTE_PGM_RSRC2:SCRATCH_EN: 0
; COMPUTE_PGM_RSRC2:USER_SGPR: 15
; COMPUTE_PGM_RSRC2:TRAP_HANDLER: 0
; COMPUTE_PGM_RSRC2:TGID_X_EN: 1
; COMPUTE_PGM_RSRC2:TGID_Y_EN: 0
; COMPUTE_PGM_RSRC2:TGID_Z_EN: 0
; COMPUTE_PGM_RSRC2:TIDIG_COMP_CNT: 0
	.section	.text._ZN7rocprim17ROCPRIM_400000_NS6detail17trampoline_kernelINS0_14default_configENS1_29binary_search_config_selectorIxbEEZNS1_14transform_implILb0ES3_S5_N6thrust23THRUST_200600_302600_NS17counting_iteratorIxNS8_11use_defaultESA_SA_EEPbZNS1_13binary_searchIS3_S5_PxSB_SC_NS1_16binary_search_opENS8_6detail16wrapped_functionINS0_4lessIvEEbEEEE10hipError_tPvRmT1_T2_T3_mmT4_T5_P12ihipStream_tbEUlRKxE_EESL_SP_SQ_mSR_SU_bEUlT_E_NS1_11comp_targetILNS1_3genE9ELNS1_11target_archE1100ELNS1_3gpuE3ELNS1_3repE0EEENS1_30default_config_static_selectorELNS0_4arch9wavefront6targetE0EEEvSO_,"axG",@progbits,_ZN7rocprim17ROCPRIM_400000_NS6detail17trampoline_kernelINS0_14default_configENS1_29binary_search_config_selectorIxbEEZNS1_14transform_implILb0ES3_S5_N6thrust23THRUST_200600_302600_NS17counting_iteratorIxNS8_11use_defaultESA_SA_EEPbZNS1_13binary_searchIS3_S5_PxSB_SC_NS1_16binary_search_opENS8_6detail16wrapped_functionINS0_4lessIvEEbEEEE10hipError_tPvRmT1_T2_T3_mmT4_T5_P12ihipStream_tbEUlRKxE_EESL_SP_SQ_mSR_SU_bEUlT_E_NS1_11comp_targetILNS1_3genE9ELNS1_11target_archE1100ELNS1_3gpuE3ELNS1_3repE0EEENS1_30default_config_static_selectorELNS0_4arch9wavefront6targetE0EEEvSO_,comdat
	.protected	_ZN7rocprim17ROCPRIM_400000_NS6detail17trampoline_kernelINS0_14default_configENS1_29binary_search_config_selectorIxbEEZNS1_14transform_implILb0ES3_S5_N6thrust23THRUST_200600_302600_NS17counting_iteratorIxNS8_11use_defaultESA_SA_EEPbZNS1_13binary_searchIS3_S5_PxSB_SC_NS1_16binary_search_opENS8_6detail16wrapped_functionINS0_4lessIvEEbEEEE10hipError_tPvRmT1_T2_T3_mmT4_T5_P12ihipStream_tbEUlRKxE_EESL_SP_SQ_mSR_SU_bEUlT_E_NS1_11comp_targetILNS1_3genE9ELNS1_11target_archE1100ELNS1_3gpuE3ELNS1_3repE0EEENS1_30default_config_static_selectorELNS0_4arch9wavefront6targetE0EEEvSO_ ; -- Begin function _ZN7rocprim17ROCPRIM_400000_NS6detail17trampoline_kernelINS0_14default_configENS1_29binary_search_config_selectorIxbEEZNS1_14transform_implILb0ES3_S5_N6thrust23THRUST_200600_302600_NS17counting_iteratorIxNS8_11use_defaultESA_SA_EEPbZNS1_13binary_searchIS3_S5_PxSB_SC_NS1_16binary_search_opENS8_6detail16wrapped_functionINS0_4lessIvEEbEEEE10hipError_tPvRmT1_T2_T3_mmT4_T5_P12ihipStream_tbEUlRKxE_EESL_SP_SQ_mSR_SU_bEUlT_E_NS1_11comp_targetILNS1_3genE9ELNS1_11target_archE1100ELNS1_3gpuE3ELNS1_3repE0EEENS1_30default_config_static_selectorELNS0_4arch9wavefront6targetE0EEEvSO_
	.globl	_ZN7rocprim17ROCPRIM_400000_NS6detail17trampoline_kernelINS0_14default_configENS1_29binary_search_config_selectorIxbEEZNS1_14transform_implILb0ES3_S5_N6thrust23THRUST_200600_302600_NS17counting_iteratorIxNS8_11use_defaultESA_SA_EEPbZNS1_13binary_searchIS3_S5_PxSB_SC_NS1_16binary_search_opENS8_6detail16wrapped_functionINS0_4lessIvEEbEEEE10hipError_tPvRmT1_T2_T3_mmT4_T5_P12ihipStream_tbEUlRKxE_EESL_SP_SQ_mSR_SU_bEUlT_E_NS1_11comp_targetILNS1_3genE9ELNS1_11target_archE1100ELNS1_3gpuE3ELNS1_3repE0EEENS1_30default_config_static_selectorELNS0_4arch9wavefront6targetE0EEEvSO_
	.p2align	8
	.type	_ZN7rocprim17ROCPRIM_400000_NS6detail17trampoline_kernelINS0_14default_configENS1_29binary_search_config_selectorIxbEEZNS1_14transform_implILb0ES3_S5_N6thrust23THRUST_200600_302600_NS17counting_iteratorIxNS8_11use_defaultESA_SA_EEPbZNS1_13binary_searchIS3_S5_PxSB_SC_NS1_16binary_search_opENS8_6detail16wrapped_functionINS0_4lessIvEEbEEEE10hipError_tPvRmT1_T2_T3_mmT4_T5_P12ihipStream_tbEUlRKxE_EESL_SP_SQ_mSR_SU_bEUlT_E_NS1_11comp_targetILNS1_3genE9ELNS1_11target_archE1100ELNS1_3gpuE3ELNS1_3repE0EEENS1_30default_config_static_selectorELNS0_4arch9wavefront6targetE0EEEvSO_,@function
_ZN7rocprim17ROCPRIM_400000_NS6detail17trampoline_kernelINS0_14default_configENS1_29binary_search_config_selectorIxbEEZNS1_14transform_implILb0ES3_S5_N6thrust23THRUST_200600_302600_NS17counting_iteratorIxNS8_11use_defaultESA_SA_EEPbZNS1_13binary_searchIS3_S5_PxSB_SC_NS1_16binary_search_opENS8_6detail16wrapped_functionINS0_4lessIvEEbEEEE10hipError_tPvRmT1_T2_T3_mmT4_T5_P12ihipStream_tbEUlRKxE_EESL_SP_SQ_mSR_SU_bEUlT_E_NS1_11comp_targetILNS1_3genE9ELNS1_11target_archE1100ELNS1_3gpuE3ELNS1_3repE0EEENS1_30default_config_static_selectorELNS0_4arch9wavefront6targetE0EEEvSO_: ; @_ZN7rocprim17ROCPRIM_400000_NS6detail17trampoline_kernelINS0_14default_configENS1_29binary_search_config_selectorIxbEEZNS1_14transform_implILb0ES3_S5_N6thrust23THRUST_200600_302600_NS17counting_iteratorIxNS8_11use_defaultESA_SA_EEPbZNS1_13binary_searchIS3_S5_PxSB_SC_NS1_16binary_search_opENS8_6detail16wrapped_functionINS0_4lessIvEEbEEEE10hipError_tPvRmT1_T2_T3_mmT4_T5_P12ihipStream_tbEUlRKxE_EESL_SP_SQ_mSR_SU_bEUlT_E_NS1_11comp_targetILNS1_3genE9ELNS1_11target_archE1100ELNS1_3gpuE3ELNS1_3repE0EEENS1_30default_config_static_selectorELNS0_4arch9wavefront6targetE0EEEvSO_
; %bb.0:
	s_clause 0x3
	s_load_b128 s[4:7], s[0:1], 0x0
	s_load_b128 s[16:19], s[0:1], 0x18
	s_load_b32 s2, s[0:1], 0x38
	s_load_b64 s[20:21], s[0:1], 0x28
	s_mov_b32 s25, 0
	s_waitcnt lgkmcnt(0)
	s_add_u32 s22, s16, s6
	s_addc_u32 s17, s17, s7
	s_lshl_b32 s23, s15, 10
	s_add_i32 s2, s2, -1
	s_add_u32 s3, s4, s23
	s_addc_u32 s4, s5, 0
	s_add_u32 s16, s3, s6
	s_addc_u32 s24, s4, s7
	s_cmp_lg_u32 s15, s2
	s_mov_b32 s2, -1
	s_cbranch_scc0 .LBB227_98
; %bb.1:
	v_add_co_u32 v1, s2, s16, v0
	v_mov_b32_e32 v3, 0
	v_mov_b32_e32 v4, 0
	v_add_co_ci_u32_e64 v2, null, s24, 0, s2
	s_cmp_lg_u64 s[20:21], 0
	s_cselect_b32 s4, -1, 0
	s_cmp_eq_u64 s[20:21], 0
	s_cbranch_scc1 .LBB227_5
; %bb.2:
	v_mov_b32_e32 v3, 0
	v_dual_mov_b32 v4, 0 :: v_dual_mov_b32 v5, s20
	v_mov_b32_e32 v6, s21
	s_mov_b32 s3, 0
	s_set_inst_prefetch_distance 0x1
	.p2align	6
.LBB227_3:                              ; =>This Inner Loop Header: Depth=1
	s_delay_alu instid0(VALU_DEP_2) | instskip(NEXT) | instid1(VALU_DEP_2)
	v_sub_co_u32 v7, vcc_lo, v5, v3
	v_sub_co_ci_u32_e32 v8, vcc_lo, v6, v4, vcc_lo
	s_delay_alu instid0(VALU_DEP_1) | instskip(SKIP_1) | instid1(VALU_DEP_2)
	v_lshrrev_b64 v[9:10], 1, v[7:8]
	v_lshrrev_b64 v[7:8], 6, v[7:8]
	v_add_co_u32 v9, vcc_lo, v9, v3
	s_delay_alu instid0(VALU_DEP_3) | instskip(NEXT) | instid1(VALU_DEP_2)
	v_add_co_ci_u32_e32 v10, vcc_lo, v10, v4, vcc_lo
	v_add_co_u32 v7, vcc_lo, v9, v7
	s_delay_alu instid0(VALU_DEP_2) | instskip(NEXT) | instid1(VALU_DEP_1)
	v_add_co_ci_u32_e32 v8, vcc_lo, v10, v8, vcc_lo
	v_lshlrev_b64 v[9:10], 3, v[7:8]
	s_delay_alu instid0(VALU_DEP_1) | instskip(NEXT) | instid1(VALU_DEP_2)
	v_add_co_u32 v9, vcc_lo, s18, v9
	v_add_co_ci_u32_e32 v10, vcc_lo, s19, v10, vcc_lo
	v_add_co_u32 v11, vcc_lo, v7, 1
	global_load_b64 v[9:10], v[9:10], off
	s_waitcnt vmcnt(0)
	v_cmp_lt_i64_e64 s2, v[9:10], v[1:2]
	v_add_co_ci_u32_e32 v9, vcc_lo, 0, v8, vcc_lo
	s_delay_alu instid0(VALU_DEP_2) | instskip(SKIP_1) | instid1(VALU_DEP_3)
	v_cndmask_b32_e64 v6, v8, v6, s2
	v_cndmask_b32_e64 v5, v7, v5, s2
	;; [unrolled: 1-line block ×4, first 2 shown]
	s_delay_alu instid0(VALU_DEP_1) | instskip(SKIP_1) | instid1(SALU_CYCLE_1)
	v_cmp_ge_u64_e32 vcc_lo, v[3:4], v[5:6]
	s_or_b32 s3, vcc_lo, s3
	s_and_not1_b32 exec_lo, exec_lo, s3
	s_cbranch_execnz .LBB227_3
; %bb.4:
	s_set_inst_prefetch_distance 0x2
	s_or_b32 exec_lo, exec_lo, s3
.LBB227_5:
	s_mov_b32 s3, 0
	s_mov_b32 s2, exec_lo
	v_cmpx_ne_u64_e64 s[20:21], v[3:4]
	s_cbranch_execz .LBB227_7
; %bb.6:
	v_lshlrev_b64 v[3:4], 3, v[3:4]
	s_delay_alu instid0(VALU_DEP_1) | instskip(NEXT) | instid1(VALU_DEP_2)
	v_add_co_u32 v3, vcc_lo, s18, v3
	v_add_co_ci_u32_e32 v4, vcc_lo, s19, v4, vcc_lo
	global_load_b64 v[3:4], v[3:4], off
	s_waitcnt vmcnt(0)
	v_cmp_le_i64_e32 vcc_lo, v[3:4], v[1:2]
	s_and_b32 s3, vcc_lo, exec_lo
.LBB227_7:
	s_or_b32 exec_lo, exec_lo, s2
	v_add_co_u32 v3, vcc_lo, v1, 64
	v_mov_b32_e32 v5, 0
	v_cndmask_b32_e64 v9, 0, 1, s4
	v_add_co_ci_u32_e32 v4, vcc_lo, 0, v2, vcc_lo
	v_mov_b32_e32 v6, 0
	s_and_not1_b32 vcc_lo, exec_lo, s4
	s_cbranch_vccnz .LBB227_11
; %bb.8:
	v_dual_mov_b32 v7, s20 :: v_dual_mov_b32 v8, s21
	s_mov_b32 s4, 0
	s_set_inst_prefetch_distance 0x1
	.p2align	6
.LBB227_9:                              ; =>This Inner Loop Header: Depth=1
	s_delay_alu instid0(VALU_DEP_1) | instskip(NEXT) | instid1(VALU_DEP_2)
	v_sub_co_u32 v10, vcc_lo, v7, v5
	v_sub_co_ci_u32_e32 v11, vcc_lo, v8, v6, vcc_lo
	s_delay_alu instid0(VALU_DEP_1) | instskip(SKIP_1) | instid1(VALU_DEP_2)
	v_lshrrev_b64 v[12:13], 1, v[10:11]
	v_lshrrev_b64 v[10:11], 6, v[10:11]
	v_add_co_u32 v12, vcc_lo, v12, v5
	s_delay_alu instid0(VALU_DEP_3) | instskip(NEXT) | instid1(VALU_DEP_2)
	v_add_co_ci_u32_e32 v13, vcc_lo, v13, v6, vcc_lo
	v_add_co_u32 v10, vcc_lo, v12, v10
	s_delay_alu instid0(VALU_DEP_2) | instskip(NEXT) | instid1(VALU_DEP_1)
	v_add_co_ci_u32_e32 v11, vcc_lo, v13, v11, vcc_lo
	v_lshlrev_b64 v[12:13], 3, v[10:11]
	s_delay_alu instid0(VALU_DEP_1) | instskip(NEXT) | instid1(VALU_DEP_2)
	v_add_co_u32 v12, vcc_lo, s18, v12
	v_add_co_ci_u32_e32 v13, vcc_lo, s19, v13, vcc_lo
	v_add_co_u32 v14, vcc_lo, v10, 1
	global_load_b64 v[12:13], v[12:13], off
	s_waitcnt vmcnt(0)
	v_cmp_lt_i64_e64 s2, v[12:13], v[3:4]
	v_add_co_ci_u32_e32 v12, vcc_lo, 0, v11, vcc_lo
	s_delay_alu instid0(VALU_DEP_2) | instskip(SKIP_1) | instid1(VALU_DEP_3)
	v_cndmask_b32_e64 v8, v11, v8, s2
	v_cndmask_b32_e64 v7, v10, v7, s2
	;; [unrolled: 1-line block ×4, first 2 shown]
	s_delay_alu instid0(VALU_DEP_1) | instskip(SKIP_1) | instid1(SALU_CYCLE_1)
	v_cmp_ge_u64_e32 vcc_lo, v[5:6], v[7:8]
	s_or_b32 s4, vcc_lo, s4
	s_and_not1_b32 exec_lo, exec_lo, s4
	s_cbranch_execnz .LBB227_9
; %bb.10:
	s_set_inst_prefetch_distance 0x2
	s_or_b32 exec_lo, exec_lo, s4
.LBB227_11:
	s_mov_b32 s4, 0
	s_mov_b32 s2, exec_lo
	v_cmpx_ne_u64_e64 s[20:21], v[5:6]
	s_cbranch_execz .LBB227_13
; %bb.12:
	v_lshlrev_b64 v[5:6], 3, v[5:6]
	s_delay_alu instid0(VALU_DEP_1) | instskip(NEXT) | instid1(VALU_DEP_2)
	v_add_co_u32 v5, vcc_lo, s18, v5
	v_add_co_ci_u32_e32 v6, vcc_lo, s19, v6, vcc_lo
	global_load_b64 v[5:6], v[5:6], off
	s_waitcnt vmcnt(0)
	v_cmp_le_i64_e32 vcc_lo, v[5:6], v[3:4]
	s_and_b32 s4, vcc_lo, exec_lo
.LBB227_13:
	s_or_b32 exec_lo, exec_lo, s2
	v_cmp_ne_u32_e32 vcc_lo, 1, v9
	v_add_co_u32 v3, s2, 0x80, v1
	v_mov_b32_e32 v5, 0
	v_add_co_ci_u32_e64 v4, s2, 0, v2, s2
	v_mov_b32_e32 v6, 0
	s_cbranch_vccnz .LBB227_17
; %bb.14:
	v_dual_mov_b32 v7, s20 :: v_dual_mov_b32 v8, s21
	s_mov_b32 s5, 0
	s_set_inst_prefetch_distance 0x1
	.p2align	6
.LBB227_15:                             ; =>This Inner Loop Header: Depth=1
	s_delay_alu instid0(VALU_DEP_1) | instskip(NEXT) | instid1(VALU_DEP_2)
	v_sub_co_u32 v10, vcc_lo, v7, v5
	v_sub_co_ci_u32_e32 v11, vcc_lo, v8, v6, vcc_lo
	s_delay_alu instid0(VALU_DEP_1) | instskip(SKIP_1) | instid1(VALU_DEP_2)
	v_lshrrev_b64 v[12:13], 1, v[10:11]
	v_lshrrev_b64 v[10:11], 6, v[10:11]
	v_add_co_u32 v12, vcc_lo, v12, v5
	s_delay_alu instid0(VALU_DEP_3) | instskip(NEXT) | instid1(VALU_DEP_2)
	v_add_co_ci_u32_e32 v13, vcc_lo, v13, v6, vcc_lo
	v_add_co_u32 v10, vcc_lo, v12, v10
	s_delay_alu instid0(VALU_DEP_2) | instskip(NEXT) | instid1(VALU_DEP_1)
	v_add_co_ci_u32_e32 v11, vcc_lo, v13, v11, vcc_lo
	v_lshlrev_b64 v[12:13], 3, v[10:11]
	s_delay_alu instid0(VALU_DEP_1) | instskip(NEXT) | instid1(VALU_DEP_2)
	v_add_co_u32 v12, vcc_lo, s18, v12
	v_add_co_ci_u32_e32 v13, vcc_lo, s19, v13, vcc_lo
	v_add_co_u32 v14, vcc_lo, v10, 1
	global_load_b64 v[12:13], v[12:13], off
	s_waitcnt vmcnt(0)
	v_cmp_lt_i64_e64 s2, v[12:13], v[3:4]
	v_add_co_ci_u32_e32 v12, vcc_lo, 0, v11, vcc_lo
	s_delay_alu instid0(VALU_DEP_2) | instskip(SKIP_1) | instid1(VALU_DEP_3)
	v_cndmask_b32_e64 v8, v11, v8, s2
	v_cndmask_b32_e64 v7, v10, v7, s2
	;; [unrolled: 1-line block ×4, first 2 shown]
	s_delay_alu instid0(VALU_DEP_1) | instskip(SKIP_1) | instid1(SALU_CYCLE_1)
	v_cmp_ge_u64_e32 vcc_lo, v[5:6], v[7:8]
	s_or_b32 s5, vcc_lo, s5
	s_and_not1_b32 exec_lo, exec_lo, s5
	s_cbranch_execnz .LBB227_15
; %bb.16:
	s_set_inst_prefetch_distance 0x2
	s_or_b32 exec_lo, exec_lo, s5
.LBB227_17:
	s_mov_b32 s5, 0
	s_mov_b32 s2, exec_lo
	s_delay_alu instid0(VALU_DEP_1)
	v_cmpx_ne_u64_e64 s[20:21], v[5:6]
	s_cbranch_execz .LBB227_19
; %bb.18:
	v_lshlrev_b64 v[5:6], 3, v[5:6]
	s_delay_alu instid0(VALU_DEP_1) | instskip(NEXT) | instid1(VALU_DEP_2)
	v_add_co_u32 v5, vcc_lo, s18, v5
	v_add_co_ci_u32_e32 v6, vcc_lo, s19, v6, vcc_lo
	global_load_b64 v[5:6], v[5:6], off
	s_waitcnt vmcnt(0)
	v_cmp_le_i64_e32 vcc_lo, v[5:6], v[3:4]
	s_and_b32 s5, vcc_lo, exec_lo
.LBB227_19:
	s_or_b32 exec_lo, exec_lo, s2
	v_cmp_ne_u32_e32 vcc_lo, 1, v9
	v_add_co_u32 v3, s2, 0xc0, v1
	v_mov_b32_e32 v5, 0
	v_add_co_ci_u32_e64 v4, s2, 0, v2, s2
	v_mov_b32_e32 v6, 0
	s_cbranch_vccnz .LBB227_23
; %bb.20:
	v_dual_mov_b32 v7, s20 :: v_dual_mov_b32 v8, s21
	s_mov_b32 s6, 0
	s_set_inst_prefetch_distance 0x1
	.p2align	6
.LBB227_21:                             ; =>This Inner Loop Header: Depth=1
	s_delay_alu instid0(VALU_DEP_1) | instskip(NEXT) | instid1(VALU_DEP_2)
	v_sub_co_u32 v10, vcc_lo, v7, v5
	v_sub_co_ci_u32_e32 v11, vcc_lo, v8, v6, vcc_lo
	s_delay_alu instid0(VALU_DEP_1) | instskip(SKIP_1) | instid1(VALU_DEP_2)
	v_lshrrev_b64 v[12:13], 1, v[10:11]
	v_lshrrev_b64 v[10:11], 6, v[10:11]
	v_add_co_u32 v12, vcc_lo, v12, v5
	s_delay_alu instid0(VALU_DEP_3) | instskip(NEXT) | instid1(VALU_DEP_2)
	v_add_co_ci_u32_e32 v13, vcc_lo, v13, v6, vcc_lo
	v_add_co_u32 v10, vcc_lo, v12, v10
	s_delay_alu instid0(VALU_DEP_2) | instskip(NEXT) | instid1(VALU_DEP_1)
	v_add_co_ci_u32_e32 v11, vcc_lo, v13, v11, vcc_lo
	v_lshlrev_b64 v[12:13], 3, v[10:11]
	s_delay_alu instid0(VALU_DEP_1) | instskip(NEXT) | instid1(VALU_DEP_2)
	v_add_co_u32 v12, vcc_lo, s18, v12
	v_add_co_ci_u32_e32 v13, vcc_lo, s19, v13, vcc_lo
	v_add_co_u32 v14, vcc_lo, v10, 1
	global_load_b64 v[12:13], v[12:13], off
	s_waitcnt vmcnt(0)
	v_cmp_lt_i64_e64 s2, v[12:13], v[3:4]
	v_add_co_ci_u32_e32 v12, vcc_lo, 0, v11, vcc_lo
	s_delay_alu instid0(VALU_DEP_2) | instskip(SKIP_1) | instid1(VALU_DEP_3)
	v_cndmask_b32_e64 v8, v11, v8, s2
	v_cndmask_b32_e64 v7, v10, v7, s2
	;; [unrolled: 1-line block ×4, first 2 shown]
	s_delay_alu instid0(VALU_DEP_1) | instskip(SKIP_1) | instid1(SALU_CYCLE_1)
	v_cmp_ge_u64_e32 vcc_lo, v[5:6], v[7:8]
	s_or_b32 s6, vcc_lo, s6
	s_and_not1_b32 exec_lo, exec_lo, s6
	s_cbranch_execnz .LBB227_21
; %bb.22:
	s_set_inst_prefetch_distance 0x2
	s_or_b32 exec_lo, exec_lo, s6
.LBB227_23:
	s_mov_b32 s6, 0
	s_mov_b32 s2, exec_lo
	s_delay_alu instid0(VALU_DEP_1)
	v_cmpx_ne_u64_e64 s[20:21], v[5:6]
	s_cbranch_execz .LBB227_25
; %bb.24:
	v_lshlrev_b64 v[5:6], 3, v[5:6]
	s_delay_alu instid0(VALU_DEP_1) | instskip(NEXT) | instid1(VALU_DEP_2)
	v_add_co_u32 v5, vcc_lo, s18, v5
	v_add_co_ci_u32_e32 v6, vcc_lo, s19, v6, vcc_lo
	global_load_b64 v[5:6], v[5:6], off
	s_waitcnt vmcnt(0)
	v_cmp_le_i64_e32 vcc_lo, v[5:6], v[3:4]
	s_and_b32 s6, vcc_lo, exec_lo
.LBB227_25:
	s_or_b32 exec_lo, exec_lo, s2
	v_cmp_ne_u32_e32 vcc_lo, 1, v9
	v_add_co_u32 v3, s2, 0x100, v1
	v_mov_b32_e32 v5, 0
	v_add_co_ci_u32_e64 v4, s2, 0, v2, s2
	v_mov_b32_e32 v6, 0
	s_cbranch_vccnz .LBB227_29
; %bb.26:
	v_dual_mov_b32 v7, s20 :: v_dual_mov_b32 v8, s21
	s_mov_b32 s7, 0
	s_set_inst_prefetch_distance 0x1
	.p2align	6
.LBB227_27:                             ; =>This Inner Loop Header: Depth=1
	s_delay_alu instid0(VALU_DEP_1) | instskip(NEXT) | instid1(VALU_DEP_2)
	v_sub_co_u32 v10, vcc_lo, v7, v5
	v_sub_co_ci_u32_e32 v11, vcc_lo, v8, v6, vcc_lo
	s_delay_alu instid0(VALU_DEP_1) | instskip(SKIP_1) | instid1(VALU_DEP_2)
	v_lshrrev_b64 v[12:13], 1, v[10:11]
	v_lshrrev_b64 v[10:11], 6, v[10:11]
	v_add_co_u32 v12, vcc_lo, v12, v5
	s_delay_alu instid0(VALU_DEP_3) | instskip(NEXT) | instid1(VALU_DEP_2)
	v_add_co_ci_u32_e32 v13, vcc_lo, v13, v6, vcc_lo
	v_add_co_u32 v10, vcc_lo, v12, v10
	s_delay_alu instid0(VALU_DEP_2) | instskip(NEXT) | instid1(VALU_DEP_1)
	v_add_co_ci_u32_e32 v11, vcc_lo, v13, v11, vcc_lo
	v_lshlrev_b64 v[12:13], 3, v[10:11]
	s_delay_alu instid0(VALU_DEP_1) | instskip(NEXT) | instid1(VALU_DEP_2)
	v_add_co_u32 v12, vcc_lo, s18, v12
	v_add_co_ci_u32_e32 v13, vcc_lo, s19, v13, vcc_lo
	v_add_co_u32 v14, vcc_lo, v10, 1
	global_load_b64 v[12:13], v[12:13], off
	s_waitcnt vmcnt(0)
	v_cmp_lt_i64_e64 s2, v[12:13], v[3:4]
	v_add_co_ci_u32_e32 v12, vcc_lo, 0, v11, vcc_lo
	s_delay_alu instid0(VALU_DEP_2) | instskip(SKIP_1) | instid1(VALU_DEP_3)
	v_cndmask_b32_e64 v8, v11, v8, s2
	v_cndmask_b32_e64 v7, v10, v7, s2
	;; [unrolled: 1-line block ×4, first 2 shown]
	s_delay_alu instid0(VALU_DEP_1) | instskip(SKIP_1) | instid1(SALU_CYCLE_1)
	v_cmp_ge_u64_e32 vcc_lo, v[5:6], v[7:8]
	s_or_b32 s7, vcc_lo, s7
	s_and_not1_b32 exec_lo, exec_lo, s7
	s_cbranch_execnz .LBB227_27
; %bb.28:
	s_set_inst_prefetch_distance 0x2
	s_or_b32 exec_lo, exec_lo, s7
.LBB227_29:
	s_mov_b32 s7, 0
	s_mov_b32 s2, exec_lo
	s_delay_alu instid0(VALU_DEP_1)
	v_cmpx_ne_u64_e64 s[20:21], v[5:6]
	s_cbranch_execz .LBB227_31
; %bb.30:
	v_lshlrev_b64 v[5:6], 3, v[5:6]
	s_delay_alu instid0(VALU_DEP_1) | instskip(NEXT) | instid1(VALU_DEP_2)
	v_add_co_u32 v5, vcc_lo, s18, v5
	v_add_co_ci_u32_e32 v6, vcc_lo, s19, v6, vcc_lo
	global_load_b64 v[5:6], v[5:6], off
	s_waitcnt vmcnt(0)
	v_cmp_le_i64_e32 vcc_lo, v[5:6], v[3:4]
	s_and_b32 s7, vcc_lo, exec_lo
.LBB227_31:
	s_or_b32 exec_lo, exec_lo, s2
	v_cmp_ne_u32_e32 vcc_lo, 1, v9
	v_add_co_u32 v3, s2, 0x140, v1
	v_mov_b32_e32 v5, 0
	v_add_co_ci_u32_e64 v4, s2, 0, v2, s2
	v_mov_b32_e32 v6, 0
	s_cbranch_vccnz .LBB227_35
; %bb.32:
	v_dual_mov_b32 v7, s20 :: v_dual_mov_b32 v8, s21
	s_mov_b32 s8, 0
	s_set_inst_prefetch_distance 0x1
	.p2align	6
.LBB227_33:                             ; =>This Inner Loop Header: Depth=1
	s_delay_alu instid0(VALU_DEP_1) | instskip(NEXT) | instid1(VALU_DEP_2)
	v_sub_co_u32 v10, vcc_lo, v7, v5
	v_sub_co_ci_u32_e32 v11, vcc_lo, v8, v6, vcc_lo
	s_delay_alu instid0(VALU_DEP_1) | instskip(SKIP_1) | instid1(VALU_DEP_2)
	v_lshrrev_b64 v[12:13], 1, v[10:11]
	v_lshrrev_b64 v[10:11], 6, v[10:11]
	v_add_co_u32 v12, vcc_lo, v12, v5
	s_delay_alu instid0(VALU_DEP_3) | instskip(NEXT) | instid1(VALU_DEP_2)
	v_add_co_ci_u32_e32 v13, vcc_lo, v13, v6, vcc_lo
	v_add_co_u32 v10, vcc_lo, v12, v10
	s_delay_alu instid0(VALU_DEP_2) | instskip(NEXT) | instid1(VALU_DEP_1)
	v_add_co_ci_u32_e32 v11, vcc_lo, v13, v11, vcc_lo
	v_lshlrev_b64 v[12:13], 3, v[10:11]
	s_delay_alu instid0(VALU_DEP_1) | instskip(NEXT) | instid1(VALU_DEP_2)
	v_add_co_u32 v12, vcc_lo, s18, v12
	v_add_co_ci_u32_e32 v13, vcc_lo, s19, v13, vcc_lo
	v_add_co_u32 v14, vcc_lo, v10, 1
	global_load_b64 v[12:13], v[12:13], off
	s_waitcnt vmcnt(0)
	v_cmp_lt_i64_e64 s2, v[12:13], v[3:4]
	v_add_co_ci_u32_e32 v12, vcc_lo, 0, v11, vcc_lo
	s_delay_alu instid0(VALU_DEP_2) | instskip(SKIP_1) | instid1(VALU_DEP_3)
	v_cndmask_b32_e64 v8, v11, v8, s2
	v_cndmask_b32_e64 v7, v10, v7, s2
	;; [unrolled: 1-line block ×4, first 2 shown]
	s_delay_alu instid0(VALU_DEP_1) | instskip(SKIP_1) | instid1(SALU_CYCLE_1)
	v_cmp_ge_u64_e32 vcc_lo, v[5:6], v[7:8]
	s_or_b32 s8, vcc_lo, s8
	s_and_not1_b32 exec_lo, exec_lo, s8
	s_cbranch_execnz .LBB227_33
; %bb.34:
	s_set_inst_prefetch_distance 0x2
	s_or_b32 exec_lo, exec_lo, s8
.LBB227_35:
	s_mov_b32 s8, 0
	s_mov_b32 s2, exec_lo
	s_delay_alu instid0(VALU_DEP_1)
	v_cmpx_ne_u64_e64 s[20:21], v[5:6]
	s_cbranch_execz .LBB227_37
; %bb.36:
	v_lshlrev_b64 v[5:6], 3, v[5:6]
	s_delay_alu instid0(VALU_DEP_1) | instskip(NEXT) | instid1(VALU_DEP_2)
	v_add_co_u32 v5, vcc_lo, s18, v5
	v_add_co_ci_u32_e32 v6, vcc_lo, s19, v6, vcc_lo
	global_load_b64 v[5:6], v[5:6], off
	s_waitcnt vmcnt(0)
	v_cmp_le_i64_e32 vcc_lo, v[5:6], v[3:4]
	s_and_b32 s8, vcc_lo, exec_lo
.LBB227_37:
	s_or_b32 exec_lo, exec_lo, s2
	v_cmp_ne_u32_e32 vcc_lo, 1, v9
	v_add_co_u32 v3, s2, 0x180, v1
	v_mov_b32_e32 v5, 0
	v_add_co_ci_u32_e64 v4, s2, 0, v2, s2
	v_mov_b32_e32 v6, 0
	s_cbranch_vccnz .LBB227_41
; %bb.38:
	v_dual_mov_b32 v7, s20 :: v_dual_mov_b32 v8, s21
	s_mov_b32 s9, 0
	s_set_inst_prefetch_distance 0x1
	.p2align	6
.LBB227_39:                             ; =>This Inner Loop Header: Depth=1
	s_delay_alu instid0(VALU_DEP_1) | instskip(NEXT) | instid1(VALU_DEP_2)
	v_sub_co_u32 v10, vcc_lo, v7, v5
	v_sub_co_ci_u32_e32 v11, vcc_lo, v8, v6, vcc_lo
	s_delay_alu instid0(VALU_DEP_1) | instskip(SKIP_1) | instid1(VALU_DEP_2)
	v_lshrrev_b64 v[12:13], 1, v[10:11]
	v_lshrrev_b64 v[10:11], 6, v[10:11]
	v_add_co_u32 v12, vcc_lo, v12, v5
	s_delay_alu instid0(VALU_DEP_3) | instskip(NEXT) | instid1(VALU_DEP_2)
	v_add_co_ci_u32_e32 v13, vcc_lo, v13, v6, vcc_lo
	v_add_co_u32 v10, vcc_lo, v12, v10
	s_delay_alu instid0(VALU_DEP_2) | instskip(NEXT) | instid1(VALU_DEP_1)
	v_add_co_ci_u32_e32 v11, vcc_lo, v13, v11, vcc_lo
	v_lshlrev_b64 v[12:13], 3, v[10:11]
	s_delay_alu instid0(VALU_DEP_1) | instskip(NEXT) | instid1(VALU_DEP_2)
	v_add_co_u32 v12, vcc_lo, s18, v12
	v_add_co_ci_u32_e32 v13, vcc_lo, s19, v13, vcc_lo
	v_add_co_u32 v14, vcc_lo, v10, 1
	global_load_b64 v[12:13], v[12:13], off
	s_waitcnt vmcnt(0)
	v_cmp_lt_i64_e64 s2, v[12:13], v[3:4]
	v_add_co_ci_u32_e32 v12, vcc_lo, 0, v11, vcc_lo
	s_delay_alu instid0(VALU_DEP_2) | instskip(SKIP_1) | instid1(VALU_DEP_3)
	v_cndmask_b32_e64 v8, v11, v8, s2
	v_cndmask_b32_e64 v7, v10, v7, s2
	;; [unrolled: 1-line block ×4, first 2 shown]
	s_delay_alu instid0(VALU_DEP_1) | instskip(SKIP_1) | instid1(SALU_CYCLE_1)
	v_cmp_ge_u64_e32 vcc_lo, v[5:6], v[7:8]
	s_or_b32 s9, vcc_lo, s9
	s_and_not1_b32 exec_lo, exec_lo, s9
	s_cbranch_execnz .LBB227_39
; %bb.40:
	s_set_inst_prefetch_distance 0x2
	s_or_b32 exec_lo, exec_lo, s9
.LBB227_41:
	s_mov_b32 s9, 0
	s_mov_b32 s2, exec_lo
	s_delay_alu instid0(VALU_DEP_1)
	v_cmpx_ne_u64_e64 s[20:21], v[5:6]
	s_cbranch_execz .LBB227_43
; %bb.42:
	v_lshlrev_b64 v[5:6], 3, v[5:6]
	s_delay_alu instid0(VALU_DEP_1) | instskip(NEXT) | instid1(VALU_DEP_2)
	v_add_co_u32 v5, vcc_lo, s18, v5
	v_add_co_ci_u32_e32 v6, vcc_lo, s19, v6, vcc_lo
	global_load_b64 v[5:6], v[5:6], off
	s_waitcnt vmcnt(0)
	v_cmp_le_i64_e32 vcc_lo, v[5:6], v[3:4]
	s_and_b32 s9, vcc_lo, exec_lo
.LBB227_43:
	s_or_b32 exec_lo, exec_lo, s2
	v_cmp_ne_u32_e32 vcc_lo, 1, v9
	v_add_co_u32 v3, s2, 0x1c0, v1
	v_mov_b32_e32 v5, 0
	v_add_co_ci_u32_e64 v4, s2, 0, v2, s2
	v_mov_b32_e32 v6, 0
	s_cbranch_vccnz .LBB227_47
; %bb.44:
	v_dual_mov_b32 v7, s20 :: v_dual_mov_b32 v8, s21
	s_mov_b32 s10, 0
	s_set_inst_prefetch_distance 0x1
	.p2align	6
.LBB227_45:                             ; =>This Inner Loop Header: Depth=1
	s_delay_alu instid0(VALU_DEP_1) | instskip(NEXT) | instid1(VALU_DEP_2)
	v_sub_co_u32 v10, vcc_lo, v7, v5
	v_sub_co_ci_u32_e32 v11, vcc_lo, v8, v6, vcc_lo
	s_delay_alu instid0(VALU_DEP_1) | instskip(SKIP_1) | instid1(VALU_DEP_2)
	v_lshrrev_b64 v[12:13], 1, v[10:11]
	v_lshrrev_b64 v[10:11], 6, v[10:11]
	v_add_co_u32 v12, vcc_lo, v12, v5
	s_delay_alu instid0(VALU_DEP_3) | instskip(NEXT) | instid1(VALU_DEP_2)
	v_add_co_ci_u32_e32 v13, vcc_lo, v13, v6, vcc_lo
	v_add_co_u32 v10, vcc_lo, v12, v10
	s_delay_alu instid0(VALU_DEP_2) | instskip(NEXT) | instid1(VALU_DEP_1)
	v_add_co_ci_u32_e32 v11, vcc_lo, v13, v11, vcc_lo
	v_lshlrev_b64 v[12:13], 3, v[10:11]
	s_delay_alu instid0(VALU_DEP_1) | instskip(NEXT) | instid1(VALU_DEP_2)
	v_add_co_u32 v12, vcc_lo, s18, v12
	v_add_co_ci_u32_e32 v13, vcc_lo, s19, v13, vcc_lo
	v_add_co_u32 v14, vcc_lo, v10, 1
	global_load_b64 v[12:13], v[12:13], off
	s_waitcnt vmcnt(0)
	v_cmp_lt_i64_e64 s2, v[12:13], v[3:4]
	v_add_co_ci_u32_e32 v12, vcc_lo, 0, v11, vcc_lo
	s_delay_alu instid0(VALU_DEP_2) | instskip(SKIP_1) | instid1(VALU_DEP_3)
	v_cndmask_b32_e64 v8, v11, v8, s2
	v_cndmask_b32_e64 v7, v10, v7, s2
	;; [unrolled: 1-line block ×4, first 2 shown]
	s_delay_alu instid0(VALU_DEP_1) | instskip(SKIP_1) | instid1(SALU_CYCLE_1)
	v_cmp_ge_u64_e32 vcc_lo, v[5:6], v[7:8]
	s_or_b32 s10, vcc_lo, s10
	s_and_not1_b32 exec_lo, exec_lo, s10
	s_cbranch_execnz .LBB227_45
; %bb.46:
	s_set_inst_prefetch_distance 0x2
	s_or_b32 exec_lo, exec_lo, s10
.LBB227_47:
	s_mov_b32 s10, 0
	s_mov_b32 s2, exec_lo
	s_delay_alu instid0(VALU_DEP_1)
	v_cmpx_ne_u64_e64 s[20:21], v[5:6]
	s_cbranch_execz .LBB227_49
; %bb.48:
	v_lshlrev_b64 v[5:6], 3, v[5:6]
	s_delay_alu instid0(VALU_DEP_1) | instskip(NEXT) | instid1(VALU_DEP_2)
	v_add_co_u32 v5, vcc_lo, s18, v5
	v_add_co_ci_u32_e32 v6, vcc_lo, s19, v6, vcc_lo
	global_load_b64 v[5:6], v[5:6], off
	s_waitcnt vmcnt(0)
	v_cmp_le_i64_e32 vcc_lo, v[5:6], v[3:4]
	s_and_b32 s10, vcc_lo, exec_lo
.LBB227_49:
	s_or_b32 exec_lo, exec_lo, s2
	v_cmp_ne_u32_e32 vcc_lo, 1, v9
	v_add_co_u32 v3, s2, 0x200, v1
	v_mov_b32_e32 v5, 0
	v_add_co_ci_u32_e64 v4, s2, 0, v2, s2
	v_mov_b32_e32 v6, 0
	s_cbranch_vccnz .LBB227_53
; %bb.50:
	v_dual_mov_b32 v7, s20 :: v_dual_mov_b32 v8, s21
	s_mov_b32 s11, 0
	s_set_inst_prefetch_distance 0x1
	.p2align	6
.LBB227_51:                             ; =>This Inner Loop Header: Depth=1
	s_delay_alu instid0(VALU_DEP_1) | instskip(NEXT) | instid1(VALU_DEP_2)
	v_sub_co_u32 v10, vcc_lo, v7, v5
	v_sub_co_ci_u32_e32 v11, vcc_lo, v8, v6, vcc_lo
	s_delay_alu instid0(VALU_DEP_1) | instskip(SKIP_1) | instid1(VALU_DEP_2)
	v_lshrrev_b64 v[12:13], 1, v[10:11]
	v_lshrrev_b64 v[10:11], 6, v[10:11]
	v_add_co_u32 v12, vcc_lo, v12, v5
	s_delay_alu instid0(VALU_DEP_3) | instskip(NEXT) | instid1(VALU_DEP_2)
	v_add_co_ci_u32_e32 v13, vcc_lo, v13, v6, vcc_lo
	v_add_co_u32 v10, vcc_lo, v12, v10
	s_delay_alu instid0(VALU_DEP_2) | instskip(NEXT) | instid1(VALU_DEP_1)
	v_add_co_ci_u32_e32 v11, vcc_lo, v13, v11, vcc_lo
	v_lshlrev_b64 v[12:13], 3, v[10:11]
	s_delay_alu instid0(VALU_DEP_1) | instskip(NEXT) | instid1(VALU_DEP_2)
	v_add_co_u32 v12, vcc_lo, s18, v12
	v_add_co_ci_u32_e32 v13, vcc_lo, s19, v13, vcc_lo
	v_add_co_u32 v14, vcc_lo, v10, 1
	global_load_b64 v[12:13], v[12:13], off
	s_waitcnt vmcnt(0)
	v_cmp_lt_i64_e64 s2, v[12:13], v[3:4]
	v_add_co_ci_u32_e32 v12, vcc_lo, 0, v11, vcc_lo
	s_delay_alu instid0(VALU_DEP_2) | instskip(SKIP_1) | instid1(VALU_DEP_3)
	v_cndmask_b32_e64 v8, v11, v8, s2
	v_cndmask_b32_e64 v7, v10, v7, s2
	;; [unrolled: 1-line block ×4, first 2 shown]
	s_delay_alu instid0(VALU_DEP_1) | instskip(SKIP_1) | instid1(SALU_CYCLE_1)
	v_cmp_ge_u64_e32 vcc_lo, v[5:6], v[7:8]
	s_or_b32 s11, vcc_lo, s11
	s_and_not1_b32 exec_lo, exec_lo, s11
	s_cbranch_execnz .LBB227_51
; %bb.52:
	s_set_inst_prefetch_distance 0x2
	s_or_b32 exec_lo, exec_lo, s11
.LBB227_53:
	s_mov_b32 s11, 0
	s_mov_b32 s2, exec_lo
	s_delay_alu instid0(VALU_DEP_1)
	v_cmpx_ne_u64_e64 s[20:21], v[5:6]
	s_cbranch_execz .LBB227_55
; %bb.54:
	v_lshlrev_b64 v[5:6], 3, v[5:6]
	s_delay_alu instid0(VALU_DEP_1) | instskip(NEXT) | instid1(VALU_DEP_2)
	v_add_co_u32 v5, vcc_lo, s18, v5
	v_add_co_ci_u32_e32 v6, vcc_lo, s19, v6, vcc_lo
	global_load_b64 v[5:6], v[5:6], off
	s_waitcnt vmcnt(0)
	v_cmp_le_i64_e32 vcc_lo, v[5:6], v[3:4]
	s_and_b32 s11, vcc_lo, exec_lo
.LBB227_55:
	s_or_b32 exec_lo, exec_lo, s2
	v_cmp_ne_u32_e32 vcc_lo, 1, v9
	v_add_co_u32 v3, s2, 0x240, v1
	v_mov_b32_e32 v5, 0
	v_add_co_ci_u32_e64 v4, s2, 0, v2, s2
	v_mov_b32_e32 v6, 0
	s_cbranch_vccnz .LBB227_59
; %bb.56:
	v_dual_mov_b32 v7, s20 :: v_dual_mov_b32 v8, s21
	s_mov_b32 s12, 0
	s_set_inst_prefetch_distance 0x1
	.p2align	6
.LBB227_57:                             ; =>This Inner Loop Header: Depth=1
	s_delay_alu instid0(VALU_DEP_1) | instskip(NEXT) | instid1(VALU_DEP_2)
	v_sub_co_u32 v10, vcc_lo, v7, v5
	v_sub_co_ci_u32_e32 v11, vcc_lo, v8, v6, vcc_lo
	s_delay_alu instid0(VALU_DEP_1) | instskip(SKIP_1) | instid1(VALU_DEP_2)
	v_lshrrev_b64 v[12:13], 1, v[10:11]
	v_lshrrev_b64 v[10:11], 6, v[10:11]
	v_add_co_u32 v12, vcc_lo, v12, v5
	s_delay_alu instid0(VALU_DEP_3) | instskip(NEXT) | instid1(VALU_DEP_2)
	v_add_co_ci_u32_e32 v13, vcc_lo, v13, v6, vcc_lo
	v_add_co_u32 v10, vcc_lo, v12, v10
	s_delay_alu instid0(VALU_DEP_2) | instskip(NEXT) | instid1(VALU_DEP_1)
	v_add_co_ci_u32_e32 v11, vcc_lo, v13, v11, vcc_lo
	v_lshlrev_b64 v[12:13], 3, v[10:11]
	s_delay_alu instid0(VALU_DEP_1) | instskip(NEXT) | instid1(VALU_DEP_2)
	v_add_co_u32 v12, vcc_lo, s18, v12
	v_add_co_ci_u32_e32 v13, vcc_lo, s19, v13, vcc_lo
	v_add_co_u32 v14, vcc_lo, v10, 1
	global_load_b64 v[12:13], v[12:13], off
	s_waitcnt vmcnt(0)
	v_cmp_lt_i64_e64 s2, v[12:13], v[3:4]
	v_add_co_ci_u32_e32 v12, vcc_lo, 0, v11, vcc_lo
	s_delay_alu instid0(VALU_DEP_2) | instskip(SKIP_1) | instid1(VALU_DEP_3)
	v_cndmask_b32_e64 v8, v11, v8, s2
	v_cndmask_b32_e64 v7, v10, v7, s2
	;; [unrolled: 1-line block ×4, first 2 shown]
	s_delay_alu instid0(VALU_DEP_1) | instskip(SKIP_1) | instid1(SALU_CYCLE_1)
	v_cmp_ge_u64_e32 vcc_lo, v[5:6], v[7:8]
	s_or_b32 s12, vcc_lo, s12
	s_and_not1_b32 exec_lo, exec_lo, s12
	s_cbranch_execnz .LBB227_57
; %bb.58:
	s_set_inst_prefetch_distance 0x2
	s_or_b32 exec_lo, exec_lo, s12
.LBB227_59:
	s_mov_b32 s12, 0
	s_mov_b32 s2, exec_lo
	s_delay_alu instid0(VALU_DEP_1)
	v_cmpx_ne_u64_e64 s[20:21], v[5:6]
	s_cbranch_execz .LBB227_61
; %bb.60:
	v_lshlrev_b64 v[5:6], 3, v[5:6]
	s_delay_alu instid0(VALU_DEP_1) | instskip(NEXT) | instid1(VALU_DEP_2)
	v_add_co_u32 v5, vcc_lo, s18, v5
	v_add_co_ci_u32_e32 v6, vcc_lo, s19, v6, vcc_lo
	global_load_b64 v[5:6], v[5:6], off
	s_waitcnt vmcnt(0)
	v_cmp_le_i64_e32 vcc_lo, v[5:6], v[3:4]
	s_and_b32 s12, vcc_lo, exec_lo
.LBB227_61:
	s_or_b32 exec_lo, exec_lo, s2
	v_cmp_ne_u32_e32 vcc_lo, 1, v9
	v_add_co_u32 v3, s2, 0x280, v1
	v_mov_b32_e32 v5, 0
	v_add_co_ci_u32_e64 v4, s2, 0, v2, s2
	v_mov_b32_e32 v6, 0
	s_cbranch_vccnz .LBB227_65
; %bb.62:
	v_dual_mov_b32 v7, s20 :: v_dual_mov_b32 v8, s21
	s_mov_b32 s13, 0
	s_set_inst_prefetch_distance 0x1
	.p2align	6
.LBB227_63:                             ; =>This Inner Loop Header: Depth=1
	s_delay_alu instid0(VALU_DEP_1) | instskip(NEXT) | instid1(VALU_DEP_2)
	v_sub_co_u32 v10, vcc_lo, v7, v5
	v_sub_co_ci_u32_e32 v11, vcc_lo, v8, v6, vcc_lo
	s_delay_alu instid0(VALU_DEP_1) | instskip(SKIP_1) | instid1(VALU_DEP_2)
	v_lshrrev_b64 v[12:13], 1, v[10:11]
	v_lshrrev_b64 v[10:11], 6, v[10:11]
	v_add_co_u32 v12, vcc_lo, v12, v5
	s_delay_alu instid0(VALU_DEP_3) | instskip(NEXT) | instid1(VALU_DEP_2)
	v_add_co_ci_u32_e32 v13, vcc_lo, v13, v6, vcc_lo
	v_add_co_u32 v10, vcc_lo, v12, v10
	s_delay_alu instid0(VALU_DEP_2) | instskip(NEXT) | instid1(VALU_DEP_1)
	v_add_co_ci_u32_e32 v11, vcc_lo, v13, v11, vcc_lo
	v_lshlrev_b64 v[12:13], 3, v[10:11]
	s_delay_alu instid0(VALU_DEP_1) | instskip(NEXT) | instid1(VALU_DEP_2)
	v_add_co_u32 v12, vcc_lo, s18, v12
	v_add_co_ci_u32_e32 v13, vcc_lo, s19, v13, vcc_lo
	v_add_co_u32 v14, vcc_lo, v10, 1
	global_load_b64 v[12:13], v[12:13], off
	s_waitcnt vmcnt(0)
	v_cmp_lt_i64_e64 s2, v[12:13], v[3:4]
	v_add_co_ci_u32_e32 v12, vcc_lo, 0, v11, vcc_lo
	s_delay_alu instid0(VALU_DEP_2) | instskip(SKIP_1) | instid1(VALU_DEP_3)
	v_cndmask_b32_e64 v8, v11, v8, s2
	v_cndmask_b32_e64 v7, v10, v7, s2
	;; [unrolled: 1-line block ×4, first 2 shown]
	s_delay_alu instid0(VALU_DEP_1) | instskip(SKIP_1) | instid1(SALU_CYCLE_1)
	v_cmp_ge_u64_e32 vcc_lo, v[5:6], v[7:8]
	s_or_b32 s13, vcc_lo, s13
	s_and_not1_b32 exec_lo, exec_lo, s13
	s_cbranch_execnz .LBB227_63
; %bb.64:
	s_set_inst_prefetch_distance 0x2
	s_or_b32 exec_lo, exec_lo, s13
.LBB227_65:
	s_mov_b32 s13, 0
	s_mov_b32 s2, exec_lo
	s_delay_alu instid0(VALU_DEP_1)
	v_cmpx_ne_u64_e64 s[20:21], v[5:6]
	s_cbranch_execz .LBB227_67
; %bb.66:
	v_lshlrev_b64 v[5:6], 3, v[5:6]
	s_delay_alu instid0(VALU_DEP_1) | instskip(NEXT) | instid1(VALU_DEP_2)
	v_add_co_u32 v5, vcc_lo, s18, v5
	v_add_co_ci_u32_e32 v6, vcc_lo, s19, v6, vcc_lo
	global_load_b64 v[5:6], v[5:6], off
	s_waitcnt vmcnt(0)
	v_cmp_le_i64_e32 vcc_lo, v[5:6], v[3:4]
	s_and_b32 s13, vcc_lo, exec_lo
.LBB227_67:
	s_or_b32 exec_lo, exec_lo, s2
	v_cmp_ne_u32_e32 vcc_lo, 1, v9
	v_add_co_u32 v3, s2, 0x2c0, v1
	v_mov_b32_e32 v5, 0
	v_add_co_ci_u32_e64 v4, s2, 0, v2, s2
	v_mov_b32_e32 v6, 0
	s_cbranch_vccnz .LBB227_71
; %bb.68:
	v_dual_mov_b32 v7, s20 :: v_dual_mov_b32 v8, s21
	s_mov_b32 s14, 0
	s_set_inst_prefetch_distance 0x1
	.p2align	6
.LBB227_69:                             ; =>This Inner Loop Header: Depth=1
	s_delay_alu instid0(VALU_DEP_1) | instskip(NEXT) | instid1(VALU_DEP_2)
	v_sub_co_u32 v10, vcc_lo, v7, v5
	v_sub_co_ci_u32_e32 v11, vcc_lo, v8, v6, vcc_lo
	s_delay_alu instid0(VALU_DEP_1) | instskip(SKIP_1) | instid1(VALU_DEP_2)
	v_lshrrev_b64 v[12:13], 1, v[10:11]
	v_lshrrev_b64 v[10:11], 6, v[10:11]
	v_add_co_u32 v12, vcc_lo, v12, v5
	s_delay_alu instid0(VALU_DEP_3) | instskip(NEXT) | instid1(VALU_DEP_2)
	v_add_co_ci_u32_e32 v13, vcc_lo, v13, v6, vcc_lo
	v_add_co_u32 v10, vcc_lo, v12, v10
	s_delay_alu instid0(VALU_DEP_2) | instskip(NEXT) | instid1(VALU_DEP_1)
	v_add_co_ci_u32_e32 v11, vcc_lo, v13, v11, vcc_lo
	v_lshlrev_b64 v[12:13], 3, v[10:11]
	s_delay_alu instid0(VALU_DEP_1) | instskip(NEXT) | instid1(VALU_DEP_2)
	v_add_co_u32 v12, vcc_lo, s18, v12
	v_add_co_ci_u32_e32 v13, vcc_lo, s19, v13, vcc_lo
	v_add_co_u32 v14, vcc_lo, v10, 1
	global_load_b64 v[12:13], v[12:13], off
	s_waitcnt vmcnt(0)
	v_cmp_lt_i64_e64 s2, v[12:13], v[3:4]
	v_add_co_ci_u32_e32 v12, vcc_lo, 0, v11, vcc_lo
	s_delay_alu instid0(VALU_DEP_2) | instskip(SKIP_1) | instid1(VALU_DEP_3)
	v_cndmask_b32_e64 v8, v11, v8, s2
	v_cndmask_b32_e64 v7, v10, v7, s2
	;; [unrolled: 1-line block ×4, first 2 shown]
	s_delay_alu instid0(VALU_DEP_1) | instskip(SKIP_1) | instid1(SALU_CYCLE_1)
	v_cmp_ge_u64_e32 vcc_lo, v[5:6], v[7:8]
	s_or_b32 s14, vcc_lo, s14
	s_and_not1_b32 exec_lo, exec_lo, s14
	s_cbranch_execnz .LBB227_69
; %bb.70:
	s_set_inst_prefetch_distance 0x2
	s_or_b32 exec_lo, exec_lo, s14
.LBB227_71:
	s_mov_b32 s14, 0
	s_mov_b32 s2, exec_lo
	s_delay_alu instid0(VALU_DEP_1)
	v_cmpx_ne_u64_e64 s[20:21], v[5:6]
	s_cbranch_execz .LBB227_73
; %bb.72:
	v_lshlrev_b64 v[5:6], 3, v[5:6]
	s_delay_alu instid0(VALU_DEP_1) | instskip(NEXT) | instid1(VALU_DEP_2)
	v_add_co_u32 v5, vcc_lo, s18, v5
	v_add_co_ci_u32_e32 v6, vcc_lo, s19, v6, vcc_lo
	global_load_b64 v[5:6], v[5:6], off
	s_waitcnt vmcnt(0)
	v_cmp_le_i64_e32 vcc_lo, v[5:6], v[3:4]
	s_and_b32 s14, vcc_lo, exec_lo
.LBB227_73:
	s_or_b32 exec_lo, exec_lo, s2
	v_cmp_ne_u32_e32 vcc_lo, 1, v9
	v_add_co_u32 v3, s2, 0x300, v1
	v_mov_b32_e32 v5, 0
	v_add_co_ci_u32_e64 v4, s2, 0, v2, s2
	v_mov_b32_e32 v6, 0
	s_cbranch_vccnz .LBB227_77
; %bb.74:
	v_dual_mov_b32 v7, s20 :: v_dual_mov_b32 v8, s21
	s_mov_b32 s15, 0
	s_set_inst_prefetch_distance 0x1
	.p2align	6
.LBB227_75:                             ; =>This Inner Loop Header: Depth=1
	s_delay_alu instid0(VALU_DEP_1) | instskip(NEXT) | instid1(VALU_DEP_2)
	v_sub_co_u32 v10, vcc_lo, v7, v5
	v_sub_co_ci_u32_e32 v11, vcc_lo, v8, v6, vcc_lo
	s_delay_alu instid0(VALU_DEP_1) | instskip(SKIP_1) | instid1(VALU_DEP_2)
	v_lshrrev_b64 v[12:13], 1, v[10:11]
	v_lshrrev_b64 v[10:11], 6, v[10:11]
	v_add_co_u32 v12, vcc_lo, v12, v5
	s_delay_alu instid0(VALU_DEP_3) | instskip(NEXT) | instid1(VALU_DEP_2)
	v_add_co_ci_u32_e32 v13, vcc_lo, v13, v6, vcc_lo
	v_add_co_u32 v10, vcc_lo, v12, v10
	s_delay_alu instid0(VALU_DEP_2) | instskip(NEXT) | instid1(VALU_DEP_1)
	v_add_co_ci_u32_e32 v11, vcc_lo, v13, v11, vcc_lo
	v_lshlrev_b64 v[12:13], 3, v[10:11]
	s_delay_alu instid0(VALU_DEP_1) | instskip(NEXT) | instid1(VALU_DEP_2)
	v_add_co_u32 v12, vcc_lo, s18, v12
	v_add_co_ci_u32_e32 v13, vcc_lo, s19, v13, vcc_lo
	v_add_co_u32 v14, vcc_lo, v10, 1
	global_load_b64 v[12:13], v[12:13], off
	s_waitcnt vmcnt(0)
	v_cmp_lt_i64_e64 s2, v[12:13], v[3:4]
	v_add_co_ci_u32_e32 v12, vcc_lo, 0, v11, vcc_lo
	s_delay_alu instid0(VALU_DEP_2) | instskip(SKIP_1) | instid1(VALU_DEP_3)
	v_cndmask_b32_e64 v8, v11, v8, s2
	v_cndmask_b32_e64 v7, v10, v7, s2
	;; [unrolled: 1-line block ×4, first 2 shown]
	s_delay_alu instid0(VALU_DEP_1) | instskip(SKIP_1) | instid1(SALU_CYCLE_1)
	v_cmp_ge_u64_e32 vcc_lo, v[5:6], v[7:8]
	s_or_b32 s15, vcc_lo, s15
	s_and_not1_b32 exec_lo, exec_lo, s15
	s_cbranch_execnz .LBB227_75
; %bb.76:
	s_set_inst_prefetch_distance 0x2
	s_or_b32 exec_lo, exec_lo, s15
.LBB227_77:
	s_mov_b32 s15, 0
	s_mov_b32 s2, exec_lo
	s_delay_alu instid0(VALU_DEP_1)
	v_cmpx_ne_u64_e64 s[20:21], v[5:6]
	s_cbranch_execz .LBB227_79
; %bb.78:
	v_lshlrev_b64 v[5:6], 3, v[5:6]
	s_delay_alu instid0(VALU_DEP_1) | instskip(NEXT) | instid1(VALU_DEP_2)
	v_add_co_u32 v5, vcc_lo, s18, v5
	v_add_co_ci_u32_e32 v6, vcc_lo, s19, v6, vcc_lo
	global_load_b64 v[5:6], v[5:6], off
	s_waitcnt vmcnt(0)
	v_cmp_le_i64_e32 vcc_lo, v[5:6], v[3:4]
	s_and_b32 s15, vcc_lo, exec_lo
.LBB227_79:
	s_or_b32 exec_lo, exec_lo, s2
	v_cmp_ne_u32_e32 vcc_lo, 1, v9
	v_add_co_u32 v3, s2, 0x340, v1
	v_mov_b32_e32 v5, 0
	v_add_co_ci_u32_e64 v4, s2, 0, v2, s2
	v_mov_b32_e32 v6, 0
	s_cbranch_vccnz .LBB227_83
; %bb.80:
	v_dual_mov_b32 v7, s20 :: v_dual_mov_b32 v8, s21
	s_mov_b32 s25, 0
	s_set_inst_prefetch_distance 0x1
	.p2align	6
.LBB227_81:                             ; =>This Inner Loop Header: Depth=1
	s_delay_alu instid0(VALU_DEP_1) | instskip(NEXT) | instid1(VALU_DEP_2)
	v_sub_co_u32 v10, vcc_lo, v7, v5
	v_sub_co_ci_u32_e32 v11, vcc_lo, v8, v6, vcc_lo
	s_delay_alu instid0(VALU_DEP_1) | instskip(SKIP_1) | instid1(VALU_DEP_2)
	v_lshrrev_b64 v[12:13], 1, v[10:11]
	v_lshrrev_b64 v[10:11], 6, v[10:11]
	v_add_co_u32 v12, vcc_lo, v12, v5
	s_delay_alu instid0(VALU_DEP_3) | instskip(NEXT) | instid1(VALU_DEP_2)
	v_add_co_ci_u32_e32 v13, vcc_lo, v13, v6, vcc_lo
	v_add_co_u32 v10, vcc_lo, v12, v10
	s_delay_alu instid0(VALU_DEP_2) | instskip(NEXT) | instid1(VALU_DEP_1)
	v_add_co_ci_u32_e32 v11, vcc_lo, v13, v11, vcc_lo
	v_lshlrev_b64 v[12:13], 3, v[10:11]
	s_delay_alu instid0(VALU_DEP_1) | instskip(NEXT) | instid1(VALU_DEP_2)
	v_add_co_u32 v12, vcc_lo, s18, v12
	v_add_co_ci_u32_e32 v13, vcc_lo, s19, v13, vcc_lo
	v_add_co_u32 v14, vcc_lo, v10, 1
	global_load_b64 v[12:13], v[12:13], off
	s_waitcnt vmcnt(0)
	v_cmp_lt_i64_e64 s2, v[12:13], v[3:4]
	v_add_co_ci_u32_e32 v12, vcc_lo, 0, v11, vcc_lo
	s_delay_alu instid0(VALU_DEP_2) | instskip(SKIP_1) | instid1(VALU_DEP_3)
	v_cndmask_b32_e64 v8, v11, v8, s2
	v_cndmask_b32_e64 v7, v10, v7, s2
	;; [unrolled: 1-line block ×4, first 2 shown]
	s_delay_alu instid0(VALU_DEP_1) | instskip(SKIP_1) | instid1(SALU_CYCLE_1)
	v_cmp_ge_u64_e32 vcc_lo, v[5:6], v[7:8]
	s_or_b32 s25, vcc_lo, s25
	s_and_not1_b32 exec_lo, exec_lo, s25
	s_cbranch_execnz .LBB227_81
; %bb.82:
	s_set_inst_prefetch_distance 0x2
	s_or_b32 exec_lo, exec_lo, s25
.LBB227_83:
	s_mov_b32 s25, 0
	s_mov_b32 s2, exec_lo
	s_delay_alu instid0(VALU_DEP_1)
	v_cmpx_ne_u64_e64 s[20:21], v[5:6]
	s_cbranch_execz .LBB227_85
; %bb.84:
	v_lshlrev_b64 v[5:6], 3, v[5:6]
	s_delay_alu instid0(VALU_DEP_1) | instskip(NEXT) | instid1(VALU_DEP_2)
	v_add_co_u32 v5, vcc_lo, s18, v5
	v_add_co_ci_u32_e32 v6, vcc_lo, s19, v6, vcc_lo
	global_load_b64 v[5:6], v[5:6], off
	s_waitcnt vmcnt(0)
	v_cmp_le_i64_e32 vcc_lo, v[5:6], v[3:4]
	s_and_b32 s25, vcc_lo, exec_lo
.LBB227_85:
	s_or_b32 exec_lo, exec_lo, s2
	v_cmp_ne_u32_e32 vcc_lo, 1, v9
	v_add_co_u32 v3, s2, 0x380, v1
	v_mov_b32_e32 v5, 0
	v_add_co_ci_u32_e64 v4, s2, 0, v2, s2
	v_mov_b32_e32 v6, 0
	s_cbranch_vccnz .LBB227_89
; %bb.86:
	v_dual_mov_b32 v7, s20 :: v_dual_mov_b32 v8, s21
	s_mov_b32 s26, 0
	s_set_inst_prefetch_distance 0x1
	.p2align	6
.LBB227_87:                             ; =>This Inner Loop Header: Depth=1
	s_delay_alu instid0(VALU_DEP_1) | instskip(NEXT) | instid1(VALU_DEP_2)
	v_sub_co_u32 v10, vcc_lo, v7, v5
	v_sub_co_ci_u32_e32 v11, vcc_lo, v8, v6, vcc_lo
	s_delay_alu instid0(VALU_DEP_1) | instskip(SKIP_1) | instid1(VALU_DEP_2)
	v_lshrrev_b64 v[12:13], 1, v[10:11]
	v_lshrrev_b64 v[10:11], 6, v[10:11]
	v_add_co_u32 v12, vcc_lo, v12, v5
	s_delay_alu instid0(VALU_DEP_3) | instskip(NEXT) | instid1(VALU_DEP_2)
	v_add_co_ci_u32_e32 v13, vcc_lo, v13, v6, vcc_lo
	v_add_co_u32 v10, vcc_lo, v12, v10
	s_delay_alu instid0(VALU_DEP_2) | instskip(NEXT) | instid1(VALU_DEP_1)
	v_add_co_ci_u32_e32 v11, vcc_lo, v13, v11, vcc_lo
	v_lshlrev_b64 v[12:13], 3, v[10:11]
	s_delay_alu instid0(VALU_DEP_1) | instskip(NEXT) | instid1(VALU_DEP_2)
	v_add_co_u32 v12, vcc_lo, s18, v12
	v_add_co_ci_u32_e32 v13, vcc_lo, s19, v13, vcc_lo
	v_add_co_u32 v14, vcc_lo, v10, 1
	global_load_b64 v[12:13], v[12:13], off
	s_waitcnt vmcnt(0)
	v_cmp_lt_i64_e64 s2, v[12:13], v[3:4]
	v_add_co_ci_u32_e32 v12, vcc_lo, 0, v11, vcc_lo
	s_delay_alu instid0(VALU_DEP_2) | instskip(SKIP_1) | instid1(VALU_DEP_3)
	v_cndmask_b32_e64 v8, v11, v8, s2
	v_cndmask_b32_e64 v7, v10, v7, s2
	;; [unrolled: 1-line block ×4, first 2 shown]
	s_delay_alu instid0(VALU_DEP_1) | instskip(SKIP_1) | instid1(SALU_CYCLE_1)
	v_cmp_ge_u64_e32 vcc_lo, v[5:6], v[7:8]
	s_or_b32 s26, vcc_lo, s26
	s_and_not1_b32 exec_lo, exec_lo, s26
	s_cbranch_execnz .LBB227_87
; %bb.88:
	s_set_inst_prefetch_distance 0x2
	s_or_b32 exec_lo, exec_lo, s26
.LBB227_89:
	s_mov_b32 s26, 0
	s_mov_b32 s2, exec_lo
	s_delay_alu instid0(VALU_DEP_1)
	v_cmpx_ne_u64_e64 s[20:21], v[5:6]
	s_cbranch_execz .LBB227_91
; %bb.90:
	v_lshlrev_b64 v[5:6], 3, v[5:6]
	s_delay_alu instid0(VALU_DEP_1) | instskip(NEXT) | instid1(VALU_DEP_2)
	v_add_co_u32 v5, vcc_lo, s18, v5
	v_add_co_ci_u32_e32 v6, vcc_lo, s19, v6, vcc_lo
	global_load_b64 v[5:6], v[5:6], off
	s_waitcnt vmcnt(0)
	v_cmp_le_i64_e32 vcc_lo, v[5:6], v[3:4]
	s_and_b32 s26, vcc_lo, exec_lo
.LBB227_91:
	s_or_b32 exec_lo, exec_lo, s2
	v_cmp_ne_u32_e32 vcc_lo, 1, v9
	v_add_co_u32 v1, s2, 0x3c0, v1
	v_mov_b32_e32 v3, 0
	v_add_co_ci_u32_e64 v2, s2, 0, v2, s2
	v_mov_b32_e32 v4, 0
	s_cbranch_vccnz .LBB227_95
; %bb.92:
	v_dual_mov_b32 v5, s20 :: v_dual_mov_b32 v6, s21
	s_mov_b32 s27, 0
	s_set_inst_prefetch_distance 0x1
	.p2align	6
.LBB227_93:                             ; =>This Inner Loop Header: Depth=1
	s_delay_alu instid0(VALU_DEP_1) | instskip(NEXT) | instid1(VALU_DEP_2)
	v_sub_co_u32 v7, vcc_lo, v5, v3
	v_sub_co_ci_u32_e32 v8, vcc_lo, v6, v4, vcc_lo
	s_delay_alu instid0(VALU_DEP_1) | instskip(SKIP_1) | instid1(VALU_DEP_2)
	v_lshrrev_b64 v[9:10], 1, v[7:8]
	v_lshrrev_b64 v[7:8], 6, v[7:8]
	v_add_co_u32 v9, vcc_lo, v9, v3
	s_delay_alu instid0(VALU_DEP_3) | instskip(NEXT) | instid1(VALU_DEP_2)
	v_add_co_ci_u32_e32 v10, vcc_lo, v10, v4, vcc_lo
	v_add_co_u32 v7, vcc_lo, v9, v7
	s_delay_alu instid0(VALU_DEP_2) | instskip(NEXT) | instid1(VALU_DEP_1)
	v_add_co_ci_u32_e32 v8, vcc_lo, v10, v8, vcc_lo
	v_lshlrev_b64 v[9:10], 3, v[7:8]
	s_delay_alu instid0(VALU_DEP_1) | instskip(NEXT) | instid1(VALU_DEP_2)
	v_add_co_u32 v9, vcc_lo, s18, v9
	v_add_co_ci_u32_e32 v10, vcc_lo, s19, v10, vcc_lo
	v_add_co_u32 v11, vcc_lo, v7, 1
	global_load_b64 v[9:10], v[9:10], off
	s_waitcnt vmcnt(0)
	v_cmp_lt_i64_e64 s2, v[9:10], v[1:2]
	v_add_co_ci_u32_e32 v9, vcc_lo, 0, v8, vcc_lo
	s_delay_alu instid0(VALU_DEP_2) | instskip(SKIP_1) | instid1(VALU_DEP_3)
	v_cndmask_b32_e64 v6, v8, v6, s2
	v_cndmask_b32_e64 v5, v7, v5, s2
	;; [unrolled: 1-line block ×4, first 2 shown]
	s_delay_alu instid0(VALU_DEP_1) | instskip(SKIP_1) | instid1(SALU_CYCLE_1)
	v_cmp_ge_u64_e32 vcc_lo, v[3:4], v[5:6]
	s_or_b32 s27, vcc_lo, s27
	s_and_not1_b32 exec_lo, exec_lo, s27
	s_cbranch_execnz .LBB227_93
; %bb.94:
	s_set_inst_prefetch_distance 0x2
	s_or_b32 exec_lo, exec_lo, s27
.LBB227_95:
	s_mov_b32 s2, 0
	s_mov_b32 s27, 0
	s_mov_b32 s28, exec_lo
	v_cmpx_ne_u64_e64 s[20:21], v[3:4]
	s_cbranch_execz .LBB227_97
; %bb.96:
	v_lshlrev_b64 v[3:4], 3, v[3:4]
	s_delay_alu instid0(VALU_DEP_1) | instskip(NEXT) | instid1(VALU_DEP_2)
	v_add_co_u32 v3, vcc_lo, s18, v3
	v_add_co_ci_u32_e32 v4, vcc_lo, s19, v4, vcc_lo
	global_load_b64 v[3:4], v[3:4], off
	s_waitcnt vmcnt(0)
	v_cmp_le_i64_e32 vcc_lo, v[3:4], v[1:2]
	s_and_b32 s27, vcc_lo, exec_lo
.LBB227_97:
	s_or_b32 exec_lo, exec_lo, s28
	v_cndmask_b32_e64 v15, 0, 1, s3
	s_add_u32 s3, s22, s23
	v_cndmask_b32_e64 v14, 0, 1, s7
	s_addc_u32 s7, s17, 0
	v_add_co_u32 v1, s3, s3, v0
	v_cndmask_b32_e64 v10, 0, 1, s11
	v_add_co_ci_u32_e64 v2, null, s7, 0, s3
	v_cndmask_b32_e64 v9, 0, 1, s12
	v_cndmask_b32_e64 v16, 0, 1, s4
	;; [unrolled: 1-line block ×13, first 2 shown]
	s_clause 0x7
	global_store_b8 v[1:2], v15, off
	global_store_b8 v[1:2], v16, off offset:64
	global_store_b8 v[1:2], v17, off offset:128
	;; [unrolled: 1-line block ×7, first 2 shown]
	s_mov_b32 s25, -1
	s_clause 0x6
	global_store_b8 v[1:2], v10, off offset:512
	global_store_b8 v[1:2], v9, off offset:576
	;; [unrolled: 1-line block ×7, first 2 shown]
	s_and_b32 vcc_lo, exec_lo, s2
	s_cbranch_vccnz .LBB227_99
	s_branch .LBB227_245
.LBB227_98:
                                        ; implicit-def: $vgpr3
                                        ; implicit-def: $vgpr1_vgpr2
	s_and_b32 vcc_lo, exec_lo, s2
	s_cbranch_vccz .LBB227_245
.LBB227_99:
	s_load_b32 s0, s[0:1], 0x10
                                        ; implicit-def: $vgpr7
	s_waitcnt lgkmcnt(0)
	s_sub_i32 s27, s0, s23
	s_cmp_lg_u64 s[20:21], 0
	v_cmp_gt_u32_e64 s0, s27, v0
	s_cselect_b32 s26, -1, 0
	s_delay_alu instid0(VALU_DEP_1)
	s_and_saveexec_b32 s2, s0
	s_cbranch_execz .LBB227_107
; %bb.100:
	v_add_co_u32 v1, s1, s16, v0
	v_mov_b32_e32 v3, 0
	v_add_co_ci_u32_e64 v2, null, s24, 0, s1
	v_mov_b32_e32 v4, 0
	s_and_not1_b32 vcc_lo, exec_lo, s26
	s_cbranch_vccnz .LBB227_104
; %bb.101:
	v_dual_mov_b32 v5, s20 :: v_dual_mov_b32 v6, s21
	s_mov_b32 s3, 0
	s_set_inst_prefetch_distance 0x1
	.p2align	6
.LBB227_102:                            ; =>This Inner Loop Header: Depth=1
	s_delay_alu instid0(VALU_DEP_1) | instskip(NEXT) | instid1(VALU_DEP_2)
	v_sub_co_u32 v7, vcc_lo, v5, v3
	v_sub_co_ci_u32_e32 v8, vcc_lo, v6, v4, vcc_lo
	s_delay_alu instid0(VALU_DEP_1) | instskip(SKIP_1) | instid1(VALU_DEP_2)
	v_lshrrev_b64 v[9:10], 1, v[7:8]
	v_lshrrev_b64 v[7:8], 6, v[7:8]
	v_add_co_u32 v9, vcc_lo, v9, v3
	s_delay_alu instid0(VALU_DEP_3) | instskip(NEXT) | instid1(VALU_DEP_2)
	v_add_co_ci_u32_e32 v10, vcc_lo, v10, v4, vcc_lo
	v_add_co_u32 v7, vcc_lo, v9, v7
	s_delay_alu instid0(VALU_DEP_2) | instskip(NEXT) | instid1(VALU_DEP_1)
	v_add_co_ci_u32_e32 v8, vcc_lo, v10, v8, vcc_lo
	v_lshlrev_b64 v[9:10], 3, v[7:8]
	s_delay_alu instid0(VALU_DEP_1) | instskip(NEXT) | instid1(VALU_DEP_2)
	v_add_co_u32 v9, vcc_lo, s18, v9
	v_add_co_ci_u32_e32 v10, vcc_lo, s19, v10, vcc_lo
	v_add_co_u32 v11, vcc_lo, v7, 1
	global_load_b64 v[9:10], v[9:10], off
	s_waitcnt vmcnt(0)
	v_cmp_lt_i64_e64 s1, v[9:10], v[1:2]
	v_add_co_ci_u32_e32 v9, vcc_lo, 0, v8, vcc_lo
	s_delay_alu instid0(VALU_DEP_2) | instskip(SKIP_1) | instid1(VALU_DEP_3)
	v_cndmask_b32_e64 v6, v8, v6, s1
	v_cndmask_b32_e64 v5, v7, v5, s1
	;; [unrolled: 1-line block ×4, first 2 shown]
	s_delay_alu instid0(VALU_DEP_1) | instskip(SKIP_1) | instid1(SALU_CYCLE_1)
	v_cmp_ge_u64_e32 vcc_lo, v[3:4], v[5:6]
	s_or_b32 s3, vcc_lo, s3
	s_and_not1_b32 exec_lo, exec_lo, s3
	s_cbranch_execnz .LBB227_102
; %bb.103:
	s_set_inst_prefetch_distance 0x2
	s_or_b32 exec_lo, exec_lo, s3
.LBB227_104:
	s_mov_b32 s3, 0
	s_mov_b32 s1, exec_lo
	v_cmpx_ne_u64_e64 s[20:21], v[3:4]
	s_cbranch_execz .LBB227_106
; %bb.105:
	v_lshlrev_b64 v[3:4], 3, v[3:4]
	s_delay_alu instid0(VALU_DEP_1) | instskip(NEXT) | instid1(VALU_DEP_2)
	v_add_co_u32 v3, vcc_lo, s18, v3
	v_add_co_ci_u32_e32 v4, vcc_lo, s19, v4, vcc_lo
	global_load_b64 v[3:4], v[3:4], off
	s_waitcnt vmcnt(0)
	v_cmp_le_i64_e32 vcc_lo, v[3:4], v[1:2]
	s_and_b32 s3, vcc_lo, exec_lo
.LBB227_106:
	s_or_b32 exec_lo, exec_lo, s1
	v_cndmask_b32_e64 v7, 0, 1, s3
.LBB227_107:
	s_or_b32 exec_lo, exec_lo, s2
	v_or_b32_e32 v1, 64, v0
                                        ; implicit-def: $vgpr8
	s_delay_alu instid0(VALU_DEP_1) | instskip(NEXT) | instid1(VALU_DEP_1)
	v_cmp_gt_u32_e64 s1, s27, v1
	s_and_saveexec_b32 s3, s1
	s_cbranch_execz .LBB227_115
; %bb.108:
	v_add_co_u32 v1, s2, s16, v1
	v_mov_b32_e32 v3, 0
	v_add_co_ci_u32_e64 v2, null, s24, 0, s2
	v_mov_b32_e32 v4, 0
	s_and_not1_b32 vcc_lo, exec_lo, s26
	s_cbranch_vccnz .LBB227_112
; %bb.109:
	v_dual_mov_b32 v5, s20 :: v_dual_mov_b32 v6, s21
	s_mov_b32 s4, 0
	s_set_inst_prefetch_distance 0x1
	.p2align	6
.LBB227_110:                            ; =>This Inner Loop Header: Depth=1
	s_delay_alu instid0(VALU_DEP_1) | instskip(NEXT) | instid1(VALU_DEP_2)
	v_sub_co_u32 v8, vcc_lo, v5, v3
	v_sub_co_ci_u32_e32 v9, vcc_lo, v6, v4, vcc_lo
	s_delay_alu instid0(VALU_DEP_1) | instskip(SKIP_1) | instid1(VALU_DEP_2)
	v_lshrrev_b64 v[10:11], 1, v[8:9]
	v_lshrrev_b64 v[8:9], 6, v[8:9]
	v_add_co_u32 v10, vcc_lo, v10, v3
	s_delay_alu instid0(VALU_DEP_3) | instskip(NEXT) | instid1(VALU_DEP_2)
	v_add_co_ci_u32_e32 v11, vcc_lo, v11, v4, vcc_lo
	v_add_co_u32 v8, vcc_lo, v10, v8
	s_delay_alu instid0(VALU_DEP_2) | instskip(NEXT) | instid1(VALU_DEP_1)
	v_add_co_ci_u32_e32 v9, vcc_lo, v11, v9, vcc_lo
	v_lshlrev_b64 v[10:11], 3, v[8:9]
	s_delay_alu instid0(VALU_DEP_1) | instskip(NEXT) | instid1(VALU_DEP_2)
	v_add_co_u32 v10, vcc_lo, s18, v10
	v_add_co_ci_u32_e32 v11, vcc_lo, s19, v11, vcc_lo
	v_add_co_u32 v12, vcc_lo, v8, 1
	global_load_b64 v[10:11], v[10:11], off
	s_waitcnt vmcnt(0)
	v_cmp_lt_i64_e64 s2, v[10:11], v[1:2]
	v_add_co_ci_u32_e32 v10, vcc_lo, 0, v9, vcc_lo
	s_delay_alu instid0(VALU_DEP_2) | instskip(SKIP_1) | instid1(VALU_DEP_3)
	v_cndmask_b32_e64 v6, v9, v6, s2
	v_cndmask_b32_e64 v5, v8, v5, s2
	;; [unrolled: 1-line block ×4, first 2 shown]
	s_delay_alu instid0(VALU_DEP_1) | instskip(SKIP_1) | instid1(SALU_CYCLE_1)
	v_cmp_ge_u64_e32 vcc_lo, v[3:4], v[5:6]
	s_or_b32 s4, vcc_lo, s4
	s_and_not1_b32 exec_lo, exec_lo, s4
	s_cbranch_execnz .LBB227_110
; %bb.111:
	s_set_inst_prefetch_distance 0x2
	s_or_b32 exec_lo, exec_lo, s4
.LBB227_112:
	s_mov_b32 s4, 0
	s_mov_b32 s2, exec_lo
	v_cmpx_ne_u64_e64 s[20:21], v[3:4]
	s_cbranch_execz .LBB227_114
; %bb.113:
	v_lshlrev_b64 v[3:4], 3, v[3:4]
	s_delay_alu instid0(VALU_DEP_1) | instskip(NEXT) | instid1(VALU_DEP_2)
	v_add_co_u32 v3, vcc_lo, s18, v3
	v_add_co_ci_u32_e32 v4, vcc_lo, s19, v4, vcc_lo
	global_load_b64 v[3:4], v[3:4], off
	s_waitcnt vmcnt(0)
	v_cmp_le_i64_e32 vcc_lo, v[3:4], v[1:2]
	s_and_b32 s4, vcc_lo, exec_lo
.LBB227_114:
	s_or_b32 exec_lo, exec_lo, s2
	v_cndmask_b32_e64 v8, 0, 1, s4
.LBB227_115:
	s_or_b32 exec_lo, exec_lo, s3
	v_or_b32_e32 v1, 0x80, v0
                                        ; implicit-def: $vgpr9
	s_delay_alu instid0(VALU_DEP_1) | instskip(NEXT) | instid1(VALU_DEP_1)
	v_cmp_gt_u32_e64 s2, s27, v1
	s_and_saveexec_b32 s4, s2
	s_cbranch_execz .LBB227_123
; %bb.116:
	v_add_co_u32 v1, s3, s16, v1
	v_mov_b32_e32 v3, 0
	v_add_co_ci_u32_e64 v2, null, s24, 0, s3
	v_mov_b32_e32 v4, 0
	s_and_not1_b32 vcc_lo, exec_lo, s26
	s_cbranch_vccnz .LBB227_120
; %bb.117:
	v_dual_mov_b32 v5, s20 :: v_dual_mov_b32 v6, s21
	s_mov_b32 s5, 0
	s_set_inst_prefetch_distance 0x1
	.p2align	6
.LBB227_118:                            ; =>This Inner Loop Header: Depth=1
	s_delay_alu instid0(VALU_DEP_1) | instskip(NEXT) | instid1(VALU_DEP_2)
	v_sub_co_u32 v9, vcc_lo, v5, v3
	v_sub_co_ci_u32_e32 v10, vcc_lo, v6, v4, vcc_lo
	s_delay_alu instid0(VALU_DEP_1) | instskip(SKIP_1) | instid1(VALU_DEP_2)
	v_lshrrev_b64 v[11:12], 1, v[9:10]
	v_lshrrev_b64 v[9:10], 6, v[9:10]
	v_add_co_u32 v11, vcc_lo, v11, v3
	s_delay_alu instid0(VALU_DEP_3) | instskip(NEXT) | instid1(VALU_DEP_2)
	v_add_co_ci_u32_e32 v12, vcc_lo, v12, v4, vcc_lo
	v_add_co_u32 v9, vcc_lo, v11, v9
	s_delay_alu instid0(VALU_DEP_2) | instskip(NEXT) | instid1(VALU_DEP_1)
	v_add_co_ci_u32_e32 v10, vcc_lo, v12, v10, vcc_lo
	v_lshlrev_b64 v[11:12], 3, v[9:10]
	s_delay_alu instid0(VALU_DEP_1) | instskip(NEXT) | instid1(VALU_DEP_2)
	v_add_co_u32 v11, vcc_lo, s18, v11
	v_add_co_ci_u32_e32 v12, vcc_lo, s19, v12, vcc_lo
	v_add_co_u32 v13, vcc_lo, v9, 1
	global_load_b64 v[11:12], v[11:12], off
	s_waitcnt vmcnt(0)
	v_cmp_lt_i64_e64 s3, v[11:12], v[1:2]
	v_add_co_ci_u32_e32 v11, vcc_lo, 0, v10, vcc_lo
	s_delay_alu instid0(VALU_DEP_2) | instskip(SKIP_1) | instid1(VALU_DEP_3)
	v_cndmask_b32_e64 v6, v10, v6, s3
	v_cndmask_b32_e64 v5, v9, v5, s3
	;; [unrolled: 1-line block ×4, first 2 shown]
	s_delay_alu instid0(VALU_DEP_1) | instskip(SKIP_1) | instid1(SALU_CYCLE_1)
	v_cmp_ge_u64_e32 vcc_lo, v[3:4], v[5:6]
	s_or_b32 s5, vcc_lo, s5
	s_and_not1_b32 exec_lo, exec_lo, s5
	s_cbranch_execnz .LBB227_118
; %bb.119:
	s_set_inst_prefetch_distance 0x2
	s_or_b32 exec_lo, exec_lo, s5
.LBB227_120:
	s_mov_b32 s5, 0
	s_mov_b32 s3, exec_lo
	v_cmpx_ne_u64_e64 s[20:21], v[3:4]
	s_cbranch_execz .LBB227_122
; %bb.121:
	v_lshlrev_b64 v[3:4], 3, v[3:4]
	s_delay_alu instid0(VALU_DEP_1) | instskip(NEXT) | instid1(VALU_DEP_2)
	v_add_co_u32 v3, vcc_lo, s18, v3
	v_add_co_ci_u32_e32 v4, vcc_lo, s19, v4, vcc_lo
	global_load_b64 v[3:4], v[3:4], off
	s_waitcnt vmcnt(0)
	v_cmp_le_i64_e32 vcc_lo, v[3:4], v[1:2]
	s_and_b32 s5, vcc_lo, exec_lo
.LBB227_122:
	s_or_b32 exec_lo, exec_lo, s3
	v_cndmask_b32_e64 v9, 0, 1, s5
.LBB227_123:
	s_or_b32 exec_lo, exec_lo, s4
	v_or_b32_e32 v1, 0xc0, v0
                                        ; implicit-def: $vgpr10
	s_delay_alu instid0(VALU_DEP_1) | instskip(NEXT) | instid1(VALU_DEP_1)
	v_cmp_gt_u32_e64 s3, s27, v1
	s_and_saveexec_b32 s5, s3
	s_cbranch_execz .LBB227_131
; %bb.124:
	v_add_co_u32 v1, s4, s16, v1
	v_mov_b32_e32 v3, 0
	v_add_co_ci_u32_e64 v2, null, s24, 0, s4
	v_mov_b32_e32 v4, 0
	s_and_not1_b32 vcc_lo, exec_lo, s26
	s_cbranch_vccnz .LBB227_128
; %bb.125:
	v_dual_mov_b32 v5, s20 :: v_dual_mov_b32 v6, s21
	s_mov_b32 s6, 0
	s_set_inst_prefetch_distance 0x1
	.p2align	6
.LBB227_126:                            ; =>This Inner Loop Header: Depth=1
	s_delay_alu instid0(VALU_DEP_1) | instskip(NEXT) | instid1(VALU_DEP_2)
	v_sub_co_u32 v10, vcc_lo, v5, v3
	v_sub_co_ci_u32_e32 v11, vcc_lo, v6, v4, vcc_lo
	s_delay_alu instid0(VALU_DEP_1) | instskip(SKIP_1) | instid1(VALU_DEP_2)
	v_lshrrev_b64 v[12:13], 1, v[10:11]
	v_lshrrev_b64 v[10:11], 6, v[10:11]
	v_add_co_u32 v12, vcc_lo, v12, v3
	s_delay_alu instid0(VALU_DEP_3) | instskip(NEXT) | instid1(VALU_DEP_2)
	v_add_co_ci_u32_e32 v13, vcc_lo, v13, v4, vcc_lo
	v_add_co_u32 v10, vcc_lo, v12, v10
	s_delay_alu instid0(VALU_DEP_2) | instskip(NEXT) | instid1(VALU_DEP_1)
	v_add_co_ci_u32_e32 v11, vcc_lo, v13, v11, vcc_lo
	v_lshlrev_b64 v[12:13], 3, v[10:11]
	s_delay_alu instid0(VALU_DEP_1) | instskip(NEXT) | instid1(VALU_DEP_2)
	v_add_co_u32 v12, vcc_lo, s18, v12
	v_add_co_ci_u32_e32 v13, vcc_lo, s19, v13, vcc_lo
	v_add_co_u32 v14, vcc_lo, v10, 1
	global_load_b64 v[12:13], v[12:13], off
	s_waitcnt vmcnt(0)
	v_cmp_lt_i64_e64 s4, v[12:13], v[1:2]
	v_add_co_ci_u32_e32 v12, vcc_lo, 0, v11, vcc_lo
	s_delay_alu instid0(VALU_DEP_2) | instskip(SKIP_1) | instid1(VALU_DEP_3)
	v_cndmask_b32_e64 v6, v11, v6, s4
	v_cndmask_b32_e64 v5, v10, v5, s4
	v_cndmask_b32_e64 v4, v4, v12, s4
	v_cndmask_b32_e64 v3, v3, v14, s4
	s_delay_alu instid0(VALU_DEP_1) | instskip(SKIP_1) | instid1(SALU_CYCLE_1)
	v_cmp_ge_u64_e32 vcc_lo, v[3:4], v[5:6]
	s_or_b32 s6, vcc_lo, s6
	s_and_not1_b32 exec_lo, exec_lo, s6
	s_cbranch_execnz .LBB227_126
; %bb.127:
	s_set_inst_prefetch_distance 0x2
	s_or_b32 exec_lo, exec_lo, s6
.LBB227_128:
	s_mov_b32 s6, 0
	s_mov_b32 s4, exec_lo
	v_cmpx_ne_u64_e64 s[20:21], v[3:4]
	s_cbranch_execz .LBB227_130
; %bb.129:
	v_lshlrev_b64 v[3:4], 3, v[3:4]
	s_delay_alu instid0(VALU_DEP_1) | instskip(NEXT) | instid1(VALU_DEP_2)
	v_add_co_u32 v3, vcc_lo, s18, v3
	v_add_co_ci_u32_e32 v4, vcc_lo, s19, v4, vcc_lo
	global_load_b64 v[3:4], v[3:4], off
	s_waitcnt vmcnt(0)
	v_cmp_le_i64_e32 vcc_lo, v[3:4], v[1:2]
	s_and_b32 s6, vcc_lo, exec_lo
.LBB227_130:
	s_or_b32 exec_lo, exec_lo, s4
	v_cndmask_b32_e64 v10, 0, 1, s6
.LBB227_131:
	s_or_b32 exec_lo, exec_lo, s5
	v_or_b32_e32 v1, 0x100, v0
                                        ; implicit-def: $vgpr11
	s_delay_alu instid0(VALU_DEP_1) | instskip(NEXT) | instid1(VALU_DEP_1)
	v_cmp_gt_u32_e64 s4, s27, v1
	s_and_saveexec_b32 s6, s4
	s_cbranch_execz .LBB227_139
; %bb.132:
	v_add_co_u32 v1, s5, s16, v1
	v_mov_b32_e32 v3, 0
	v_add_co_ci_u32_e64 v2, null, s24, 0, s5
	v_mov_b32_e32 v4, 0
	s_and_not1_b32 vcc_lo, exec_lo, s26
	s_cbranch_vccnz .LBB227_136
; %bb.133:
	v_dual_mov_b32 v5, s20 :: v_dual_mov_b32 v6, s21
	s_mov_b32 s7, 0
	s_set_inst_prefetch_distance 0x1
	.p2align	6
.LBB227_134:                            ; =>This Inner Loop Header: Depth=1
	s_delay_alu instid0(VALU_DEP_1) | instskip(NEXT) | instid1(VALU_DEP_2)
	v_sub_co_u32 v11, vcc_lo, v5, v3
	v_sub_co_ci_u32_e32 v12, vcc_lo, v6, v4, vcc_lo
	s_delay_alu instid0(VALU_DEP_1) | instskip(SKIP_1) | instid1(VALU_DEP_2)
	v_lshrrev_b64 v[13:14], 1, v[11:12]
	v_lshrrev_b64 v[11:12], 6, v[11:12]
	v_add_co_u32 v13, vcc_lo, v13, v3
	s_delay_alu instid0(VALU_DEP_3) | instskip(NEXT) | instid1(VALU_DEP_2)
	v_add_co_ci_u32_e32 v14, vcc_lo, v14, v4, vcc_lo
	v_add_co_u32 v11, vcc_lo, v13, v11
	s_delay_alu instid0(VALU_DEP_2) | instskip(NEXT) | instid1(VALU_DEP_1)
	v_add_co_ci_u32_e32 v12, vcc_lo, v14, v12, vcc_lo
	v_lshlrev_b64 v[13:14], 3, v[11:12]
	s_delay_alu instid0(VALU_DEP_1) | instskip(NEXT) | instid1(VALU_DEP_2)
	v_add_co_u32 v13, vcc_lo, s18, v13
	v_add_co_ci_u32_e32 v14, vcc_lo, s19, v14, vcc_lo
	v_add_co_u32 v15, vcc_lo, v11, 1
	global_load_b64 v[13:14], v[13:14], off
	s_waitcnt vmcnt(0)
	v_cmp_lt_i64_e64 s5, v[13:14], v[1:2]
	v_add_co_ci_u32_e32 v13, vcc_lo, 0, v12, vcc_lo
	s_delay_alu instid0(VALU_DEP_2) | instskip(SKIP_1) | instid1(VALU_DEP_3)
	v_cndmask_b32_e64 v6, v12, v6, s5
	v_cndmask_b32_e64 v5, v11, v5, s5
	;; [unrolled: 1-line block ×4, first 2 shown]
	s_delay_alu instid0(VALU_DEP_1) | instskip(SKIP_1) | instid1(SALU_CYCLE_1)
	v_cmp_ge_u64_e32 vcc_lo, v[3:4], v[5:6]
	s_or_b32 s7, vcc_lo, s7
	s_and_not1_b32 exec_lo, exec_lo, s7
	s_cbranch_execnz .LBB227_134
; %bb.135:
	s_set_inst_prefetch_distance 0x2
	s_or_b32 exec_lo, exec_lo, s7
.LBB227_136:
	s_mov_b32 s7, 0
	s_mov_b32 s5, exec_lo
	v_cmpx_ne_u64_e64 s[20:21], v[3:4]
	s_cbranch_execz .LBB227_138
; %bb.137:
	v_lshlrev_b64 v[3:4], 3, v[3:4]
	s_delay_alu instid0(VALU_DEP_1) | instskip(NEXT) | instid1(VALU_DEP_2)
	v_add_co_u32 v3, vcc_lo, s18, v3
	v_add_co_ci_u32_e32 v4, vcc_lo, s19, v4, vcc_lo
	global_load_b64 v[3:4], v[3:4], off
	s_waitcnt vmcnt(0)
	v_cmp_le_i64_e32 vcc_lo, v[3:4], v[1:2]
	s_and_b32 s7, vcc_lo, exec_lo
.LBB227_138:
	s_or_b32 exec_lo, exec_lo, s5
	v_cndmask_b32_e64 v11, 0, 1, s7
.LBB227_139:
	s_or_b32 exec_lo, exec_lo, s6
	v_or_b32_e32 v1, 0x140, v0
                                        ; implicit-def: $vgpr12
	s_delay_alu instid0(VALU_DEP_1) | instskip(NEXT) | instid1(VALU_DEP_1)
	v_cmp_gt_u32_e64 s5, s27, v1
	s_and_saveexec_b32 s7, s5
	s_cbranch_execz .LBB227_147
; %bb.140:
	v_add_co_u32 v1, s6, s16, v1
	v_mov_b32_e32 v3, 0
	v_add_co_ci_u32_e64 v2, null, s24, 0, s6
	v_mov_b32_e32 v4, 0
	s_and_not1_b32 vcc_lo, exec_lo, s26
	s_cbranch_vccnz .LBB227_144
; %bb.141:
	v_dual_mov_b32 v5, s20 :: v_dual_mov_b32 v6, s21
	s_mov_b32 s8, 0
	s_set_inst_prefetch_distance 0x1
	.p2align	6
.LBB227_142:                            ; =>This Inner Loop Header: Depth=1
	s_delay_alu instid0(VALU_DEP_1) | instskip(NEXT) | instid1(VALU_DEP_2)
	v_sub_co_u32 v12, vcc_lo, v5, v3
	v_sub_co_ci_u32_e32 v13, vcc_lo, v6, v4, vcc_lo
	s_delay_alu instid0(VALU_DEP_1) | instskip(SKIP_1) | instid1(VALU_DEP_2)
	v_lshrrev_b64 v[14:15], 1, v[12:13]
	v_lshrrev_b64 v[12:13], 6, v[12:13]
	v_add_co_u32 v14, vcc_lo, v14, v3
	s_delay_alu instid0(VALU_DEP_3) | instskip(NEXT) | instid1(VALU_DEP_2)
	v_add_co_ci_u32_e32 v15, vcc_lo, v15, v4, vcc_lo
	v_add_co_u32 v12, vcc_lo, v14, v12
	s_delay_alu instid0(VALU_DEP_2) | instskip(NEXT) | instid1(VALU_DEP_1)
	v_add_co_ci_u32_e32 v13, vcc_lo, v15, v13, vcc_lo
	v_lshlrev_b64 v[14:15], 3, v[12:13]
	s_delay_alu instid0(VALU_DEP_1) | instskip(NEXT) | instid1(VALU_DEP_2)
	v_add_co_u32 v14, vcc_lo, s18, v14
	v_add_co_ci_u32_e32 v15, vcc_lo, s19, v15, vcc_lo
	v_add_co_u32 v16, vcc_lo, v12, 1
	global_load_b64 v[14:15], v[14:15], off
	s_waitcnt vmcnt(0)
	v_cmp_lt_i64_e64 s6, v[14:15], v[1:2]
	v_add_co_ci_u32_e32 v14, vcc_lo, 0, v13, vcc_lo
	s_delay_alu instid0(VALU_DEP_2) | instskip(SKIP_1) | instid1(VALU_DEP_3)
	v_cndmask_b32_e64 v6, v13, v6, s6
	v_cndmask_b32_e64 v5, v12, v5, s6
	;; [unrolled: 1-line block ×4, first 2 shown]
	s_delay_alu instid0(VALU_DEP_1) | instskip(SKIP_1) | instid1(SALU_CYCLE_1)
	v_cmp_ge_u64_e32 vcc_lo, v[3:4], v[5:6]
	s_or_b32 s8, vcc_lo, s8
	s_and_not1_b32 exec_lo, exec_lo, s8
	s_cbranch_execnz .LBB227_142
; %bb.143:
	s_set_inst_prefetch_distance 0x2
	s_or_b32 exec_lo, exec_lo, s8
.LBB227_144:
	s_mov_b32 s8, 0
	s_mov_b32 s6, exec_lo
	v_cmpx_ne_u64_e64 s[20:21], v[3:4]
	s_cbranch_execz .LBB227_146
; %bb.145:
	v_lshlrev_b64 v[3:4], 3, v[3:4]
	s_delay_alu instid0(VALU_DEP_1) | instskip(NEXT) | instid1(VALU_DEP_2)
	v_add_co_u32 v3, vcc_lo, s18, v3
	v_add_co_ci_u32_e32 v4, vcc_lo, s19, v4, vcc_lo
	global_load_b64 v[3:4], v[3:4], off
	s_waitcnt vmcnt(0)
	v_cmp_le_i64_e32 vcc_lo, v[3:4], v[1:2]
	s_and_b32 s8, vcc_lo, exec_lo
.LBB227_146:
	s_or_b32 exec_lo, exec_lo, s6
	v_cndmask_b32_e64 v12, 0, 1, s8
.LBB227_147:
	s_or_b32 exec_lo, exec_lo, s7
	v_or_b32_e32 v1, 0x180, v0
                                        ; implicit-def: $vgpr13
	s_delay_alu instid0(VALU_DEP_1) | instskip(NEXT) | instid1(VALU_DEP_1)
	v_cmp_gt_u32_e64 s6, s27, v1
	s_and_saveexec_b32 s8, s6
	s_cbranch_execz .LBB227_155
; %bb.148:
	v_add_co_u32 v1, s7, s16, v1
	v_mov_b32_e32 v3, 0
	v_add_co_ci_u32_e64 v2, null, s24, 0, s7
	v_mov_b32_e32 v4, 0
	s_and_not1_b32 vcc_lo, exec_lo, s26
	s_cbranch_vccnz .LBB227_152
; %bb.149:
	v_dual_mov_b32 v5, s20 :: v_dual_mov_b32 v6, s21
	s_mov_b32 s9, 0
	s_set_inst_prefetch_distance 0x1
	.p2align	6
.LBB227_150:                            ; =>This Inner Loop Header: Depth=1
	s_delay_alu instid0(VALU_DEP_1) | instskip(NEXT) | instid1(VALU_DEP_2)
	v_sub_co_u32 v13, vcc_lo, v5, v3
	v_sub_co_ci_u32_e32 v14, vcc_lo, v6, v4, vcc_lo
	s_delay_alu instid0(VALU_DEP_1) | instskip(SKIP_1) | instid1(VALU_DEP_2)
	v_lshrrev_b64 v[15:16], 1, v[13:14]
	v_lshrrev_b64 v[13:14], 6, v[13:14]
	v_add_co_u32 v15, vcc_lo, v15, v3
	s_delay_alu instid0(VALU_DEP_3) | instskip(NEXT) | instid1(VALU_DEP_2)
	v_add_co_ci_u32_e32 v16, vcc_lo, v16, v4, vcc_lo
	v_add_co_u32 v13, vcc_lo, v15, v13
	s_delay_alu instid0(VALU_DEP_2) | instskip(NEXT) | instid1(VALU_DEP_1)
	v_add_co_ci_u32_e32 v14, vcc_lo, v16, v14, vcc_lo
	v_lshlrev_b64 v[15:16], 3, v[13:14]
	s_delay_alu instid0(VALU_DEP_1) | instskip(NEXT) | instid1(VALU_DEP_2)
	v_add_co_u32 v15, vcc_lo, s18, v15
	v_add_co_ci_u32_e32 v16, vcc_lo, s19, v16, vcc_lo
	v_add_co_u32 v17, vcc_lo, v13, 1
	global_load_b64 v[15:16], v[15:16], off
	s_waitcnt vmcnt(0)
	v_cmp_lt_i64_e64 s7, v[15:16], v[1:2]
	v_add_co_ci_u32_e32 v15, vcc_lo, 0, v14, vcc_lo
	s_delay_alu instid0(VALU_DEP_2) | instskip(SKIP_1) | instid1(VALU_DEP_3)
	v_cndmask_b32_e64 v6, v14, v6, s7
	v_cndmask_b32_e64 v5, v13, v5, s7
	;; [unrolled: 1-line block ×4, first 2 shown]
	s_delay_alu instid0(VALU_DEP_1) | instskip(SKIP_1) | instid1(SALU_CYCLE_1)
	v_cmp_ge_u64_e32 vcc_lo, v[3:4], v[5:6]
	s_or_b32 s9, vcc_lo, s9
	s_and_not1_b32 exec_lo, exec_lo, s9
	s_cbranch_execnz .LBB227_150
; %bb.151:
	s_set_inst_prefetch_distance 0x2
	s_or_b32 exec_lo, exec_lo, s9
.LBB227_152:
	s_mov_b32 s9, 0
	s_mov_b32 s7, exec_lo
	v_cmpx_ne_u64_e64 s[20:21], v[3:4]
	s_cbranch_execz .LBB227_154
; %bb.153:
	v_lshlrev_b64 v[3:4], 3, v[3:4]
	s_delay_alu instid0(VALU_DEP_1) | instskip(NEXT) | instid1(VALU_DEP_2)
	v_add_co_u32 v3, vcc_lo, s18, v3
	v_add_co_ci_u32_e32 v4, vcc_lo, s19, v4, vcc_lo
	global_load_b64 v[3:4], v[3:4], off
	s_waitcnt vmcnt(0)
	v_cmp_le_i64_e32 vcc_lo, v[3:4], v[1:2]
	s_and_b32 s9, vcc_lo, exec_lo
.LBB227_154:
	s_or_b32 exec_lo, exec_lo, s7
	v_cndmask_b32_e64 v13, 0, 1, s9
.LBB227_155:
	s_or_b32 exec_lo, exec_lo, s8
	v_or_b32_e32 v1, 0x1c0, v0
                                        ; implicit-def: $vgpr14
	s_delay_alu instid0(VALU_DEP_1) | instskip(NEXT) | instid1(VALU_DEP_1)
	v_cmp_gt_u32_e64 s7, s27, v1
	s_and_saveexec_b32 s9, s7
	s_cbranch_execz .LBB227_163
; %bb.156:
	v_add_co_u32 v1, s8, s16, v1
	v_mov_b32_e32 v3, 0
	v_add_co_ci_u32_e64 v2, null, s24, 0, s8
	v_mov_b32_e32 v4, 0
	s_and_not1_b32 vcc_lo, exec_lo, s26
	s_cbranch_vccnz .LBB227_160
; %bb.157:
	v_dual_mov_b32 v5, s20 :: v_dual_mov_b32 v6, s21
	s_mov_b32 s10, 0
	s_set_inst_prefetch_distance 0x1
	.p2align	6
.LBB227_158:                            ; =>This Inner Loop Header: Depth=1
	s_delay_alu instid0(VALU_DEP_1) | instskip(NEXT) | instid1(VALU_DEP_2)
	v_sub_co_u32 v14, vcc_lo, v5, v3
	v_sub_co_ci_u32_e32 v15, vcc_lo, v6, v4, vcc_lo
	s_delay_alu instid0(VALU_DEP_1) | instskip(SKIP_1) | instid1(VALU_DEP_2)
	v_lshrrev_b64 v[16:17], 1, v[14:15]
	v_lshrrev_b64 v[14:15], 6, v[14:15]
	v_add_co_u32 v16, vcc_lo, v16, v3
	s_delay_alu instid0(VALU_DEP_3) | instskip(NEXT) | instid1(VALU_DEP_2)
	v_add_co_ci_u32_e32 v17, vcc_lo, v17, v4, vcc_lo
	v_add_co_u32 v14, vcc_lo, v16, v14
	s_delay_alu instid0(VALU_DEP_2) | instskip(NEXT) | instid1(VALU_DEP_1)
	v_add_co_ci_u32_e32 v15, vcc_lo, v17, v15, vcc_lo
	v_lshlrev_b64 v[16:17], 3, v[14:15]
	s_delay_alu instid0(VALU_DEP_1) | instskip(NEXT) | instid1(VALU_DEP_2)
	v_add_co_u32 v16, vcc_lo, s18, v16
	v_add_co_ci_u32_e32 v17, vcc_lo, s19, v17, vcc_lo
	v_add_co_u32 v18, vcc_lo, v14, 1
	global_load_b64 v[16:17], v[16:17], off
	s_waitcnt vmcnt(0)
	v_cmp_lt_i64_e64 s8, v[16:17], v[1:2]
	v_add_co_ci_u32_e32 v16, vcc_lo, 0, v15, vcc_lo
	s_delay_alu instid0(VALU_DEP_2) | instskip(SKIP_1) | instid1(VALU_DEP_3)
	v_cndmask_b32_e64 v6, v15, v6, s8
	v_cndmask_b32_e64 v5, v14, v5, s8
	;; [unrolled: 1-line block ×4, first 2 shown]
	s_delay_alu instid0(VALU_DEP_1) | instskip(SKIP_1) | instid1(SALU_CYCLE_1)
	v_cmp_ge_u64_e32 vcc_lo, v[3:4], v[5:6]
	s_or_b32 s10, vcc_lo, s10
	s_and_not1_b32 exec_lo, exec_lo, s10
	s_cbranch_execnz .LBB227_158
; %bb.159:
	s_set_inst_prefetch_distance 0x2
	s_or_b32 exec_lo, exec_lo, s10
.LBB227_160:
	s_mov_b32 s10, 0
	s_mov_b32 s8, exec_lo
	v_cmpx_ne_u64_e64 s[20:21], v[3:4]
	s_cbranch_execz .LBB227_162
; %bb.161:
	v_lshlrev_b64 v[3:4], 3, v[3:4]
	s_delay_alu instid0(VALU_DEP_1) | instskip(NEXT) | instid1(VALU_DEP_2)
	v_add_co_u32 v3, vcc_lo, s18, v3
	v_add_co_ci_u32_e32 v4, vcc_lo, s19, v4, vcc_lo
	global_load_b64 v[3:4], v[3:4], off
	s_waitcnt vmcnt(0)
	v_cmp_le_i64_e32 vcc_lo, v[3:4], v[1:2]
	s_and_b32 s10, vcc_lo, exec_lo
.LBB227_162:
	s_or_b32 exec_lo, exec_lo, s8
	v_cndmask_b32_e64 v14, 0, 1, s10
.LBB227_163:
	s_or_b32 exec_lo, exec_lo, s9
	v_or_b32_e32 v1, 0x200, v0
                                        ; implicit-def: $vgpr15
	s_delay_alu instid0(VALU_DEP_1) | instskip(NEXT) | instid1(VALU_DEP_1)
	v_cmp_gt_u32_e64 s8, s27, v1
	s_and_saveexec_b32 s10, s8
	s_cbranch_execz .LBB227_171
; %bb.164:
	v_add_co_u32 v1, s9, s16, v1
	v_mov_b32_e32 v3, 0
	v_add_co_ci_u32_e64 v2, null, s24, 0, s9
	v_mov_b32_e32 v4, 0
	s_and_not1_b32 vcc_lo, exec_lo, s26
	s_cbranch_vccnz .LBB227_168
; %bb.165:
	v_dual_mov_b32 v5, s20 :: v_dual_mov_b32 v6, s21
	s_mov_b32 s11, 0
	s_set_inst_prefetch_distance 0x1
	.p2align	6
.LBB227_166:                            ; =>This Inner Loop Header: Depth=1
	s_delay_alu instid0(VALU_DEP_1) | instskip(NEXT) | instid1(VALU_DEP_2)
	v_sub_co_u32 v15, vcc_lo, v5, v3
	v_sub_co_ci_u32_e32 v16, vcc_lo, v6, v4, vcc_lo
	s_delay_alu instid0(VALU_DEP_1) | instskip(SKIP_1) | instid1(VALU_DEP_2)
	v_lshrrev_b64 v[17:18], 1, v[15:16]
	v_lshrrev_b64 v[15:16], 6, v[15:16]
	v_add_co_u32 v17, vcc_lo, v17, v3
	s_delay_alu instid0(VALU_DEP_3) | instskip(NEXT) | instid1(VALU_DEP_2)
	v_add_co_ci_u32_e32 v18, vcc_lo, v18, v4, vcc_lo
	v_add_co_u32 v15, vcc_lo, v17, v15
	s_delay_alu instid0(VALU_DEP_2) | instskip(NEXT) | instid1(VALU_DEP_1)
	v_add_co_ci_u32_e32 v16, vcc_lo, v18, v16, vcc_lo
	v_lshlrev_b64 v[17:18], 3, v[15:16]
	s_delay_alu instid0(VALU_DEP_1) | instskip(NEXT) | instid1(VALU_DEP_2)
	v_add_co_u32 v17, vcc_lo, s18, v17
	v_add_co_ci_u32_e32 v18, vcc_lo, s19, v18, vcc_lo
	v_add_co_u32 v19, vcc_lo, v15, 1
	global_load_b64 v[17:18], v[17:18], off
	s_waitcnt vmcnt(0)
	v_cmp_lt_i64_e64 s9, v[17:18], v[1:2]
	v_add_co_ci_u32_e32 v17, vcc_lo, 0, v16, vcc_lo
	s_delay_alu instid0(VALU_DEP_2) | instskip(SKIP_1) | instid1(VALU_DEP_3)
	v_cndmask_b32_e64 v6, v16, v6, s9
	v_cndmask_b32_e64 v5, v15, v5, s9
	;; [unrolled: 1-line block ×4, first 2 shown]
	s_delay_alu instid0(VALU_DEP_1) | instskip(SKIP_1) | instid1(SALU_CYCLE_1)
	v_cmp_ge_u64_e32 vcc_lo, v[3:4], v[5:6]
	s_or_b32 s11, vcc_lo, s11
	s_and_not1_b32 exec_lo, exec_lo, s11
	s_cbranch_execnz .LBB227_166
; %bb.167:
	s_set_inst_prefetch_distance 0x2
	s_or_b32 exec_lo, exec_lo, s11
.LBB227_168:
	s_mov_b32 s11, 0
	s_mov_b32 s9, exec_lo
	v_cmpx_ne_u64_e64 s[20:21], v[3:4]
	s_cbranch_execz .LBB227_170
; %bb.169:
	v_lshlrev_b64 v[3:4], 3, v[3:4]
	s_delay_alu instid0(VALU_DEP_1) | instskip(NEXT) | instid1(VALU_DEP_2)
	v_add_co_u32 v3, vcc_lo, s18, v3
	v_add_co_ci_u32_e32 v4, vcc_lo, s19, v4, vcc_lo
	global_load_b64 v[3:4], v[3:4], off
	s_waitcnt vmcnt(0)
	v_cmp_le_i64_e32 vcc_lo, v[3:4], v[1:2]
	s_and_b32 s11, vcc_lo, exec_lo
.LBB227_170:
	s_or_b32 exec_lo, exec_lo, s9
	v_cndmask_b32_e64 v15, 0, 1, s11
.LBB227_171:
	s_or_b32 exec_lo, exec_lo, s10
	v_or_b32_e32 v1, 0x240, v0
                                        ; implicit-def: $vgpr16
	s_delay_alu instid0(VALU_DEP_1) | instskip(NEXT) | instid1(VALU_DEP_1)
	v_cmp_gt_u32_e64 s9, s27, v1
	s_and_saveexec_b32 s11, s9
	s_cbranch_execz .LBB227_179
; %bb.172:
	v_add_co_u32 v1, s10, s16, v1
	v_mov_b32_e32 v3, 0
	v_add_co_ci_u32_e64 v2, null, s24, 0, s10
	v_mov_b32_e32 v4, 0
	s_and_not1_b32 vcc_lo, exec_lo, s26
	s_cbranch_vccnz .LBB227_176
; %bb.173:
	v_dual_mov_b32 v5, s20 :: v_dual_mov_b32 v6, s21
	s_mov_b32 s12, 0
	s_set_inst_prefetch_distance 0x1
	.p2align	6
.LBB227_174:                            ; =>This Inner Loop Header: Depth=1
	s_delay_alu instid0(VALU_DEP_1) | instskip(NEXT) | instid1(VALU_DEP_2)
	v_sub_co_u32 v16, vcc_lo, v5, v3
	v_sub_co_ci_u32_e32 v17, vcc_lo, v6, v4, vcc_lo
	s_delay_alu instid0(VALU_DEP_1) | instskip(SKIP_1) | instid1(VALU_DEP_2)
	v_lshrrev_b64 v[18:19], 1, v[16:17]
	v_lshrrev_b64 v[16:17], 6, v[16:17]
	v_add_co_u32 v18, vcc_lo, v18, v3
	s_delay_alu instid0(VALU_DEP_3) | instskip(NEXT) | instid1(VALU_DEP_2)
	v_add_co_ci_u32_e32 v19, vcc_lo, v19, v4, vcc_lo
	v_add_co_u32 v16, vcc_lo, v18, v16
	s_delay_alu instid0(VALU_DEP_2) | instskip(NEXT) | instid1(VALU_DEP_1)
	v_add_co_ci_u32_e32 v17, vcc_lo, v19, v17, vcc_lo
	v_lshlrev_b64 v[18:19], 3, v[16:17]
	s_delay_alu instid0(VALU_DEP_1) | instskip(NEXT) | instid1(VALU_DEP_2)
	v_add_co_u32 v18, vcc_lo, s18, v18
	v_add_co_ci_u32_e32 v19, vcc_lo, s19, v19, vcc_lo
	v_add_co_u32 v20, vcc_lo, v16, 1
	global_load_b64 v[18:19], v[18:19], off
	s_waitcnt vmcnt(0)
	v_cmp_lt_i64_e64 s10, v[18:19], v[1:2]
	v_add_co_ci_u32_e32 v18, vcc_lo, 0, v17, vcc_lo
	s_delay_alu instid0(VALU_DEP_2) | instskip(SKIP_1) | instid1(VALU_DEP_3)
	v_cndmask_b32_e64 v6, v17, v6, s10
	v_cndmask_b32_e64 v5, v16, v5, s10
	;; [unrolled: 1-line block ×4, first 2 shown]
	s_delay_alu instid0(VALU_DEP_1) | instskip(SKIP_1) | instid1(SALU_CYCLE_1)
	v_cmp_ge_u64_e32 vcc_lo, v[3:4], v[5:6]
	s_or_b32 s12, vcc_lo, s12
	s_and_not1_b32 exec_lo, exec_lo, s12
	s_cbranch_execnz .LBB227_174
; %bb.175:
	s_set_inst_prefetch_distance 0x2
	s_or_b32 exec_lo, exec_lo, s12
.LBB227_176:
	s_mov_b32 s12, 0
	s_mov_b32 s10, exec_lo
	v_cmpx_ne_u64_e64 s[20:21], v[3:4]
	s_cbranch_execz .LBB227_178
; %bb.177:
	v_lshlrev_b64 v[3:4], 3, v[3:4]
	s_delay_alu instid0(VALU_DEP_1) | instskip(NEXT) | instid1(VALU_DEP_2)
	v_add_co_u32 v3, vcc_lo, s18, v3
	v_add_co_ci_u32_e32 v4, vcc_lo, s19, v4, vcc_lo
	global_load_b64 v[3:4], v[3:4], off
	s_waitcnt vmcnt(0)
	v_cmp_le_i64_e32 vcc_lo, v[3:4], v[1:2]
	s_and_b32 s12, vcc_lo, exec_lo
.LBB227_178:
	s_or_b32 exec_lo, exec_lo, s10
	v_cndmask_b32_e64 v16, 0, 1, s12
.LBB227_179:
	s_or_b32 exec_lo, exec_lo, s11
	v_or_b32_e32 v1, 0x280, v0
                                        ; implicit-def: $vgpr17
	s_delay_alu instid0(VALU_DEP_1) | instskip(NEXT) | instid1(VALU_DEP_1)
	v_cmp_gt_u32_e64 s10, s27, v1
	s_and_saveexec_b32 s12, s10
	s_cbranch_execz .LBB227_187
; %bb.180:
	v_add_co_u32 v1, s11, s16, v1
	v_mov_b32_e32 v3, 0
	v_add_co_ci_u32_e64 v2, null, s24, 0, s11
	v_mov_b32_e32 v4, 0
	s_and_not1_b32 vcc_lo, exec_lo, s26
	s_cbranch_vccnz .LBB227_184
; %bb.181:
	v_dual_mov_b32 v5, s20 :: v_dual_mov_b32 v6, s21
	s_mov_b32 s13, 0
	s_set_inst_prefetch_distance 0x1
	.p2align	6
.LBB227_182:                            ; =>This Inner Loop Header: Depth=1
	s_delay_alu instid0(VALU_DEP_1) | instskip(NEXT) | instid1(VALU_DEP_2)
	v_sub_co_u32 v17, vcc_lo, v5, v3
	v_sub_co_ci_u32_e32 v18, vcc_lo, v6, v4, vcc_lo
	s_delay_alu instid0(VALU_DEP_1) | instskip(SKIP_1) | instid1(VALU_DEP_2)
	v_lshrrev_b64 v[19:20], 1, v[17:18]
	v_lshrrev_b64 v[17:18], 6, v[17:18]
	v_add_co_u32 v19, vcc_lo, v19, v3
	s_delay_alu instid0(VALU_DEP_3) | instskip(NEXT) | instid1(VALU_DEP_2)
	v_add_co_ci_u32_e32 v20, vcc_lo, v20, v4, vcc_lo
	v_add_co_u32 v17, vcc_lo, v19, v17
	s_delay_alu instid0(VALU_DEP_2) | instskip(NEXT) | instid1(VALU_DEP_1)
	v_add_co_ci_u32_e32 v18, vcc_lo, v20, v18, vcc_lo
	v_lshlrev_b64 v[19:20], 3, v[17:18]
	s_delay_alu instid0(VALU_DEP_1) | instskip(NEXT) | instid1(VALU_DEP_2)
	v_add_co_u32 v19, vcc_lo, s18, v19
	v_add_co_ci_u32_e32 v20, vcc_lo, s19, v20, vcc_lo
	v_add_co_u32 v21, vcc_lo, v17, 1
	global_load_b64 v[19:20], v[19:20], off
	s_waitcnt vmcnt(0)
	v_cmp_lt_i64_e64 s11, v[19:20], v[1:2]
	v_add_co_ci_u32_e32 v19, vcc_lo, 0, v18, vcc_lo
	s_delay_alu instid0(VALU_DEP_2) | instskip(SKIP_1) | instid1(VALU_DEP_3)
	v_cndmask_b32_e64 v6, v18, v6, s11
	v_cndmask_b32_e64 v5, v17, v5, s11
	;; [unrolled: 1-line block ×4, first 2 shown]
	s_delay_alu instid0(VALU_DEP_1) | instskip(SKIP_1) | instid1(SALU_CYCLE_1)
	v_cmp_ge_u64_e32 vcc_lo, v[3:4], v[5:6]
	s_or_b32 s13, vcc_lo, s13
	s_and_not1_b32 exec_lo, exec_lo, s13
	s_cbranch_execnz .LBB227_182
; %bb.183:
	s_set_inst_prefetch_distance 0x2
	s_or_b32 exec_lo, exec_lo, s13
.LBB227_184:
	s_mov_b32 s13, 0
	s_mov_b32 s11, exec_lo
	v_cmpx_ne_u64_e64 s[20:21], v[3:4]
	s_cbranch_execz .LBB227_186
; %bb.185:
	v_lshlrev_b64 v[3:4], 3, v[3:4]
	s_delay_alu instid0(VALU_DEP_1) | instskip(NEXT) | instid1(VALU_DEP_2)
	v_add_co_u32 v3, vcc_lo, s18, v3
	v_add_co_ci_u32_e32 v4, vcc_lo, s19, v4, vcc_lo
	global_load_b64 v[3:4], v[3:4], off
	s_waitcnt vmcnt(0)
	v_cmp_le_i64_e32 vcc_lo, v[3:4], v[1:2]
	s_and_b32 s13, vcc_lo, exec_lo
.LBB227_186:
	s_or_b32 exec_lo, exec_lo, s11
	v_cndmask_b32_e64 v17, 0, 1, s13
.LBB227_187:
	s_or_b32 exec_lo, exec_lo, s12
	v_or_b32_e32 v1, 0x2c0, v0
                                        ; implicit-def: $vgpr18
	s_delay_alu instid0(VALU_DEP_1) | instskip(NEXT) | instid1(VALU_DEP_1)
	v_cmp_gt_u32_e64 s11, s27, v1
	s_and_saveexec_b32 s13, s11
	s_cbranch_execz .LBB227_195
; %bb.188:
	v_add_co_u32 v1, s12, s16, v1
	v_mov_b32_e32 v3, 0
	v_add_co_ci_u32_e64 v2, null, s24, 0, s12
	v_mov_b32_e32 v4, 0
	s_and_not1_b32 vcc_lo, exec_lo, s26
	s_cbranch_vccnz .LBB227_192
; %bb.189:
	v_dual_mov_b32 v5, s20 :: v_dual_mov_b32 v6, s21
	s_mov_b32 s14, 0
	s_set_inst_prefetch_distance 0x1
	.p2align	6
.LBB227_190:                            ; =>This Inner Loop Header: Depth=1
	s_delay_alu instid0(VALU_DEP_1) | instskip(NEXT) | instid1(VALU_DEP_2)
	v_sub_co_u32 v18, vcc_lo, v5, v3
	v_sub_co_ci_u32_e32 v19, vcc_lo, v6, v4, vcc_lo
	s_delay_alu instid0(VALU_DEP_1) | instskip(SKIP_1) | instid1(VALU_DEP_2)
	v_lshrrev_b64 v[20:21], 1, v[18:19]
	v_lshrrev_b64 v[18:19], 6, v[18:19]
	v_add_co_u32 v20, vcc_lo, v20, v3
	s_delay_alu instid0(VALU_DEP_3) | instskip(NEXT) | instid1(VALU_DEP_2)
	v_add_co_ci_u32_e32 v21, vcc_lo, v21, v4, vcc_lo
	v_add_co_u32 v18, vcc_lo, v20, v18
	s_delay_alu instid0(VALU_DEP_2) | instskip(NEXT) | instid1(VALU_DEP_1)
	v_add_co_ci_u32_e32 v19, vcc_lo, v21, v19, vcc_lo
	v_lshlrev_b64 v[20:21], 3, v[18:19]
	s_delay_alu instid0(VALU_DEP_1) | instskip(NEXT) | instid1(VALU_DEP_2)
	v_add_co_u32 v20, vcc_lo, s18, v20
	v_add_co_ci_u32_e32 v21, vcc_lo, s19, v21, vcc_lo
	v_add_co_u32 v22, vcc_lo, v18, 1
	global_load_b64 v[20:21], v[20:21], off
	s_waitcnt vmcnt(0)
	v_cmp_lt_i64_e64 s12, v[20:21], v[1:2]
	v_add_co_ci_u32_e32 v20, vcc_lo, 0, v19, vcc_lo
	s_delay_alu instid0(VALU_DEP_2) | instskip(SKIP_1) | instid1(VALU_DEP_3)
	v_cndmask_b32_e64 v6, v19, v6, s12
	v_cndmask_b32_e64 v5, v18, v5, s12
	;; [unrolled: 1-line block ×4, first 2 shown]
	s_delay_alu instid0(VALU_DEP_1) | instskip(SKIP_1) | instid1(SALU_CYCLE_1)
	v_cmp_ge_u64_e32 vcc_lo, v[3:4], v[5:6]
	s_or_b32 s14, vcc_lo, s14
	s_and_not1_b32 exec_lo, exec_lo, s14
	s_cbranch_execnz .LBB227_190
; %bb.191:
	s_set_inst_prefetch_distance 0x2
	s_or_b32 exec_lo, exec_lo, s14
.LBB227_192:
	s_mov_b32 s14, 0
	s_mov_b32 s12, exec_lo
	v_cmpx_ne_u64_e64 s[20:21], v[3:4]
	s_cbranch_execz .LBB227_194
; %bb.193:
	v_lshlrev_b64 v[3:4], 3, v[3:4]
	s_delay_alu instid0(VALU_DEP_1) | instskip(NEXT) | instid1(VALU_DEP_2)
	v_add_co_u32 v3, vcc_lo, s18, v3
	v_add_co_ci_u32_e32 v4, vcc_lo, s19, v4, vcc_lo
	global_load_b64 v[3:4], v[3:4], off
	s_waitcnt vmcnt(0)
	v_cmp_le_i64_e32 vcc_lo, v[3:4], v[1:2]
	s_and_b32 s14, vcc_lo, exec_lo
.LBB227_194:
	s_or_b32 exec_lo, exec_lo, s12
	v_cndmask_b32_e64 v18, 0, 1, s14
.LBB227_195:
	s_or_b32 exec_lo, exec_lo, s13
	v_or_b32_e32 v1, 0x300, v0
                                        ; implicit-def: $vgpr19
	s_delay_alu instid0(VALU_DEP_1) | instskip(NEXT) | instid1(VALU_DEP_1)
	v_cmp_gt_u32_e64 s12, s27, v1
	s_and_saveexec_b32 s14, s12
	s_cbranch_execz .LBB227_203
; %bb.196:
	v_add_co_u32 v1, s13, s16, v1
	v_mov_b32_e32 v3, 0
	v_add_co_ci_u32_e64 v2, null, s24, 0, s13
	v_mov_b32_e32 v4, 0
	s_and_not1_b32 vcc_lo, exec_lo, s26
	s_cbranch_vccnz .LBB227_200
; %bb.197:
	v_dual_mov_b32 v5, s20 :: v_dual_mov_b32 v6, s21
	s_mov_b32 s15, 0
	s_set_inst_prefetch_distance 0x1
	.p2align	6
.LBB227_198:                            ; =>This Inner Loop Header: Depth=1
	s_delay_alu instid0(VALU_DEP_1) | instskip(NEXT) | instid1(VALU_DEP_2)
	v_sub_co_u32 v19, vcc_lo, v5, v3
	v_sub_co_ci_u32_e32 v20, vcc_lo, v6, v4, vcc_lo
	s_delay_alu instid0(VALU_DEP_1) | instskip(SKIP_1) | instid1(VALU_DEP_2)
	v_lshrrev_b64 v[21:22], 1, v[19:20]
	v_lshrrev_b64 v[19:20], 6, v[19:20]
	v_add_co_u32 v21, vcc_lo, v21, v3
	s_delay_alu instid0(VALU_DEP_3) | instskip(NEXT) | instid1(VALU_DEP_2)
	v_add_co_ci_u32_e32 v22, vcc_lo, v22, v4, vcc_lo
	v_add_co_u32 v19, vcc_lo, v21, v19
	s_delay_alu instid0(VALU_DEP_2) | instskip(NEXT) | instid1(VALU_DEP_1)
	v_add_co_ci_u32_e32 v20, vcc_lo, v22, v20, vcc_lo
	v_lshlrev_b64 v[21:22], 3, v[19:20]
	s_delay_alu instid0(VALU_DEP_1) | instskip(NEXT) | instid1(VALU_DEP_2)
	v_add_co_u32 v21, vcc_lo, s18, v21
	v_add_co_ci_u32_e32 v22, vcc_lo, s19, v22, vcc_lo
	v_add_co_u32 v23, vcc_lo, v19, 1
	global_load_b64 v[21:22], v[21:22], off
	s_waitcnt vmcnt(0)
	v_cmp_lt_i64_e64 s13, v[21:22], v[1:2]
	v_add_co_ci_u32_e32 v21, vcc_lo, 0, v20, vcc_lo
	s_delay_alu instid0(VALU_DEP_2) | instskip(SKIP_1) | instid1(VALU_DEP_3)
	v_cndmask_b32_e64 v6, v20, v6, s13
	v_cndmask_b32_e64 v5, v19, v5, s13
	;; [unrolled: 1-line block ×4, first 2 shown]
	s_delay_alu instid0(VALU_DEP_1) | instskip(SKIP_1) | instid1(SALU_CYCLE_1)
	v_cmp_ge_u64_e32 vcc_lo, v[3:4], v[5:6]
	s_or_b32 s15, vcc_lo, s15
	s_and_not1_b32 exec_lo, exec_lo, s15
	s_cbranch_execnz .LBB227_198
; %bb.199:
	s_set_inst_prefetch_distance 0x2
	s_or_b32 exec_lo, exec_lo, s15
.LBB227_200:
	s_mov_b32 s15, 0
	s_mov_b32 s13, exec_lo
	v_cmpx_ne_u64_e64 s[20:21], v[3:4]
	s_cbranch_execz .LBB227_202
; %bb.201:
	v_lshlrev_b64 v[3:4], 3, v[3:4]
	s_delay_alu instid0(VALU_DEP_1) | instskip(NEXT) | instid1(VALU_DEP_2)
	v_add_co_u32 v3, vcc_lo, s18, v3
	v_add_co_ci_u32_e32 v4, vcc_lo, s19, v4, vcc_lo
	global_load_b64 v[3:4], v[3:4], off
	s_waitcnt vmcnt(0)
	v_cmp_le_i64_e32 vcc_lo, v[3:4], v[1:2]
	s_and_b32 s15, vcc_lo, exec_lo
.LBB227_202:
	s_or_b32 exec_lo, exec_lo, s13
	v_cndmask_b32_e64 v19, 0, 1, s15
.LBB227_203:
	s_or_b32 exec_lo, exec_lo, s14
	v_or_b32_e32 v1, 0x340, v0
                                        ; implicit-def: $vgpr20
	s_delay_alu instid0(VALU_DEP_1) | instskip(NEXT) | instid1(VALU_DEP_1)
	v_cmp_gt_u32_e64 s13, s27, v1
	s_and_saveexec_b32 s15, s13
	s_cbranch_execz .LBB227_211
; %bb.204:
	v_add_co_u32 v1, s14, s16, v1
	v_mov_b32_e32 v3, 0
	v_add_co_ci_u32_e64 v2, null, s24, 0, s14
	v_mov_b32_e32 v4, 0
	s_and_not1_b32 vcc_lo, exec_lo, s26
	s_cbranch_vccnz .LBB227_208
; %bb.205:
	v_dual_mov_b32 v5, s20 :: v_dual_mov_b32 v6, s21
	s_mov_b32 s28, 0
	s_set_inst_prefetch_distance 0x1
	.p2align	6
.LBB227_206:                            ; =>This Inner Loop Header: Depth=1
	s_delay_alu instid0(VALU_DEP_1) | instskip(NEXT) | instid1(VALU_DEP_2)
	v_sub_co_u32 v20, vcc_lo, v5, v3
	v_sub_co_ci_u32_e32 v21, vcc_lo, v6, v4, vcc_lo
	s_delay_alu instid0(VALU_DEP_1) | instskip(SKIP_1) | instid1(VALU_DEP_2)
	v_lshrrev_b64 v[22:23], 1, v[20:21]
	v_lshrrev_b64 v[20:21], 6, v[20:21]
	v_add_co_u32 v22, vcc_lo, v22, v3
	s_delay_alu instid0(VALU_DEP_3) | instskip(NEXT) | instid1(VALU_DEP_2)
	v_add_co_ci_u32_e32 v23, vcc_lo, v23, v4, vcc_lo
	v_add_co_u32 v20, vcc_lo, v22, v20
	s_delay_alu instid0(VALU_DEP_2) | instskip(NEXT) | instid1(VALU_DEP_1)
	v_add_co_ci_u32_e32 v21, vcc_lo, v23, v21, vcc_lo
	v_lshlrev_b64 v[22:23], 3, v[20:21]
	s_delay_alu instid0(VALU_DEP_1) | instskip(NEXT) | instid1(VALU_DEP_2)
	v_add_co_u32 v22, vcc_lo, s18, v22
	v_add_co_ci_u32_e32 v23, vcc_lo, s19, v23, vcc_lo
	v_add_co_u32 v24, vcc_lo, v20, 1
	global_load_b64 v[22:23], v[22:23], off
	s_waitcnt vmcnt(0)
	v_cmp_lt_i64_e64 s14, v[22:23], v[1:2]
	v_add_co_ci_u32_e32 v22, vcc_lo, 0, v21, vcc_lo
	s_delay_alu instid0(VALU_DEP_2) | instskip(SKIP_1) | instid1(VALU_DEP_3)
	v_cndmask_b32_e64 v6, v21, v6, s14
	v_cndmask_b32_e64 v5, v20, v5, s14
	;; [unrolled: 1-line block ×4, first 2 shown]
	s_delay_alu instid0(VALU_DEP_1) | instskip(SKIP_1) | instid1(SALU_CYCLE_1)
	v_cmp_ge_u64_e32 vcc_lo, v[3:4], v[5:6]
	s_or_b32 s28, vcc_lo, s28
	s_and_not1_b32 exec_lo, exec_lo, s28
	s_cbranch_execnz .LBB227_206
; %bb.207:
	s_set_inst_prefetch_distance 0x2
	s_or_b32 exec_lo, exec_lo, s28
.LBB227_208:
	s_mov_b32 s28, 0
	s_mov_b32 s14, exec_lo
	v_cmpx_ne_u64_e64 s[20:21], v[3:4]
	s_cbranch_execz .LBB227_210
; %bb.209:
	v_lshlrev_b64 v[3:4], 3, v[3:4]
	s_delay_alu instid0(VALU_DEP_1) | instskip(NEXT) | instid1(VALU_DEP_2)
	v_add_co_u32 v3, vcc_lo, s18, v3
	v_add_co_ci_u32_e32 v4, vcc_lo, s19, v4, vcc_lo
	global_load_b64 v[3:4], v[3:4], off
	s_waitcnt vmcnt(0)
	v_cmp_le_i64_e32 vcc_lo, v[3:4], v[1:2]
	s_and_b32 s28, vcc_lo, exec_lo
.LBB227_210:
	s_or_b32 exec_lo, exec_lo, s14
	v_cndmask_b32_e64 v20, 0, 1, s28
.LBB227_211:
	s_or_b32 exec_lo, exec_lo, s15
	v_or_b32_e32 v1, 0x380, v0
                                        ; implicit-def: $vgpr21
	s_delay_alu instid0(VALU_DEP_1) | instskip(NEXT) | instid1(VALU_DEP_1)
	v_cmp_gt_u32_e64 s14, s27, v1
	s_and_saveexec_b32 s28, s14
	s_cbranch_execz .LBB227_219
; %bb.212:
	v_add_co_u32 v1, s15, s16, v1
	v_mov_b32_e32 v3, 0
	v_add_co_ci_u32_e64 v2, null, s24, 0, s15
	v_mov_b32_e32 v4, 0
	s_and_not1_b32 vcc_lo, exec_lo, s26
	s_cbranch_vccnz .LBB227_216
; %bb.213:
	v_dual_mov_b32 v5, s20 :: v_dual_mov_b32 v6, s21
	s_mov_b32 s29, 0
	s_set_inst_prefetch_distance 0x1
	.p2align	6
.LBB227_214:                            ; =>This Inner Loop Header: Depth=1
	s_delay_alu instid0(VALU_DEP_1) | instskip(NEXT) | instid1(VALU_DEP_2)
	v_sub_co_u32 v21, vcc_lo, v5, v3
	v_sub_co_ci_u32_e32 v22, vcc_lo, v6, v4, vcc_lo
	s_delay_alu instid0(VALU_DEP_1) | instskip(SKIP_1) | instid1(VALU_DEP_2)
	v_lshrrev_b64 v[23:24], 1, v[21:22]
	v_lshrrev_b64 v[21:22], 6, v[21:22]
	v_add_co_u32 v23, vcc_lo, v23, v3
	s_delay_alu instid0(VALU_DEP_3) | instskip(NEXT) | instid1(VALU_DEP_2)
	v_add_co_ci_u32_e32 v24, vcc_lo, v24, v4, vcc_lo
	v_add_co_u32 v21, vcc_lo, v23, v21
	s_delay_alu instid0(VALU_DEP_2) | instskip(NEXT) | instid1(VALU_DEP_1)
	v_add_co_ci_u32_e32 v22, vcc_lo, v24, v22, vcc_lo
	v_lshlrev_b64 v[23:24], 3, v[21:22]
	s_delay_alu instid0(VALU_DEP_1) | instskip(NEXT) | instid1(VALU_DEP_2)
	v_add_co_u32 v23, vcc_lo, s18, v23
	v_add_co_ci_u32_e32 v24, vcc_lo, s19, v24, vcc_lo
	v_add_co_u32 v25, vcc_lo, v21, 1
	global_load_b64 v[23:24], v[23:24], off
	s_waitcnt vmcnt(0)
	v_cmp_lt_i64_e64 s15, v[23:24], v[1:2]
	v_add_co_ci_u32_e32 v23, vcc_lo, 0, v22, vcc_lo
	s_delay_alu instid0(VALU_DEP_2) | instskip(SKIP_1) | instid1(VALU_DEP_3)
	v_cndmask_b32_e64 v6, v22, v6, s15
	v_cndmask_b32_e64 v5, v21, v5, s15
	;; [unrolled: 1-line block ×4, first 2 shown]
	s_delay_alu instid0(VALU_DEP_1) | instskip(SKIP_1) | instid1(SALU_CYCLE_1)
	v_cmp_ge_u64_e32 vcc_lo, v[3:4], v[5:6]
	s_or_b32 s29, vcc_lo, s29
	s_and_not1_b32 exec_lo, exec_lo, s29
	s_cbranch_execnz .LBB227_214
; %bb.215:
	s_set_inst_prefetch_distance 0x2
	s_or_b32 exec_lo, exec_lo, s29
.LBB227_216:
	s_mov_b32 s29, 0
	s_mov_b32 s15, exec_lo
	v_cmpx_ne_u64_e64 s[20:21], v[3:4]
	s_cbranch_execz .LBB227_218
; %bb.217:
	v_lshlrev_b64 v[3:4], 3, v[3:4]
	s_delay_alu instid0(VALU_DEP_1) | instskip(NEXT) | instid1(VALU_DEP_2)
	v_add_co_u32 v3, vcc_lo, s18, v3
	v_add_co_ci_u32_e32 v4, vcc_lo, s19, v4, vcc_lo
	global_load_b64 v[3:4], v[3:4], off
	s_waitcnt vmcnt(0)
	v_cmp_le_i64_e32 vcc_lo, v[3:4], v[1:2]
	s_and_b32 s29, vcc_lo, exec_lo
.LBB227_218:
	s_or_b32 exec_lo, exec_lo, s15
	v_cndmask_b32_e64 v21, 0, 1, s29
.LBB227_219:
	s_or_b32 exec_lo, exec_lo, s28
	v_or_b32_e32 v1, 0x3c0, v0
                                        ; implicit-def: $vgpr3
	s_delay_alu instid0(VALU_DEP_1) | instskip(NEXT) | instid1(VALU_DEP_1)
	v_cmp_gt_u32_e64 s15, s27, v1
	s_and_saveexec_b32 s27, s15
	s_cbranch_execz .LBB227_227
; %bb.220:
	v_add_co_u32 v1, s16, s16, v1
	v_mov_b32_e32 v3, 0
	v_add_co_ci_u32_e64 v2, null, s24, 0, s16
	v_mov_b32_e32 v4, 0
	s_and_not1_b32 vcc_lo, exec_lo, s26
	s_cbranch_vccnz .LBB227_224
; %bb.221:
	v_dual_mov_b32 v5, s20 :: v_dual_mov_b32 v6, s21
	s_mov_b32 s24, 0
	s_set_inst_prefetch_distance 0x1
	.p2align	6
.LBB227_222:                            ; =>This Inner Loop Header: Depth=1
	s_delay_alu instid0(VALU_DEP_1) | instskip(NEXT) | instid1(VALU_DEP_2)
	v_sub_co_u32 v22, vcc_lo, v5, v3
	v_sub_co_ci_u32_e32 v23, vcc_lo, v6, v4, vcc_lo
	s_delay_alu instid0(VALU_DEP_1) | instskip(SKIP_1) | instid1(VALU_DEP_2)
	v_lshrrev_b64 v[24:25], 1, v[22:23]
	v_lshrrev_b64 v[22:23], 6, v[22:23]
	v_add_co_u32 v24, vcc_lo, v24, v3
	s_delay_alu instid0(VALU_DEP_3) | instskip(NEXT) | instid1(VALU_DEP_2)
	v_add_co_ci_u32_e32 v25, vcc_lo, v25, v4, vcc_lo
	v_add_co_u32 v22, vcc_lo, v24, v22
	s_delay_alu instid0(VALU_DEP_2) | instskip(NEXT) | instid1(VALU_DEP_1)
	v_add_co_ci_u32_e32 v23, vcc_lo, v25, v23, vcc_lo
	v_lshlrev_b64 v[24:25], 3, v[22:23]
	s_delay_alu instid0(VALU_DEP_1) | instskip(NEXT) | instid1(VALU_DEP_2)
	v_add_co_u32 v24, vcc_lo, s18, v24
	v_add_co_ci_u32_e32 v25, vcc_lo, s19, v25, vcc_lo
	v_add_co_u32 v26, vcc_lo, v22, 1
	global_load_b64 v[24:25], v[24:25], off
	s_waitcnt vmcnt(0)
	v_cmp_lt_i64_e64 s16, v[24:25], v[1:2]
	v_add_co_ci_u32_e32 v24, vcc_lo, 0, v23, vcc_lo
	s_delay_alu instid0(VALU_DEP_2) | instskip(SKIP_1) | instid1(VALU_DEP_3)
	v_cndmask_b32_e64 v6, v23, v6, s16
	v_cndmask_b32_e64 v5, v22, v5, s16
	;; [unrolled: 1-line block ×4, first 2 shown]
	s_delay_alu instid0(VALU_DEP_1) | instskip(SKIP_1) | instid1(SALU_CYCLE_1)
	v_cmp_ge_u64_e32 vcc_lo, v[3:4], v[5:6]
	s_or_b32 s24, vcc_lo, s24
	s_and_not1_b32 exec_lo, exec_lo, s24
	s_cbranch_execnz .LBB227_222
; %bb.223:
	s_set_inst_prefetch_distance 0x2
	s_or_b32 exec_lo, exec_lo, s24
.LBB227_224:
	s_delay_alu instid0(VALU_DEP_1)
	v_cmp_ne_u64_e32 vcc_lo, s[20:21], v[3:4]
	s_mov_b32 s20, 0
	s_and_saveexec_b32 s16, vcc_lo
	s_cbranch_execz .LBB227_226
; %bb.225:
	v_lshlrev_b64 v[3:4], 3, v[3:4]
	s_delay_alu instid0(VALU_DEP_1) | instskip(NEXT) | instid1(VALU_DEP_2)
	v_add_co_u32 v3, vcc_lo, s18, v3
	v_add_co_ci_u32_e32 v4, vcc_lo, s19, v4, vcc_lo
	global_load_b64 v[3:4], v[3:4], off
	s_waitcnt vmcnt(0)
	v_cmp_le_i64_e32 vcc_lo, v[3:4], v[1:2]
	s_and_b32 s20, vcc_lo, exec_lo
.LBB227_226:
	s_or_b32 exec_lo, exec_lo, s16
	v_cndmask_b32_e64 v3, 0, 1, s20
.LBB227_227:
	s_or_b32 exec_lo, exec_lo, s27
	s_add_u32 s16, s22, s23
	s_addc_u32 s17, s17, 0
	v_add_co_u32 v1, s16, s16, v0
	s_delay_alu instid0(VALU_DEP_1) | instskip(SKIP_1) | instid1(SALU_CYCLE_1)
	v_add_co_ci_u32_e64 v2, null, s17, 0, s16
	s_and_saveexec_b32 s16, s0
	s_xor_b32 s0, exec_lo, s16
	s_cbranch_execnz .LBB227_248
; %bb.228:
	s_or_b32 exec_lo, exec_lo, s0
	s_and_saveexec_b32 s0, s1
	s_cbranch_execnz .LBB227_249
.LBB227_229:
	s_or_b32 exec_lo, exec_lo, s0
	s_and_saveexec_b32 s0, s2
	s_cbranch_execnz .LBB227_250
.LBB227_230:
	s_or_b32 exec_lo, exec_lo, s0
	s_and_saveexec_b32 s0, s3
	s_cbranch_execnz .LBB227_251
.LBB227_231:
	s_or_b32 exec_lo, exec_lo, s0
	s_and_saveexec_b32 s0, s4
	s_cbranch_execnz .LBB227_252
.LBB227_232:
	s_or_b32 exec_lo, exec_lo, s0
	s_and_saveexec_b32 s0, s5
	s_cbranch_execnz .LBB227_253
.LBB227_233:
	s_or_b32 exec_lo, exec_lo, s0
	s_and_saveexec_b32 s0, s6
	s_cbranch_execnz .LBB227_254
.LBB227_234:
	s_or_b32 exec_lo, exec_lo, s0
	s_and_saveexec_b32 s0, s7
	s_cbranch_execnz .LBB227_255
.LBB227_235:
	s_or_b32 exec_lo, exec_lo, s0
	s_and_saveexec_b32 s0, s8
	s_cbranch_execnz .LBB227_256
.LBB227_236:
	s_or_b32 exec_lo, exec_lo, s0
	s_and_saveexec_b32 s0, s9
	s_cbranch_execnz .LBB227_257
.LBB227_237:
	s_or_b32 exec_lo, exec_lo, s0
	s_and_saveexec_b32 s0, s10
	s_cbranch_execnz .LBB227_258
.LBB227_238:
	s_or_b32 exec_lo, exec_lo, s0
	s_and_saveexec_b32 s0, s11
	s_cbranch_execnz .LBB227_259
.LBB227_239:
	s_or_b32 exec_lo, exec_lo, s0
	s_and_saveexec_b32 s0, s12
	s_cbranch_execnz .LBB227_260
.LBB227_240:
	s_or_b32 exec_lo, exec_lo, s0
	s_and_saveexec_b32 s0, s13
	s_cbranch_execnz .LBB227_261
.LBB227_241:
	s_or_b32 exec_lo, exec_lo, s0
	s_and_saveexec_b32 s0, s14
	s_cbranch_execnz .LBB227_262
.LBB227_242:
	s_or_b32 exec_lo, exec_lo, s0
	s_and_saveexec_b32 s0, s15
.LBB227_243:
	s_or_b32 s25, s25, exec_lo
.LBB227_244:
	s_or_b32 exec_lo, exec_lo, s0
.LBB227_245:
	s_and_saveexec_b32 s0, s25
	s_cbranch_execnz .LBB227_247
; %bb.246:
	s_nop 0
	s_sendmsg sendmsg(MSG_DEALLOC_VGPRS)
	s_endpgm
.LBB227_247:
	global_store_b8 v[1:2], v3, off offset:960
	s_nop 0
	s_sendmsg sendmsg(MSG_DEALLOC_VGPRS)
	s_endpgm
.LBB227_248:
	global_store_b8 v[1:2], v7, off
	s_or_b32 exec_lo, exec_lo, s0
	s_and_saveexec_b32 s0, s1
	s_cbranch_execz .LBB227_229
.LBB227_249:
	global_store_b8 v[1:2], v8, off offset:64
	s_or_b32 exec_lo, exec_lo, s0
	s_and_saveexec_b32 s0, s2
	s_cbranch_execz .LBB227_230
.LBB227_250:
	global_store_b8 v[1:2], v9, off offset:128
	s_or_b32 exec_lo, exec_lo, s0
	s_and_saveexec_b32 s0, s3
	s_cbranch_execz .LBB227_231
.LBB227_251:
	global_store_b8 v[1:2], v10, off offset:192
	s_or_b32 exec_lo, exec_lo, s0
	s_and_saveexec_b32 s0, s4
	s_cbranch_execz .LBB227_232
.LBB227_252:
	global_store_b8 v[1:2], v11, off offset:256
	s_or_b32 exec_lo, exec_lo, s0
	s_and_saveexec_b32 s0, s5
	s_cbranch_execz .LBB227_233
.LBB227_253:
	global_store_b8 v[1:2], v12, off offset:320
	s_or_b32 exec_lo, exec_lo, s0
	s_and_saveexec_b32 s0, s6
	s_cbranch_execz .LBB227_234
.LBB227_254:
	global_store_b8 v[1:2], v13, off offset:384
	s_or_b32 exec_lo, exec_lo, s0
	s_and_saveexec_b32 s0, s7
	s_cbranch_execz .LBB227_235
.LBB227_255:
	global_store_b8 v[1:2], v14, off offset:448
	s_or_b32 exec_lo, exec_lo, s0
	s_and_saveexec_b32 s0, s8
	s_cbranch_execz .LBB227_236
.LBB227_256:
	global_store_b8 v[1:2], v15, off offset:512
	s_or_b32 exec_lo, exec_lo, s0
	s_and_saveexec_b32 s0, s9
	s_cbranch_execz .LBB227_237
.LBB227_257:
	global_store_b8 v[1:2], v16, off offset:576
	s_or_b32 exec_lo, exec_lo, s0
	s_and_saveexec_b32 s0, s10
	s_cbranch_execz .LBB227_238
.LBB227_258:
	global_store_b8 v[1:2], v17, off offset:640
	s_or_b32 exec_lo, exec_lo, s0
	s_and_saveexec_b32 s0, s11
	s_cbranch_execz .LBB227_239
.LBB227_259:
	global_store_b8 v[1:2], v18, off offset:704
	s_or_b32 exec_lo, exec_lo, s0
	s_and_saveexec_b32 s0, s12
	s_cbranch_execz .LBB227_240
.LBB227_260:
	global_store_b8 v[1:2], v19, off offset:768
	s_or_b32 exec_lo, exec_lo, s0
	s_and_saveexec_b32 s0, s13
	s_cbranch_execz .LBB227_241
.LBB227_261:
	global_store_b8 v[1:2], v20, off offset:832
	s_or_b32 exec_lo, exec_lo, s0
	s_and_saveexec_b32 s0, s14
	s_cbranch_execz .LBB227_242
.LBB227_262:
	global_store_b8 v[1:2], v21, off offset:896
	s_or_b32 exec_lo, exec_lo, s0
	s_and_saveexec_b32 s0, s15
	s_cbranch_execnz .LBB227_243
	s_branch .LBB227_244
	.section	.rodata,"a",@progbits
	.p2align	6, 0x0
	.amdhsa_kernel _ZN7rocprim17ROCPRIM_400000_NS6detail17trampoline_kernelINS0_14default_configENS1_29binary_search_config_selectorIxbEEZNS1_14transform_implILb0ES3_S5_N6thrust23THRUST_200600_302600_NS17counting_iteratorIxNS8_11use_defaultESA_SA_EEPbZNS1_13binary_searchIS3_S5_PxSB_SC_NS1_16binary_search_opENS8_6detail16wrapped_functionINS0_4lessIvEEbEEEE10hipError_tPvRmT1_T2_T3_mmT4_T5_P12ihipStream_tbEUlRKxE_EESL_SP_SQ_mSR_SU_bEUlT_E_NS1_11comp_targetILNS1_3genE9ELNS1_11target_archE1100ELNS1_3gpuE3ELNS1_3repE0EEENS1_30default_config_static_selectorELNS0_4arch9wavefront6targetE0EEEvSO_
		.amdhsa_group_segment_fixed_size 0
		.amdhsa_private_segment_fixed_size 0
		.amdhsa_kernarg_size 312
		.amdhsa_user_sgpr_count 15
		.amdhsa_user_sgpr_dispatch_ptr 0
		.amdhsa_user_sgpr_queue_ptr 0
		.amdhsa_user_sgpr_kernarg_segment_ptr 1
		.amdhsa_user_sgpr_dispatch_id 0
		.amdhsa_user_sgpr_private_segment_size 0
		.amdhsa_wavefront_size32 1
		.amdhsa_uses_dynamic_stack 0
		.amdhsa_enable_private_segment 0
		.amdhsa_system_sgpr_workgroup_id_x 1
		.amdhsa_system_sgpr_workgroup_id_y 0
		.amdhsa_system_sgpr_workgroup_id_z 0
		.amdhsa_system_sgpr_workgroup_info 0
		.amdhsa_system_vgpr_workitem_id 0
		.amdhsa_next_free_vgpr 27
		.amdhsa_next_free_sgpr 30
		.amdhsa_reserve_vcc 1
		.amdhsa_float_round_mode_32 0
		.amdhsa_float_round_mode_16_64 0
		.amdhsa_float_denorm_mode_32 3
		.amdhsa_float_denorm_mode_16_64 3
		.amdhsa_dx10_clamp 1
		.amdhsa_ieee_mode 1
		.amdhsa_fp16_overflow 0
		.amdhsa_workgroup_processor_mode 1
		.amdhsa_memory_ordered 1
		.amdhsa_forward_progress 0
		.amdhsa_shared_vgpr_count 0
		.amdhsa_exception_fp_ieee_invalid_op 0
		.amdhsa_exception_fp_denorm_src 0
		.amdhsa_exception_fp_ieee_div_zero 0
		.amdhsa_exception_fp_ieee_overflow 0
		.amdhsa_exception_fp_ieee_underflow 0
		.amdhsa_exception_fp_ieee_inexact 0
		.amdhsa_exception_int_div_zero 0
	.end_amdhsa_kernel
	.section	.text._ZN7rocprim17ROCPRIM_400000_NS6detail17trampoline_kernelINS0_14default_configENS1_29binary_search_config_selectorIxbEEZNS1_14transform_implILb0ES3_S5_N6thrust23THRUST_200600_302600_NS17counting_iteratorIxNS8_11use_defaultESA_SA_EEPbZNS1_13binary_searchIS3_S5_PxSB_SC_NS1_16binary_search_opENS8_6detail16wrapped_functionINS0_4lessIvEEbEEEE10hipError_tPvRmT1_T2_T3_mmT4_T5_P12ihipStream_tbEUlRKxE_EESL_SP_SQ_mSR_SU_bEUlT_E_NS1_11comp_targetILNS1_3genE9ELNS1_11target_archE1100ELNS1_3gpuE3ELNS1_3repE0EEENS1_30default_config_static_selectorELNS0_4arch9wavefront6targetE0EEEvSO_,"axG",@progbits,_ZN7rocprim17ROCPRIM_400000_NS6detail17trampoline_kernelINS0_14default_configENS1_29binary_search_config_selectorIxbEEZNS1_14transform_implILb0ES3_S5_N6thrust23THRUST_200600_302600_NS17counting_iteratorIxNS8_11use_defaultESA_SA_EEPbZNS1_13binary_searchIS3_S5_PxSB_SC_NS1_16binary_search_opENS8_6detail16wrapped_functionINS0_4lessIvEEbEEEE10hipError_tPvRmT1_T2_T3_mmT4_T5_P12ihipStream_tbEUlRKxE_EESL_SP_SQ_mSR_SU_bEUlT_E_NS1_11comp_targetILNS1_3genE9ELNS1_11target_archE1100ELNS1_3gpuE3ELNS1_3repE0EEENS1_30default_config_static_selectorELNS0_4arch9wavefront6targetE0EEEvSO_,comdat
.Lfunc_end227:
	.size	_ZN7rocprim17ROCPRIM_400000_NS6detail17trampoline_kernelINS0_14default_configENS1_29binary_search_config_selectorIxbEEZNS1_14transform_implILb0ES3_S5_N6thrust23THRUST_200600_302600_NS17counting_iteratorIxNS8_11use_defaultESA_SA_EEPbZNS1_13binary_searchIS3_S5_PxSB_SC_NS1_16binary_search_opENS8_6detail16wrapped_functionINS0_4lessIvEEbEEEE10hipError_tPvRmT1_T2_T3_mmT4_T5_P12ihipStream_tbEUlRKxE_EESL_SP_SQ_mSR_SU_bEUlT_E_NS1_11comp_targetILNS1_3genE9ELNS1_11target_archE1100ELNS1_3gpuE3ELNS1_3repE0EEENS1_30default_config_static_selectorELNS0_4arch9wavefront6targetE0EEEvSO_, .Lfunc_end227-_ZN7rocprim17ROCPRIM_400000_NS6detail17trampoline_kernelINS0_14default_configENS1_29binary_search_config_selectorIxbEEZNS1_14transform_implILb0ES3_S5_N6thrust23THRUST_200600_302600_NS17counting_iteratorIxNS8_11use_defaultESA_SA_EEPbZNS1_13binary_searchIS3_S5_PxSB_SC_NS1_16binary_search_opENS8_6detail16wrapped_functionINS0_4lessIvEEbEEEE10hipError_tPvRmT1_T2_T3_mmT4_T5_P12ihipStream_tbEUlRKxE_EESL_SP_SQ_mSR_SU_bEUlT_E_NS1_11comp_targetILNS1_3genE9ELNS1_11target_archE1100ELNS1_3gpuE3ELNS1_3repE0EEENS1_30default_config_static_selectorELNS0_4arch9wavefront6targetE0EEEvSO_
                                        ; -- End function
	.section	.AMDGPU.csdata,"",@progbits
; Kernel info:
; codeLenInByte = 11472
; NumSgprs: 32
; NumVgprs: 27
; ScratchSize: 0
; MemoryBound: 0
; FloatMode: 240
; IeeeMode: 1
; LDSByteSize: 0 bytes/workgroup (compile time only)
; SGPRBlocks: 3
; VGPRBlocks: 3
; NumSGPRsForWavesPerEU: 32
; NumVGPRsForWavesPerEU: 27
; Occupancy: 16
; WaveLimiterHint : 0
; COMPUTE_PGM_RSRC2:SCRATCH_EN: 0
; COMPUTE_PGM_RSRC2:USER_SGPR: 15
; COMPUTE_PGM_RSRC2:TRAP_HANDLER: 0
; COMPUTE_PGM_RSRC2:TGID_X_EN: 1
; COMPUTE_PGM_RSRC2:TGID_Y_EN: 0
; COMPUTE_PGM_RSRC2:TGID_Z_EN: 0
; COMPUTE_PGM_RSRC2:TIDIG_COMP_CNT: 0
	.section	.text._ZN7rocprim17ROCPRIM_400000_NS6detail17trampoline_kernelINS0_14default_configENS1_29binary_search_config_selectorIxbEEZNS1_14transform_implILb0ES3_S5_N6thrust23THRUST_200600_302600_NS17counting_iteratorIxNS8_11use_defaultESA_SA_EEPbZNS1_13binary_searchIS3_S5_PxSB_SC_NS1_16binary_search_opENS8_6detail16wrapped_functionINS0_4lessIvEEbEEEE10hipError_tPvRmT1_T2_T3_mmT4_T5_P12ihipStream_tbEUlRKxE_EESL_SP_SQ_mSR_SU_bEUlT_E_NS1_11comp_targetILNS1_3genE8ELNS1_11target_archE1030ELNS1_3gpuE2ELNS1_3repE0EEENS1_30default_config_static_selectorELNS0_4arch9wavefront6targetE0EEEvSO_,"axG",@progbits,_ZN7rocprim17ROCPRIM_400000_NS6detail17trampoline_kernelINS0_14default_configENS1_29binary_search_config_selectorIxbEEZNS1_14transform_implILb0ES3_S5_N6thrust23THRUST_200600_302600_NS17counting_iteratorIxNS8_11use_defaultESA_SA_EEPbZNS1_13binary_searchIS3_S5_PxSB_SC_NS1_16binary_search_opENS8_6detail16wrapped_functionINS0_4lessIvEEbEEEE10hipError_tPvRmT1_T2_T3_mmT4_T5_P12ihipStream_tbEUlRKxE_EESL_SP_SQ_mSR_SU_bEUlT_E_NS1_11comp_targetILNS1_3genE8ELNS1_11target_archE1030ELNS1_3gpuE2ELNS1_3repE0EEENS1_30default_config_static_selectorELNS0_4arch9wavefront6targetE0EEEvSO_,comdat
	.protected	_ZN7rocprim17ROCPRIM_400000_NS6detail17trampoline_kernelINS0_14default_configENS1_29binary_search_config_selectorIxbEEZNS1_14transform_implILb0ES3_S5_N6thrust23THRUST_200600_302600_NS17counting_iteratorIxNS8_11use_defaultESA_SA_EEPbZNS1_13binary_searchIS3_S5_PxSB_SC_NS1_16binary_search_opENS8_6detail16wrapped_functionINS0_4lessIvEEbEEEE10hipError_tPvRmT1_T2_T3_mmT4_T5_P12ihipStream_tbEUlRKxE_EESL_SP_SQ_mSR_SU_bEUlT_E_NS1_11comp_targetILNS1_3genE8ELNS1_11target_archE1030ELNS1_3gpuE2ELNS1_3repE0EEENS1_30default_config_static_selectorELNS0_4arch9wavefront6targetE0EEEvSO_ ; -- Begin function _ZN7rocprim17ROCPRIM_400000_NS6detail17trampoline_kernelINS0_14default_configENS1_29binary_search_config_selectorIxbEEZNS1_14transform_implILb0ES3_S5_N6thrust23THRUST_200600_302600_NS17counting_iteratorIxNS8_11use_defaultESA_SA_EEPbZNS1_13binary_searchIS3_S5_PxSB_SC_NS1_16binary_search_opENS8_6detail16wrapped_functionINS0_4lessIvEEbEEEE10hipError_tPvRmT1_T2_T3_mmT4_T5_P12ihipStream_tbEUlRKxE_EESL_SP_SQ_mSR_SU_bEUlT_E_NS1_11comp_targetILNS1_3genE8ELNS1_11target_archE1030ELNS1_3gpuE2ELNS1_3repE0EEENS1_30default_config_static_selectorELNS0_4arch9wavefront6targetE0EEEvSO_
	.globl	_ZN7rocprim17ROCPRIM_400000_NS6detail17trampoline_kernelINS0_14default_configENS1_29binary_search_config_selectorIxbEEZNS1_14transform_implILb0ES3_S5_N6thrust23THRUST_200600_302600_NS17counting_iteratorIxNS8_11use_defaultESA_SA_EEPbZNS1_13binary_searchIS3_S5_PxSB_SC_NS1_16binary_search_opENS8_6detail16wrapped_functionINS0_4lessIvEEbEEEE10hipError_tPvRmT1_T2_T3_mmT4_T5_P12ihipStream_tbEUlRKxE_EESL_SP_SQ_mSR_SU_bEUlT_E_NS1_11comp_targetILNS1_3genE8ELNS1_11target_archE1030ELNS1_3gpuE2ELNS1_3repE0EEENS1_30default_config_static_selectorELNS0_4arch9wavefront6targetE0EEEvSO_
	.p2align	8
	.type	_ZN7rocprim17ROCPRIM_400000_NS6detail17trampoline_kernelINS0_14default_configENS1_29binary_search_config_selectorIxbEEZNS1_14transform_implILb0ES3_S5_N6thrust23THRUST_200600_302600_NS17counting_iteratorIxNS8_11use_defaultESA_SA_EEPbZNS1_13binary_searchIS3_S5_PxSB_SC_NS1_16binary_search_opENS8_6detail16wrapped_functionINS0_4lessIvEEbEEEE10hipError_tPvRmT1_T2_T3_mmT4_T5_P12ihipStream_tbEUlRKxE_EESL_SP_SQ_mSR_SU_bEUlT_E_NS1_11comp_targetILNS1_3genE8ELNS1_11target_archE1030ELNS1_3gpuE2ELNS1_3repE0EEENS1_30default_config_static_selectorELNS0_4arch9wavefront6targetE0EEEvSO_,@function
_ZN7rocprim17ROCPRIM_400000_NS6detail17trampoline_kernelINS0_14default_configENS1_29binary_search_config_selectorIxbEEZNS1_14transform_implILb0ES3_S5_N6thrust23THRUST_200600_302600_NS17counting_iteratorIxNS8_11use_defaultESA_SA_EEPbZNS1_13binary_searchIS3_S5_PxSB_SC_NS1_16binary_search_opENS8_6detail16wrapped_functionINS0_4lessIvEEbEEEE10hipError_tPvRmT1_T2_T3_mmT4_T5_P12ihipStream_tbEUlRKxE_EESL_SP_SQ_mSR_SU_bEUlT_E_NS1_11comp_targetILNS1_3genE8ELNS1_11target_archE1030ELNS1_3gpuE2ELNS1_3repE0EEENS1_30default_config_static_selectorELNS0_4arch9wavefront6targetE0EEEvSO_: ; @_ZN7rocprim17ROCPRIM_400000_NS6detail17trampoline_kernelINS0_14default_configENS1_29binary_search_config_selectorIxbEEZNS1_14transform_implILb0ES3_S5_N6thrust23THRUST_200600_302600_NS17counting_iteratorIxNS8_11use_defaultESA_SA_EEPbZNS1_13binary_searchIS3_S5_PxSB_SC_NS1_16binary_search_opENS8_6detail16wrapped_functionINS0_4lessIvEEbEEEE10hipError_tPvRmT1_T2_T3_mmT4_T5_P12ihipStream_tbEUlRKxE_EESL_SP_SQ_mSR_SU_bEUlT_E_NS1_11comp_targetILNS1_3genE8ELNS1_11target_archE1030ELNS1_3gpuE2ELNS1_3repE0EEENS1_30default_config_static_selectorELNS0_4arch9wavefront6targetE0EEEvSO_
; %bb.0:
	.section	.rodata,"a",@progbits
	.p2align	6, 0x0
	.amdhsa_kernel _ZN7rocprim17ROCPRIM_400000_NS6detail17trampoline_kernelINS0_14default_configENS1_29binary_search_config_selectorIxbEEZNS1_14transform_implILb0ES3_S5_N6thrust23THRUST_200600_302600_NS17counting_iteratorIxNS8_11use_defaultESA_SA_EEPbZNS1_13binary_searchIS3_S5_PxSB_SC_NS1_16binary_search_opENS8_6detail16wrapped_functionINS0_4lessIvEEbEEEE10hipError_tPvRmT1_T2_T3_mmT4_T5_P12ihipStream_tbEUlRKxE_EESL_SP_SQ_mSR_SU_bEUlT_E_NS1_11comp_targetILNS1_3genE8ELNS1_11target_archE1030ELNS1_3gpuE2ELNS1_3repE0EEENS1_30default_config_static_selectorELNS0_4arch9wavefront6targetE0EEEvSO_
		.amdhsa_group_segment_fixed_size 0
		.amdhsa_private_segment_fixed_size 0
		.amdhsa_kernarg_size 56
		.amdhsa_user_sgpr_count 15
		.amdhsa_user_sgpr_dispatch_ptr 0
		.amdhsa_user_sgpr_queue_ptr 0
		.amdhsa_user_sgpr_kernarg_segment_ptr 1
		.amdhsa_user_sgpr_dispatch_id 0
		.amdhsa_user_sgpr_private_segment_size 0
		.amdhsa_wavefront_size32 1
		.amdhsa_uses_dynamic_stack 0
		.amdhsa_enable_private_segment 0
		.amdhsa_system_sgpr_workgroup_id_x 1
		.amdhsa_system_sgpr_workgroup_id_y 0
		.amdhsa_system_sgpr_workgroup_id_z 0
		.amdhsa_system_sgpr_workgroup_info 0
		.amdhsa_system_vgpr_workitem_id 0
		.amdhsa_next_free_vgpr 1
		.amdhsa_next_free_sgpr 1
		.amdhsa_reserve_vcc 0
		.amdhsa_float_round_mode_32 0
		.amdhsa_float_round_mode_16_64 0
		.amdhsa_float_denorm_mode_32 3
		.amdhsa_float_denorm_mode_16_64 3
		.amdhsa_dx10_clamp 1
		.amdhsa_ieee_mode 1
		.amdhsa_fp16_overflow 0
		.amdhsa_workgroup_processor_mode 1
		.amdhsa_memory_ordered 1
		.amdhsa_forward_progress 0
		.amdhsa_shared_vgpr_count 0
		.amdhsa_exception_fp_ieee_invalid_op 0
		.amdhsa_exception_fp_denorm_src 0
		.amdhsa_exception_fp_ieee_div_zero 0
		.amdhsa_exception_fp_ieee_overflow 0
		.amdhsa_exception_fp_ieee_underflow 0
		.amdhsa_exception_fp_ieee_inexact 0
		.amdhsa_exception_int_div_zero 0
	.end_amdhsa_kernel
	.section	.text._ZN7rocprim17ROCPRIM_400000_NS6detail17trampoline_kernelINS0_14default_configENS1_29binary_search_config_selectorIxbEEZNS1_14transform_implILb0ES3_S5_N6thrust23THRUST_200600_302600_NS17counting_iteratorIxNS8_11use_defaultESA_SA_EEPbZNS1_13binary_searchIS3_S5_PxSB_SC_NS1_16binary_search_opENS8_6detail16wrapped_functionINS0_4lessIvEEbEEEE10hipError_tPvRmT1_T2_T3_mmT4_T5_P12ihipStream_tbEUlRKxE_EESL_SP_SQ_mSR_SU_bEUlT_E_NS1_11comp_targetILNS1_3genE8ELNS1_11target_archE1030ELNS1_3gpuE2ELNS1_3repE0EEENS1_30default_config_static_selectorELNS0_4arch9wavefront6targetE0EEEvSO_,"axG",@progbits,_ZN7rocprim17ROCPRIM_400000_NS6detail17trampoline_kernelINS0_14default_configENS1_29binary_search_config_selectorIxbEEZNS1_14transform_implILb0ES3_S5_N6thrust23THRUST_200600_302600_NS17counting_iteratorIxNS8_11use_defaultESA_SA_EEPbZNS1_13binary_searchIS3_S5_PxSB_SC_NS1_16binary_search_opENS8_6detail16wrapped_functionINS0_4lessIvEEbEEEE10hipError_tPvRmT1_T2_T3_mmT4_T5_P12ihipStream_tbEUlRKxE_EESL_SP_SQ_mSR_SU_bEUlT_E_NS1_11comp_targetILNS1_3genE8ELNS1_11target_archE1030ELNS1_3gpuE2ELNS1_3repE0EEENS1_30default_config_static_selectorELNS0_4arch9wavefront6targetE0EEEvSO_,comdat
.Lfunc_end228:
	.size	_ZN7rocprim17ROCPRIM_400000_NS6detail17trampoline_kernelINS0_14default_configENS1_29binary_search_config_selectorIxbEEZNS1_14transform_implILb0ES3_S5_N6thrust23THRUST_200600_302600_NS17counting_iteratorIxNS8_11use_defaultESA_SA_EEPbZNS1_13binary_searchIS3_S5_PxSB_SC_NS1_16binary_search_opENS8_6detail16wrapped_functionINS0_4lessIvEEbEEEE10hipError_tPvRmT1_T2_T3_mmT4_T5_P12ihipStream_tbEUlRKxE_EESL_SP_SQ_mSR_SU_bEUlT_E_NS1_11comp_targetILNS1_3genE8ELNS1_11target_archE1030ELNS1_3gpuE2ELNS1_3repE0EEENS1_30default_config_static_selectorELNS0_4arch9wavefront6targetE0EEEvSO_, .Lfunc_end228-_ZN7rocprim17ROCPRIM_400000_NS6detail17trampoline_kernelINS0_14default_configENS1_29binary_search_config_selectorIxbEEZNS1_14transform_implILb0ES3_S5_N6thrust23THRUST_200600_302600_NS17counting_iteratorIxNS8_11use_defaultESA_SA_EEPbZNS1_13binary_searchIS3_S5_PxSB_SC_NS1_16binary_search_opENS8_6detail16wrapped_functionINS0_4lessIvEEbEEEE10hipError_tPvRmT1_T2_T3_mmT4_T5_P12ihipStream_tbEUlRKxE_EESL_SP_SQ_mSR_SU_bEUlT_E_NS1_11comp_targetILNS1_3genE8ELNS1_11target_archE1030ELNS1_3gpuE2ELNS1_3repE0EEENS1_30default_config_static_selectorELNS0_4arch9wavefront6targetE0EEEvSO_
                                        ; -- End function
	.section	.AMDGPU.csdata,"",@progbits
; Kernel info:
; codeLenInByte = 0
; NumSgprs: 0
; NumVgprs: 0
; ScratchSize: 0
; MemoryBound: 0
; FloatMode: 240
; IeeeMode: 1
; LDSByteSize: 0 bytes/workgroup (compile time only)
; SGPRBlocks: 0
; VGPRBlocks: 0
; NumSGPRsForWavesPerEU: 1
; NumVGPRsForWavesPerEU: 1
; Occupancy: 16
; WaveLimiterHint : 0
; COMPUTE_PGM_RSRC2:SCRATCH_EN: 0
; COMPUTE_PGM_RSRC2:USER_SGPR: 15
; COMPUTE_PGM_RSRC2:TRAP_HANDLER: 0
; COMPUTE_PGM_RSRC2:TGID_X_EN: 1
; COMPUTE_PGM_RSRC2:TGID_Y_EN: 0
; COMPUTE_PGM_RSRC2:TGID_Z_EN: 0
; COMPUTE_PGM_RSRC2:TIDIG_COMP_CNT: 0
	.section	.text._Z20binary_search_kernelIiEvmPT_Pb,"axG",@progbits,_Z20binary_search_kernelIiEvmPT_Pb,comdat
	.protected	_Z20binary_search_kernelIiEvmPT_Pb ; -- Begin function _Z20binary_search_kernelIiEvmPT_Pb
	.globl	_Z20binary_search_kernelIiEvmPT_Pb
	.p2align	8
	.type	_Z20binary_search_kernelIiEvmPT_Pb,@function
_Z20binary_search_kernelIiEvmPT_Pb:     ; @_Z20binary_search_kernelIiEvmPT_Pb
; %bb.0:
	s_clause 0x1
	s_load_b128 s[4:7], s[0:1], 0x0
	s_load_b64 s[2:3], s[0:1], 0x10
	s_waitcnt lgkmcnt(0)
	s_lshl_b64 s[0:1], s[4:5], 2
	s_delay_alu instid0(SALU_CYCLE_1) | instskip(NEXT) | instid1(SALU_CYCLE_1)
	s_ashr_i64 s[8:9], s[0:1], 2
	v_cmp_lt_i64_e64 s0, s[8:9], 1
	s_delay_alu instid0(VALU_DEP_1)
	s_and_b32 vcc_lo, exec_lo, s0
	s_mov_b64 s[0:1], 0
	s_cbranch_vccnz .LBB229_3
; %bb.1:
	s_mov_b64 s[10:11], s[8:9]
	.p2align	6
.LBB229_2:                              ; =>This Inner Loop Header: Depth=1
	s_delay_alu instid0(SALU_CYCLE_1) | instskip(SKIP_1) | instid1(SALU_CYCLE_1)
	s_sub_u32 s12, s10, s0
	s_subb_u32 s13, s11, s1
	s_lshr_b32 s14, s13, 31
	s_delay_alu instid0(SALU_CYCLE_1) | instskip(SKIP_1) | instid1(SALU_CYCLE_1)
	s_add_u32 s12, s12, s14
	s_addc_u32 s13, s13, 0
	s_ashr_i64 s[12:13], s[12:13], 1
	s_delay_alu instid0(SALU_CYCLE_1) | instskip(SKIP_1) | instid1(SALU_CYCLE_1)
	s_add_u32 s12, s12, s0
	s_addc_u32 s13, s13, s1
	s_lshl_b64 s[14:15], s[12:13], 2
	s_delay_alu instid0(SALU_CYCLE_1)
	s_add_u32 s14, s6, s14
	s_addc_u32 s15, s7, s15
	s_load_b32 s14, s[14:15], 0x0
	s_add_u32 s15, s12, 1
	s_addc_u32 s16, s13, 0
	s_waitcnt lgkmcnt(0)
	s_cmp_lt_i32 s14, 0
	s_cselect_b32 s1, s16, s1
	s_cselect_b32 s0, s15, s0
	;; [unrolled: 1-line block ×4, first 2 shown]
	s_delay_alu instid0(SALU_CYCLE_1) | instskip(NEXT) | instid1(VALU_DEP_1)
	v_cmp_lt_i64_e64 s12, s[0:1], s[10:11]
	s_and_b32 vcc_lo, exec_lo, s12
	s_cbranch_vccnz .LBB229_2
.LBB229_3:
	v_cmp_gt_i64_e64 s10, s[8:9], 0
	s_cmp_eq_u64 s[0:1], s[4:5]
	s_mov_b32 s11, 0
	s_cbranch_scc1 .LBB229_5
; %bb.4:
	s_lshl_b64 s[0:1], s[0:1], 2
	s_delay_alu instid0(SALU_CYCLE_1)
	s_add_u32 s0, s6, s0
	s_addc_u32 s1, s7, s1
	s_load_b32 s0, s[0:1], 0x0
	s_waitcnt lgkmcnt(0)
	s_cmp_lt_i32 s0, 1
	s_cselect_b32 s11, -1, 0
.LBB229_5:
	s_delay_alu instid0(VALU_DEP_1) | instskip(SKIP_3) | instid1(VALU_DEP_2)
	v_cndmask_b32_e64 v0, 0, 1, s10
	v_cndmask_b32_e64 v1, 0, 1, s11
	s_and_not1_b32 vcc_lo, exec_lo, s10
	s_mov_b64 s[10:11], 0
	v_cmp_ne_u32_e64 s0, 1, v0
	v_mov_b32_e32 v0, 0
	global_store_b8 v0, v1, s[2:3]
	s_cbranch_vccnz .LBB229_8
; %bb.6:
	s_mov_b64 s[12:13], s[8:9]
	.p2align	6
.LBB229_7:                              ; =>This Inner Loop Header: Depth=1
	s_delay_alu instid0(SALU_CYCLE_1) | instskip(SKIP_1) | instid1(SALU_CYCLE_1)
	s_sub_u32 s1, s12, s10
	s_subb_u32 s15, s13, s11
	s_lshr_b32 s14, s15, 31
	s_delay_alu instid0(SALU_CYCLE_1) | instskip(SKIP_1) | instid1(SALU_CYCLE_1)
	s_add_u32 s14, s1, s14
	s_addc_u32 s15, s15, 0
	s_ashr_i64 s[14:15], s[14:15], 1
	s_delay_alu instid0(SALU_CYCLE_1) | instskip(SKIP_1) | instid1(SALU_CYCLE_1)
	s_add_u32 s14, s14, s10
	s_addc_u32 s15, s15, s11
	s_lshl_b64 s[16:17], s[14:15], 2
	s_delay_alu instid0(SALU_CYCLE_1)
	s_add_u32 s16, s6, s16
	s_addc_u32 s17, s7, s17
	s_load_b32 s1, s[16:17], 0x0
	s_add_u32 s16, s14, 1
	s_addc_u32 s17, s15, 0
	s_waitcnt lgkmcnt(0)
	s_cmp_lt_i32 s1, 1
	s_cselect_b32 s11, s17, s11
	s_cselect_b32 s10, s16, s10
	;; [unrolled: 1-line block ×4, first 2 shown]
	s_delay_alu instid0(SALU_CYCLE_1) | instskip(NEXT) | instid1(VALU_DEP_1)
	v_cmp_lt_i64_e64 s1, s[10:11], s[12:13]
	s_and_b32 vcc_lo, exec_lo, s1
	s_cbranch_vccnz .LBB229_7
.LBB229_8:
	s_cmp_eq_u64 s[10:11], s[4:5]
	s_mov_b32 s1, 0
	s_cbranch_scc1 .LBB229_10
; %bb.9:
	s_lshl_b64 s[10:11], s[10:11], 2
	s_delay_alu instid0(SALU_CYCLE_1)
	s_add_u32 s10, s6, s10
	s_addc_u32 s11, s7, s11
	s_load_b32 s1, s[10:11], 0x0
	s_waitcnt lgkmcnt(0)
	s_cmp_lt_i32 s1, 2
	s_cselect_b32 s1, -1, 0
.LBB229_10:
	s_delay_alu instid0(SALU_CYCLE_1)
	v_cndmask_b32_e64 v0, 0, 1, s1
	v_mov_b32_e32 v1, 0
	s_and_b32 vcc_lo, exec_lo, s0
	s_mov_b64 s[10:11], 0
	global_store_b8 v1, v0, s[2:3] offset:1
	s_cbranch_vccnz .LBB229_13
; %bb.11:
	s_mov_b64 s[12:13], s[8:9]
	.p2align	6
.LBB229_12:                             ; =>This Inner Loop Header: Depth=1
	s_delay_alu instid0(SALU_CYCLE_1) | instskip(SKIP_1) | instid1(SALU_CYCLE_1)
	s_sub_u32 s1, s12, s10
	s_subb_u32 s15, s13, s11
	s_lshr_b32 s14, s15, 31
	s_delay_alu instid0(SALU_CYCLE_1) | instskip(SKIP_1) | instid1(SALU_CYCLE_1)
	s_add_u32 s14, s1, s14
	s_addc_u32 s15, s15, 0
	s_ashr_i64 s[14:15], s[14:15], 1
	s_delay_alu instid0(SALU_CYCLE_1) | instskip(SKIP_1) | instid1(SALU_CYCLE_1)
	s_add_u32 s14, s14, s10
	s_addc_u32 s15, s15, s11
	s_lshl_b64 s[16:17], s[14:15], 2
	s_delay_alu instid0(SALU_CYCLE_1)
	s_add_u32 s16, s6, s16
	s_addc_u32 s17, s7, s17
	s_load_b32 s1, s[16:17], 0x0
	s_add_u32 s16, s14, 1
	s_addc_u32 s17, s15, 0
	s_waitcnt lgkmcnt(0)
	s_cmp_lt_i32 s1, 2
	s_cselect_b32 s11, s17, s11
	s_cselect_b32 s10, s16, s10
	;; [unrolled: 1-line block ×4, first 2 shown]
	s_delay_alu instid0(SALU_CYCLE_1) | instskip(NEXT) | instid1(VALU_DEP_1)
	v_cmp_lt_i64_e64 s1, s[10:11], s[12:13]
	s_and_b32 vcc_lo, exec_lo, s1
	s_cbranch_vccnz .LBB229_12
.LBB229_13:
	s_cmp_eq_u64 s[10:11], s[4:5]
	s_mov_b32 s1, 0
	s_cbranch_scc1 .LBB229_15
; %bb.14:
	s_lshl_b64 s[10:11], s[10:11], 2
	s_delay_alu instid0(SALU_CYCLE_1)
	s_add_u32 s10, s6, s10
	s_addc_u32 s11, s7, s11
	s_load_b32 s1, s[10:11], 0x0
	s_waitcnt lgkmcnt(0)
	s_cmp_lt_i32 s1, 3
	s_cselect_b32 s1, -1, 0
.LBB229_15:
	s_delay_alu instid0(SALU_CYCLE_1)
	v_cndmask_b32_e64 v0, 0, 1, s1
	v_mov_b32_e32 v1, 0
	s_and_b32 vcc_lo, exec_lo, s0
	s_mov_b64 s[10:11], 0
	global_store_b8 v1, v0, s[2:3] offset:2
	s_cbranch_vccnz .LBB229_18
; %bb.16:
	s_mov_b64 s[12:13], s[8:9]
	.p2align	6
.LBB229_17:                             ; =>This Inner Loop Header: Depth=1
	s_delay_alu instid0(SALU_CYCLE_1) | instskip(SKIP_1) | instid1(SALU_CYCLE_1)
	s_sub_u32 s1, s12, s10
	s_subb_u32 s15, s13, s11
	s_lshr_b32 s14, s15, 31
	s_delay_alu instid0(SALU_CYCLE_1) | instskip(SKIP_1) | instid1(SALU_CYCLE_1)
	s_add_u32 s14, s1, s14
	s_addc_u32 s15, s15, 0
	s_ashr_i64 s[14:15], s[14:15], 1
	s_delay_alu instid0(SALU_CYCLE_1) | instskip(SKIP_1) | instid1(SALU_CYCLE_1)
	s_add_u32 s14, s14, s10
	s_addc_u32 s15, s15, s11
	s_lshl_b64 s[16:17], s[14:15], 2
	s_delay_alu instid0(SALU_CYCLE_1)
	s_add_u32 s16, s6, s16
	s_addc_u32 s17, s7, s17
	s_load_b32 s1, s[16:17], 0x0
	s_add_u32 s16, s14, 1
	s_addc_u32 s17, s15, 0
	s_waitcnt lgkmcnt(0)
	s_cmp_lt_i32 s1, 3
	s_cselect_b32 s11, s17, s11
	s_cselect_b32 s10, s16, s10
	s_cselect_b32 s13, s13, s15
	s_cselect_b32 s12, s12, s14
	s_delay_alu instid0(SALU_CYCLE_1) | instskip(NEXT) | instid1(VALU_DEP_1)
	v_cmp_lt_i64_e64 s1, s[10:11], s[12:13]
	s_and_b32 vcc_lo, exec_lo, s1
	s_cbranch_vccnz .LBB229_17
.LBB229_18:
	s_cmp_eq_u64 s[10:11], s[4:5]
	s_mov_b32 s1, 0
	s_cbranch_scc1 .LBB229_20
; %bb.19:
	s_lshl_b64 s[10:11], s[10:11], 2
	s_delay_alu instid0(SALU_CYCLE_1)
	s_add_u32 s10, s6, s10
	s_addc_u32 s11, s7, s11
	s_load_b32 s1, s[10:11], 0x0
	s_waitcnt lgkmcnt(0)
	s_cmp_lt_i32 s1, 4
	s_cselect_b32 s1, -1, 0
.LBB229_20:
	s_delay_alu instid0(SALU_CYCLE_1)
	v_cndmask_b32_e64 v0, 0, 1, s1
	v_mov_b32_e32 v1, 0
	s_and_b32 vcc_lo, exec_lo, s0
	s_mov_b64 s[10:11], 0
	global_store_b8 v1, v0, s[2:3] offset:3
	s_cbranch_vccnz .LBB229_23
; %bb.21:
	s_mov_b64 s[12:13], s[8:9]
	.p2align	6
.LBB229_22:                             ; =>This Inner Loop Header: Depth=1
	s_delay_alu instid0(SALU_CYCLE_1) | instskip(SKIP_1) | instid1(SALU_CYCLE_1)
	s_sub_u32 s1, s12, s10
	s_subb_u32 s15, s13, s11
	s_lshr_b32 s14, s15, 31
	s_delay_alu instid0(SALU_CYCLE_1) | instskip(SKIP_1) | instid1(SALU_CYCLE_1)
	s_add_u32 s14, s1, s14
	s_addc_u32 s15, s15, 0
	s_ashr_i64 s[14:15], s[14:15], 1
	s_delay_alu instid0(SALU_CYCLE_1) | instskip(SKIP_1) | instid1(SALU_CYCLE_1)
	s_add_u32 s14, s14, s10
	s_addc_u32 s15, s15, s11
	s_lshl_b64 s[16:17], s[14:15], 2
	s_delay_alu instid0(SALU_CYCLE_1)
	s_add_u32 s16, s6, s16
	s_addc_u32 s17, s7, s17
	s_load_b32 s1, s[16:17], 0x0
	s_add_u32 s16, s14, 1
	s_addc_u32 s17, s15, 0
	s_waitcnt lgkmcnt(0)
	s_cmp_lt_i32 s1, 4
	s_cselect_b32 s11, s17, s11
	s_cselect_b32 s10, s16, s10
	;; [unrolled: 1-line block ×4, first 2 shown]
	s_delay_alu instid0(SALU_CYCLE_1) | instskip(NEXT) | instid1(VALU_DEP_1)
	v_cmp_lt_i64_e64 s1, s[10:11], s[12:13]
	s_and_b32 vcc_lo, exec_lo, s1
	s_cbranch_vccnz .LBB229_22
.LBB229_23:
	s_cmp_eq_u64 s[10:11], s[4:5]
	s_mov_b32 s1, 0
	s_cbranch_scc1 .LBB229_25
; %bb.24:
	s_lshl_b64 s[10:11], s[10:11], 2
	s_delay_alu instid0(SALU_CYCLE_1)
	s_add_u32 s10, s6, s10
	s_addc_u32 s11, s7, s11
	s_load_b32 s1, s[10:11], 0x0
	s_waitcnt lgkmcnt(0)
	s_cmp_lt_i32 s1, 5
	s_cselect_b32 s1, -1, 0
.LBB229_25:
	s_delay_alu instid0(SALU_CYCLE_1)
	v_cndmask_b32_e64 v0, 0, 1, s1
	v_mov_b32_e32 v1, 0
	s_and_b32 vcc_lo, exec_lo, s0
	s_mov_b64 s[10:11], 0
	global_store_b8 v1, v0, s[2:3] offset:4
	s_cbranch_vccnz .LBB229_28
; %bb.26:
	s_mov_b64 s[12:13], s[8:9]
	.p2align	6
.LBB229_27:                             ; =>This Inner Loop Header: Depth=1
	s_delay_alu instid0(SALU_CYCLE_1) | instskip(SKIP_1) | instid1(SALU_CYCLE_1)
	s_sub_u32 s1, s12, s10
	s_subb_u32 s15, s13, s11
	s_lshr_b32 s14, s15, 31
	s_delay_alu instid0(SALU_CYCLE_1) | instskip(SKIP_1) | instid1(SALU_CYCLE_1)
	s_add_u32 s14, s1, s14
	s_addc_u32 s15, s15, 0
	s_ashr_i64 s[14:15], s[14:15], 1
	s_delay_alu instid0(SALU_CYCLE_1) | instskip(SKIP_1) | instid1(SALU_CYCLE_1)
	s_add_u32 s14, s14, s10
	s_addc_u32 s15, s15, s11
	s_lshl_b64 s[16:17], s[14:15], 2
	s_delay_alu instid0(SALU_CYCLE_1)
	s_add_u32 s16, s6, s16
	s_addc_u32 s17, s7, s17
	s_load_b32 s1, s[16:17], 0x0
	s_add_u32 s16, s14, 1
	s_addc_u32 s17, s15, 0
	s_waitcnt lgkmcnt(0)
	s_cmp_lt_i32 s1, 5
	s_cselect_b32 s11, s17, s11
	s_cselect_b32 s10, s16, s10
	s_cselect_b32 s13, s13, s15
	s_cselect_b32 s12, s12, s14
	s_delay_alu instid0(SALU_CYCLE_1) | instskip(NEXT) | instid1(VALU_DEP_1)
	v_cmp_lt_i64_e64 s1, s[10:11], s[12:13]
	s_and_b32 vcc_lo, exec_lo, s1
	s_cbranch_vccnz .LBB229_27
.LBB229_28:
	s_cmp_eq_u64 s[10:11], s[4:5]
	s_mov_b32 s1, 0
	s_cbranch_scc1 .LBB229_30
; %bb.29:
	s_lshl_b64 s[10:11], s[10:11], 2
	s_delay_alu instid0(SALU_CYCLE_1)
	s_add_u32 s10, s6, s10
	s_addc_u32 s11, s7, s11
	s_load_b32 s1, s[10:11], 0x0
	s_waitcnt lgkmcnt(0)
	s_cmp_lt_i32 s1, 6
	s_cselect_b32 s1, -1, 0
.LBB229_30:
	s_delay_alu instid0(SALU_CYCLE_1)
	v_cndmask_b32_e64 v0, 0, 1, s1
	v_mov_b32_e32 v1, 0
	s_and_b32 vcc_lo, exec_lo, s0
	s_mov_b64 s[10:11], 0
	global_store_b8 v1, v0, s[2:3] offset:5
	s_cbranch_vccnz .LBB229_33
; %bb.31:
	s_mov_b64 s[12:13], s[8:9]
	.p2align	6
.LBB229_32:                             ; =>This Inner Loop Header: Depth=1
	s_delay_alu instid0(SALU_CYCLE_1) | instskip(SKIP_1) | instid1(SALU_CYCLE_1)
	s_sub_u32 s1, s12, s10
	s_subb_u32 s15, s13, s11
	s_lshr_b32 s14, s15, 31
	s_delay_alu instid0(SALU_CYCLE_1) | instskip(SKIP_1) | instid1(SALU_CYCLE_1)
	s_add_u32 s14, s1, s14
	s_addc_u32 s15, s15, 0
	s_ashr_i64 s[14:15], s[14:15], 1
	s_delay_alu instid0(SALU_CYCLE_1) | instskip(SKIP_1) | instid1(SALU_CYCLE_1)
	s_add_u32 s14, s14, s10
	s_addc_u32 s15, s15, s11
	s_lshl_b64 s[16:17], s[14:15], 2
	s_delay_alu instid0(SALU_CYCLE_1)
	s_add_u32 s16, s6, s16
	s_addc_u32 s17, s7, s17
	s_load_b32 s1, s[16:17], 0x0
	s_add_u32 s16, s14, 1
	s_addc_u32 s17, s15, 0
	s_waitcnt lgkmcnt(0)
	s_cmp_lt_i32 s1, 6
	s_cselect_b32 s11, s17, s11
	s_cselect_b32 s10, s16, s10
	;; [unrolled: 1-line block ×4, first 2 shown]
	s_delay_alu instid0(SALU_CYCLE_1) | instskip(NEXT) | instid1(VALU_DEP_1)
	v_cmp_lt_i64_e64 s1, s[10:11], s[12:13]
	s_and_b32 vcc_lo, exec_lo, s1
	s_cbranch_vccnz .LBB229_32
.LBB229_33:
	s_cmp_eq_u64 s[10:11], s[4:5]
	s_mov_b32 s1, 0
	s_cbranch_scc1 .LBB229_35
; %bb.34:
	s_lshl_b64 s[10:11], s[10:11], 2
	s_delay_alu instid0(SALU_CYCLE_1)
	s_add_u32 s10, s6, s10
	s_addc_u32 s11, s7, s11
	s_load_b32 s1, s[10:11], 0x0
	s_waitcnt lgkmcnt(0)
	s_cmp_lt_i32 s1, 7
	s_cselect_b32 s1, -1, 0
.LBB229_35:
	s_delay_alu instid0(SALU_CYCLE_1)
	v_cndmask_b32_e64 v0, 0, 1, s1
	v_mov_b32_e32 v1, 0
	s_and_b32 vcc_lo, exec_lo, s0
	s_mov_b64 s[10:11], 0
	global_store_b8 v1, v0, s[2:3] offset:6
	s_cbranch_vccnz .LBB229_38
; %bb.36:
	s_mov_b64 s[12:13], s[8:9]
	.p2align	6
.LBB229_37:                             ; =>This Inner Loop Header: Depth=1
	s_delay_alu instid0(SALU_CYCLE_1) | instskip(SKIP_1) | instid1(SALU_CYCLE_1)
	s_sub_u32 s1, s12, s10
	s_subb_u32 s15, s13, s11
	s_lshr_b32 s14, s15, 31
	s_delay_alu instid0(SALU_CYCLE_1) | instskip(SKIP_1) | instid1(SALU_CYCLE_1)
	s_add_u32 s14, s1, s14
	s_addc_u32 s15, s15, 0
	s_ashr_i64 s[14:15], s[14:15], 1
	s_delay_alu instid0(SALU_CYCLE_1) | instskip(SKIP_1) | instid1(SALU_CYCLE_1)
	s_add_u32 s14, s14, s10
	s_addc_u32 s15, s15, s11
	s_lshl_b64 s[16:17], s[14:15], 2
	s_delay_alu instid0(SALU_CYCLE_1)
	s_add_u32 s16, s6, s16
	s_addc_u32 s17, s7, s17
	s_load_b32 s1, s[16:17], 0x0
	s_add_u32 s16, s14, 1
	s_addc_u32 s17, s15, 0
	s_waitcnt lgkmcnt(0)
	s_cmp_lt_i32 s1, 7
	s_cselect_b32 s11, s17, s11
	s_cselect_b32 s10, s16, s10
	;; [unrolled: 1-line block ×4, first 2 shown]
	s_delay_alu instid0(SALU_CYCLE_1) | instskip(NEXT) | instid1(VALU_DEP_1)
	v_cmp_lt_i64_e64 s1, s[10:11], s[12:13]
	s_and_b32 vcc_lo, exec_lo, s1
	s_cbranch_vccnz .LBB229_37
.LBB229_38:
	s_cmp_eq_u64 s[10:11], s[4:5]
	s_mov_b32 s1, 0
	s_cbranch_scc1 .LBB229_40
; %bb.39:
	s_lshl_b64 s[10:11], s[10:11], 2
	s_delay_alu instid0(SALU_CYCLE_1)
	s_add_u32 s10, s6, s10
	s_addc_u32 s11, s7, s11
	s_load_b32 s1, s[10:11], 0x0
	s_waitcnt lgkmcnt(0)
	s_cmp_lt_i32 s1, 8
	s_cselect_b32 s1, -1, 0
.LBB229_40:
	s_delay_alu instid0(SALU_CYCLE_1)
	v_cndmask_b32_e64 v0, 0, 1, s1
	v_mov_b32_e32 v1, 0
	s_and_b32 vcc_lo, exec_lo, s0
	s_mov_b64 s[10:11], 0
	global_store_b8 v1, v0, s[2:3] offset:7
	s_cbranch_vccnz .LBB229_43
; %bb.41:
	s_mov_b64 s[12:13], s[8:9]
	.p2align	6
.LBB229_42:                             ; =>This Inner Loop Header: Depth=1
	s_delay_alu instid0(SALU_CYCLE_1) | instskip(SKIP_1) | instid1(SALU_CYCLE_1)
	s_sub_u32 s1, s12, s10
	s_subb_u32 s15, s13, s11
	s_lshr_b32 s14, s15, 31
	s_delay_alu instid0(SALU_CYCLE_1) | instskip(SKIP_1) | instid1(SALU_CYCLE_1)
	s_add_u32 s14, s1, s14
	s_addc_u32 s15, s15, 0
	s_ashr_i64 s[14:15], s[14:15], 1
	s_delay_alu instid0(SALU_CYCLE_1) | instskip(SKIP_1) | instid1(SALU_CYCLE_1)
	s_add_u32 s14, s14, s10
	s_addc_u32 s15, s15, s11
	s_lshl_b64 s[16:17], s[14:15], 2
	s_delay_alu instid0(SALU_CYCLE_1)
	s_add_u32 s16, s6, s16
	s_addc_u32 s17, s7, s17
	s_load_b32 s1, s[16:17], 0x0
	s_add_u32 s16, s14, 1
	s_addc_u32 s17, s15, 0
	s_waitcnt lgkmcnt(0)
	s_cmp_lt_i32 s1, 8
	s_cselect_b32 s11, s17, s11
	s_cselect_b32 s10, s16, s10
	;; [unrolled: 1-line block ×4, first 2 shown]
	s_delay_alu instid0(SALU_CYCLE_1) | instskip(NEXT) | instid1(VALU_DEP_1)
	v_cmp_lt_i64_e64 s1, s[10:11], s[12:13]
	s_and_b32 vcc_lo, exec_lo, s1
	s_cbranch_vccnz .LBB229_42
.LBB229_43:
	s_cmp_eq_u64 s[10:11], s[4:5]
	s_mov_b32 s1, 0
	s_cbranch_scc1 .LBB229_45
; %bb.44:
	s_lshl_b64 s[10:11], s[10:11], 2
	s_delay_alu instid0(SALU_CYCLE_1)
	s_add_u32 s10, s6, s10
	s_addc_u32 s11, s7, s11
	s_load_b32 s1, s[10:11], 0x0
	s_waitcnt lgkmcnt(0)
	s_cmp_lt_i32 s1, 9
	s_cselect_b32 s1, -1, 0
.LBB229_45:
	s_delay_alu instid0(SALU_CYCLE_1)
	v_cndmask_b32_e64 v0, 0, 1, s1
	v_mov_b32_e32 v1, 0
	s_and_b32 vcc_lo, exec_lo, s0
	s_mov_b64 s[0:1], 0
	global_store_b8 v1, v0, s[2:3] offset:8
	s_cbranch_vccnz .LBB229_47
	.p2align	6
.LBB229_46:                             ; =>This Inner Loop Header: Depth=1
	s_sub_u32 s10, s8, s0
	s_subb_u32 s11, s9, s1
	s_delay_alu instid0(SALU_CYCLE_1) | instskip(NEXT) | instid1(SALU_CYCLE_1)
	s_lshr_b32 s12, s11, 31
	s_add_u32 s10, s10, s12
	s_addc_u32 s11, s11, 0
	s_delay_alu instid0(SALU_CYCLE_1) | instskip(NEXT) | instid1(SALU_CYCLE_1)
	s_ashr_i64 s[10:11], s[10:11], 1
	s_add_u32 s10, s10, s0
	s_addc_u32 s11, s11, s1
	s_delay_alu instid0(SALU_CYCLE_1) | instskip(NEXT) | instid1(SALU_CYCLE_1)
	s_lshl_b64 s[12:13], s[10:11], 2
	s_add_u32 s12, s6, s12
	s_addc_u32 s13, s7, s13
	s_load_b32 s12, s[12:13], 0x0
	s_add_u32 s13, s10, 1
	s_addc_u32 s14, s11, 0
	s_waitcnt lgkmcnt(0)
	s_cmp_lt_i32 s12, 9
	s_cselect_b32 s1, s14, s1
	s_cselect_b32 s0, s13, s0
	;; [unrolled: 1-line block ×4, first 2 shown]
	s_delay_alu instid0(SALU_CYCLE_1) | instskip(NEXT) | instid1(VALU_DEP_1)
	v_cmp_lt_i64_e64 s10, s[0:1], s[8:9]
	s_and_b32 vcc_lo, exec_lo, s10
	s_cbranch_vccnz .LBB229_46
.LBB229_47:
	s_cmp_eq_u64 s[0:1], s[4:5]
	s_mov_b32 s4, 0
	s_cbranch_scc1 .LBB229_49
; %bb.48:
	s_lshl_b64 s[0:1], s[0:1], 2
	s_delay_alu instid0(SALU_CYCLE_1)
	s_add_u32 s0, s6, s0
	s_addc_u32 s1, s7, s1
	s_load_b32 s0, s[0:1], 0x0
	s_waitcnt lgkmcnt(0)
	s_cmp_lt_i32 s0, 10
	s_cselect_b32 s4, -1, 0
.LBB229_49:
	v_mov_b32_e32 v0, 0
	v_cndmask_b32_e64 v1, 0, 1, s4
	global_store_b8 v0, v1, s[2:3] offset:9
	s_nop 0
	s_sendmsg sendmsg(MSG_DEALLOC_VGPRS)
	s_endpgm
	.section	.rodata,"a",@progbits
	.p2align	6, 0x0
	.amdhsa_kernel _Z20binary_search_kernelIiEvmPT_Pb
		.amdhsa_group_segment_fixed_size 0
		.amdhsa_private_segment_fixed_size 0
		.amdhsa_kernarg_size 24
		.amdhsa_user_sgpr_count 15
		.amdhsa_user_sgpr_dispatch_ptr 0
		.amdhsa_user_sgpr_queue_ptr 0
		.amdhsa_user_sgpr_kernarg_segment_ptr 1
		.amdhsa_user_sgpr_dispatch_id 0
		.amdhsa_user_sgpr_private_segment_size 0
		.amdhsa_wavefront_size32 1
		.amdhsa_uses_dynamic_stack 0
		.amdhsa_enable_private_segment 0
		.amdhsa_system_sgpr_workgroup_id_x 1
		.amdhsa_system_sgpr_workgroup_id_y 0
		.amdhsa_system_sgpr_workgroup_id_z 0
		.amdhsa_system_sgpr_workgroup_info 0
		.amdhsa_system_vgpr_workitem_id 0
		.amdhsa_next_free_vgpr 2
		.amdhsa_next_free_sgpr 18
		.amdhsa_reserve_vcc 1
		.amdhsa_float_round_mode_32 0
		.amdhsa_float_round_mode_16_64 0
		.amdhsa_float_denorm_mode_32 3
		.amdhsa_float_denorm_mode_16_64 3
		.amdhsa_dx10_clamp 1
		.amdhsa_ieee_mode 1
		.amdhsa_fp16_overflow 0
		.amdhsa_workgroup_processor_mode 1
		.amdhsa_memory_ordered 1
		.amdhsa_forward_progress 0
		.amdhsa_shared_vgpr_count 0
		.amdhsa_exception_fp_ieee_invalid_op 0
		.amdhsa_exception_fp_denorm_src 0
		.amdhsa_exception_fp_ieee_div_zero 0
		.amdhsa_exception_fp_ieee_overflow 0
		.amdhsa_exception_fp_ieee_underflow 0
		.amdhsa_exception_fp_ieee_inexact 0
		.amdhsa_exception_int_div_zero 0
	.end_amdhsa_kernel
	.section	.text._Z20binary_search_kernelIiEvmPT_Pb,"axG",@progbits,_Z20binary_search_kernelIiEvmPT_Pb,comdat
.Lfunc_end229:
	.size	_Z20binary_search_kernelIiEvmPT_Pb, .Lfunc_end229-_Z20binary_search_kernelIiEvmPT_Pb
                                        ; -- End function
	.section	.AMDGPU.csdata,"",@progbits
; Kernel info:
; codeLenInByte = 2152
; NumSgprs: 20
; NumVgprs: 2
; ScratchSize: 0
; MemoryBound: 0
; FloatMode: 240
; IeeeMode: 1
; LDSByteSize: 0 bytes/workgroup (compile time only)
; SGPRBlocks: 2
; VGPRBlocks: 0
; NumSGPRsForWavesPerEU: 20
; NumVGPRsForWavesPerEU: 2
; Occupancy: 16
; WaveLimiterHint : 0
; COMPUTE_PGM_RSRC2:SCRATCH_EN: 0
; COMPUTE_PGM_RSRC2:USER_SGPR: 15
; COMPUTE_PGM_RSRC2:TRAP_HANDLER: 0
; COMPUTE_PGM_RSRC2:TGID_X_EN: 1
; COMPUTE_PGM_RSRC2:TGID_Y_EN: 0
; COMPUTE_PGM_RSRC2:TGID_Z_EN: 0
; COMPUTE_PGM_RSRC2:TIDIG_COMP_CNT: 0
	.section	.text._ZN7rocprim17ROCPRIM_400000_NS6detail17trampoline_kernelINS0_14default_configENS1_29binary_search_config_selectorIibEEZNS1_14transform_implILb0ES3_S5_N6thrust23THRUST_200600_302600_NS17counting_iteratorIiNS8_11use_defaultESA_SA_EEPbZNS1_13binary_searchIS3_S5_PiSB_SC_NS1_16binary_search_opENS8_6detail16wrapped_functionINS0_4lessIvEEbEEEE10hipError_tPvRmT1_T2_T3_mmT4_T5_P12ihipStream_tbEUlRKiE_EESL_SP_SQ_mSR_SU_bEUlT_E_NS1_11comp_targetILNS1_3genE0ELNS1_11target_archE4294967295ELNS1_3gpuE0ELNS1_3repE0EEENS1_30default_config_static_selectorELNS0_4arch9wavefront6targetE0EEEvSO_,"axG",@progbits,_ZN7rocprim17ROCPRIM_400000_NS6detail17trampoline_kernelINS0_14default_configENS1_29binary_search_config_selectorIibEEZNS1_14transform_implILb0ES3_S5_N6thrust23THRUST_200600_302600_NS17counting_iteratorIiNS8_11use_defaultESA_SA_EEPbZNS1_13binary_searchIS3_S5_PiSB_SC_NS1_16binary_search_opENS8_6detail16wrapped_functionINS0_4lessIvEEbEEEE10hipError_tPvRmT1_T2_T3_mmT4_T5_P12ihipStream_tbEUlRKiE_EESL_SP_SQ_mSR_SU_bEUlT_E_NS1_11comp_targetILNS1_3genE0ELNS1_11target_archE4294967295ELNS1_3gpuE0ELNS1_3repE0EEENS1_30default_config_static_selectorELNS0_4arch9wavefront6targetE0EEEvSO_,comdat
	.protected	_ZN7rocprim17ROCPRIM_400000_NS6detail17trampoline_kernelINS0_14default_configENS1_29binary_search_config_selectorIibEEZNS1_14transform_implILb0ES3_S5_N6thrust23THRUST_200600_302600_NS17counting_iteratorIiNS8_11use_defaultESA_SA_EEPbZNS1_13binary_searchIS3_S5_PiSB_SC_NS1_16binary_search_opENS8_6detail16wrapped_functionINS0_4lessIvEEbEEEE10hipError_tPvRmT1_T2_T3_mmT4_T5_P12ihipStream_tbEUlRKiE_EESL_SP_SQ_mSR_SU_bEUlT_E_NS1_11comp_targetILNS1_3genE0ELNS1_11target_archE4294967295ELNS1_3gpuE0ELNS1_3repE0EEENS1_30default_config_static_selectorELNS0_4arch9wavefront6targetE0EEEvSO_ ; -- Begin function _ZN7rocprim17ROCPRIM_400000_NS6detail17trampoline_kernelINS0_14default_configENS1_29binary_search_config_selectorIibEEZNS1_14transform_implILb0ES3_S5_N6thrust23THRUST_200600_302600_NS17counting_iteratorIiNS8_11use_defaultESA_SA_EEPbZNS1_13binary_searchIS3_S5_PiSB_SC_NS1_16binary_search_opENS8_6detail16wrapped_functionINS0_4lessIvEEbEEEE10hipError_tPvRmT1_T2_T3_mmT4_T5_P12ihipStream_tbEUlRKiE_EESL_SP_SQ_mSR_SU_bEUlT_E_NS1_11comp_targetILNS1_3genE0ELNS1_11target_archE4294967295ELNS1_3gpuE0ELNS1_3repE0EEENS1_30default_config_static_selectorELNS0_4arch9wavefront6targetE0EEEvSO_
	.globl	_ZN7rocprim17ROCPRIM_400000_NS6detail17trampoline_kernelINS0_14default_configENS1_29binary_search_config_selectorIibEEZNS1_14transform_implILb0ES3_S5_N6thrust23THRUST_200600_302600_NS17counting_iteratorIiNS8_11use_defaultESA_SA_EEPbZNS1_13binary_searchIS3_S5_PiSB_SC_NS1_16binary_search_opENS8_6detail16wrapped_functionINS0_4lessIvEEbEEEE10hipError_tPvRmT1_T2_T3_mmT4_T5_P12ihipStream_tbEUlRKiE_EESL_SP_SQ_mSR_SU_bEUlT_E_NS1_11comp_targetILNS1_3genE0ELNS1_11target_archE4294967295ELNS1_3gpuE0ELNS1_3repE0EEENS1_30default_config_static_selectorELNS0_4arch9wavefront6targetE0EEEvSO_
	.p2align	8
	.type	_ZN7rocprim17ROCPRIM_400000_NS6detail17trampoline_kernelINS0_14default_configENS1_29binary_search_config_selectorIibEEZNS1_14transform_implILb0ES3_S5_N6thrust23THRUST_200600_302600_NS17counting_iteratorIiNS8_11use_defaultESA_SA_EEPbZNS1_13binary_searchIS3_S5_PiSB_SC_NS1_16binary_search_opENS8_6detail16wrapped_functionINS0_4lessIvEEbEEEE10hipError_tPvRmT1_T2_T3_mmT4_T5_P12ihipStream_tbEUlRKiE_EESL_SP_SQ_mSR_SU_bEUlT_E_NS1_11comp_targetILNS1_3genE0ELNS1_11target_archE4294967295ELNS1_3gpuE0ELNS1_3repE0EEENS1_30default_config_static_selectorELNS0_4arch9wavefront6targetE0EEEvSO_,@function
_ZN7rocprim17ROCPRIM_400000_NS6detail17trampoline_kernelINS0_14default_configENS1_29binary_search_config_selectorIibEEZNS1_14transform_implILb0ES3_S5_N6thrust23THRUST_200600_302600_NS17counting_iteratorIiNS8_11use_defaultESA_SA_EEPbZNS1_13binary_searchIS3_S5_PiSB_SC_NS1_16binary_search_opENS8_6detail16wrapped_functionINS0_4lessIvEEbEEEE10hipError_tPvRmT1_T2_T3_mmT4_T5_P12ihipStream_tbEUlRKiE_EESL_SP_SQ_mSR_SU_bEUlT_E_NS1_11comp_targetILNS1_3genE0ELNS1_11target_archE4294967295ELNS1_3gpuE0ELNS1_3repE0EEENS1_30default_config_static_selectorELNS0_4arch9wavefront6targetE0EEEvSO_: ; @_ZN7rocprim17ROCPRIM_400000_NS6detail17trampoline_kernelINS0_14default_configENS1_29binary_search_config_selectorIibEEZNS1_14transform_implILb0ES3_S5_N6thrust23THRUST_200600_302600_NS17counting_iteratorIiNS8_11use_defaultESA_SA_EEPbZNS1_13binary_searchIS3_S5_PiSB_SC_NS1_16binary_search_opENS8_6detail16wrapped_functionINS0_4lessIvEEbEEEE10hipError_tPvRmT1_T2_T3_mmT4_T5_P12ihipStream_tbEUlRKiE_EESL_SP_SQ_mSR_SU_bEUlT_E_NS1_11comp_targetILNS1_3genE0ELNS1_11target_archE4294967295ELNS1_3gpuE0ELNS1_3repE0EEENS1_30default_config_static_selectorELNS0_4arch9wavefront6targetE0EEEvSO_
; %bb.0:
	.section	.rodata,"a",@progbits
	.p2align	6, 0x0
	.amdhsa_kernel _ZN7rocprim17ROCPRIM_400000_NS6detail17trampoline_kernelINS0_14default_configENS1_29binary_search_config_selectorIibEEZNS1_14transform_implILb0ES3_S5_N6thrust23THRUST_200600_302600_NS17counting_iteratorIiNS8_11use_defaultESA_SA_EEPbZNS1_13binary_searchIS3_S5_PiSB_SC_NS1_16binary_search_opENS8_6detail16wrapped_functionINS0_4lessIvEEbEEEE10hipError_tPvRmT1_T2_T3_mmT4_T5_P12ihipStream_tbEUlRKiE_EESL_SP_SQ_mSR_SU_bEUlT_E_NS1_11comp_targetILNS1_3genE0ELNS1_11target_archE4294967295ELNS1_3gpuE0ELNS1_3repE0EEENS1_30default_config_static_selectorELNS0_4arch9wavefront6targetE0EEEvSO_
		.amdhsa_group_segment_fixed_size 0
		.amdhsa_private_segment_fixed_size 0
		.amdhsa_kernarg_size 56
		.amdhsa_user_sgpr_count 15
		.amdhsa_user_sgpr_dispatch_ptr 0
		.amdhsa_user_sgpr_queue_ptr 0
		.amdhsa_user_sgpr_kernarg_segment_ptr 1
		.amdhsa_user_sgpr_dispatch_id 0
		.amdhsa_user_sgpr_private_segment_size 0
		.amdhsa_wavefront_size32 1
		.amdhsa_uses_dynamic_stack 0
		.amdhsa_enable_private_segment 0
		.amdhsa_system_sgpr_workgroup_id_x 1
		.amdhsa_system_sgpr_workgroup_id_y 0
		.amdhsa_system_sgpr_workgroup_id_z 0
		.amdhsa_system_sgpr_workgroup_info 0
		.amdhsa_system_vgpr_workitem_id 0
		.amdhsa_next_free_vgpr 1
		.amdhsa_next_free_sgpr 1
		.amdhsa_reserve_vcc 0
		.amdhsa_float_round_mode_32 0
		.amdhsa_float_round_mode_16_64 0
		.amdhsa_float_denorm_mode_32 3
		.amdhsa_float_denorm_mode_16_64 3
		.amdhsa_dx10_clamp 1
		.amdhsa_ieee_mode 1
		.amdhsa_fp16_overflow 0
		.amdhsa_workgroup_processor_mode 1
		.amdhsa_memory_ordered 1
		.amdhsa_forward_progress 0
		.amdhsa_shared_vgpr_count 0
		.amdhsa_exception_fp_ieee_invalid_op 0
		.amdhsa_exception_fp_denorm_src 0
		.amdhsa_exception_fp_ieee_div_zero 0
		.amdhsa_exception_fp_ieee_overflow 0
		.amdhsa_exception_fp_ieee_underflow 0
		.amdhsa_exception_fp_ieee_inexact 0
		.amdhsa_exception_int_div_zero 0
	.end_amdhsa_kernel
	.section	.text._ZN7rocprim17ROCPRIM_400000_NS6detail17trampoline_kernelINS0_14default_configENS1_29binary_search_config_selectorIibEEZNS1_14transform_implILb0ES3_S5_N6thrust23THRUST_200600_302600_NS17counting_iteratorIiNS8_11use_defaultESA_SA_EEPbZNS1_13binary_searchIS3_S5_PiSB_SC_NS1_16binary_search_opENS8_6detail16wrapped_functionINS0_4lessIvEEbEEEE10hipError_tPvRmT1_T2_T3_mmT4_T5_P12ihipStream_tbEUlRKiE_EESL_SP_SQ_mSR_SU_bEUlT_E_NS1_11comp_targetILNS1_3genE0ELNS1_11target_archE4294967295ELNS1_3gpuE0ELNS1_3repE0EEENS1_30default_config_static_selectorELNS0_4arch9wavefront6targetE0EEEvSO_,"axG",@progbits,_ZN7rocprim17ROCPRIM_400000_NS6detail17trampoline_kernelINS0_14default_configENS1_29binary_search_config_selectorIibEEZNS1_14transform_implILb0ES3_S5_N6thrust23THRUST_200600_302600_NS17counting_iteratorIiNS8_11use_defaultESA_SA_EEPbZNS1_13binary_searchIS3_S5_PiSB_SC_NS1_16binary_search_opENS8_6detail16wrapped_functionINS0_4lessIvEEbEEEE10hipError_tPvRmT1_T2_T3_mmT4_T5_P12ihipStream_tbEUlRKiE_EESL_SP_SQ_mSR_SU_bEUlT_E_NS1_11comp_targetILNS1_3genE0ELNS1_11target_archE4294967295ELNS1_3gpuE0ELNS1_3repE0EEENS1_30default_config_static_selectorELNS0_4arch9wavefront6targetE0EEEvSO_,comdat
.Lfunc_end230:
	.size	_ZN7rocprim17ROCPRIM_400000_NS6detail17trampoline_kernelINS0_14default_configENS1_29binary_search_config_selectorIibEEZNS1_14transform_implILb0ES3_S5_N6thrust23THRUST_200600_302600_NS17counting_iteratorIiNS8_11use_defaultESA_SA_EEPbZNS1_13binary_searchIS3_S5_PiSB_SC_NS1_16binary_search_opENS8_6detail16wrapped_functionINS0_4lessIvEEbEEEE10hipError_tPvRmT1_T2_T3_mmT4_T5_P12ihipStream_tbEUlRKiE_EESL_SP_SQ_mSR_SU_bEUlT_E_NS1_11comp_targetILNS1_3genE0ELNS1_11target_archE4294967295ELNS1_3gpuE0ELNS1_3repE0EEENS1_30default_config_static_selectorELNS0_4arch9wavefront6targetE0EEEvSO_, .Lfunc_end230-_ZN7rocprim17ROCPRIM_400000_NS6detail17trampoline_kernelINS0_14default_configENS1_29binary_search_config_selectorIibEEZNS1_14transform_implILb0ES3_S5_N6thrust23THRUST_200600_302600_NS17counting_iteratorIiNS8_11use_defaultESA_SA_EEPbZNS1_13binary_searchIS3_S5_PiSB_SC_NS1_16binary_search_opENS8_6detail16wrapped_functionINS0_4lessIvEEbEEEE10hipError_tPvRmT1_T2_T3_mmT4_T5_P12ihipStream_tbEUlRKiE_EESL_SP_SQ_mSR_SU_bEUlT_E_NS1_11comp_targetILNS1_3genE0ELNS1_11target_archE4294967295ELNS1_3gpuE0ELNS1_3repE0EEENS1_30default_config_static_selectorELNS0_4arch9wavefront6targetE0EEEvSO_
                                        ; -- End function
	.section	.AMDGPU.csdata,"",@progbits
; Kernel info:
; codeLenInByte = 0
; NumSgprs: 0
; NumVgprs: 0
; ScratchSize: 0
; MemoryBound: 0
; FloatMode: 240
; IeeeMode: 1
; LDSByteSize: 0 bytes/workgroup (compile time only)
; SGPRBlocks: 0
; VGPRBlocks: 0
; NumSGPRsForWavesPerEU: 1
; NumVGPRsForWavesPerEU: 1
; Occupancy: 16
; WaveLimiterHint : 0
; COMPUTE_PGM_RSRC2:SCRATCH_EN: 0
; COMPUTE_PGM_RSRC2:USER_SGPR: 15
; COMPUTE_PGM_RSRC2:TRAP_HANDLER: 0
; COMPUTE_PGM_RSRC2:TGID_X_EN: 1
; COMPUTE_PGM_RSRC2:TGID_Y_EN: 0
; COMPUTE_PGM_RSRC2:TGID_Z_EN: 0
; COMPUTE_PGM_RSRC2:TIDIG_COMP_CNT: 0
	.section	.text._ZN7rocprim17ROCPRIM_400000_NS6detail17trampoline_kernelINS0_14default_configENS1_29binary_search_config_selectorIibEEZNS1_14transform_implILb0ES3_S5_N6thrust23THRUST_200600_302600_NS17counting_iteratorIiNS8_11use_defaultESA_SA_EEPbZNS1_13binary_searchIS3_S5_PiSB_SC_NS1_16binary_search_opENS8_6detail16wrapped_functionINS0_4lessIvEEbEEEE10hipError_tPvRmT1_T2_T3_mmT4_T5_P12ihipStream_tbEUlRKiE_EESL_SP_SQ_mSR_SU_bEUlT_E_NS1_11comp_targetILNS1_3genE5ELNS1_11target_archE942ELNS1_3gpuE9ELNS1_3repE0EEENS1_30default_config_static_selectorELNS0_4arch9wavefront6targetE0EEEvSO_,"axG",@progbits,_ZN7rocprim17ROCPRIM_400000_NS6detail17trampoline_kernelINS0_14default_configENS1_29binary_search_config_selectorIibEEZNS1_14transform_implILb0ES3_S5_N6thrust23THRUST_200600_302600_NS17counting_iteratorIiNS8_11use_defaultESA_SA_EEPbZNS1_13binary_searchIS3_S5_PiSB_SC_NS1_16binary_search_opENS8_6detail16wrapped_functionINS0_4lessIvEEbEEEE10hipError_tPvRmT1_T2_T3_mmT4_T5_P12ihipStream_tbEUlRKiE_EESL_SP_SQ_mSR_SU_bEUlT_E_NS1_11comp_targetILNS1_3genE5ELNS1_11target_archE942ELNS1_3gpuE9ELNS1_3repE0EEENS1_30default_config_static_selectorELNS0_4arch9wavefront6targetE0EEEvSO_,comdat
	.protected	_ZN7rocprim17ROCPRIM_400000_NS6detail17trampoline_kernelINS0_14default_configENS1_29binary_search_config_selectorIibEEZNS1_14transform_implILb0ES3_S5_N6thrust23THRUST_200600_302600_NS17counting_iteratorIiNS8_11use_defaultESA_SA_EEPbZNS1_13binary_searchIS3_S5_PiSB_SC_NS1_16binary_search_opENS8_6detail16wrapped_functionINS0_4lessIvEEbEEEE10hipError_tPvRmT1_T2_T3_mmT4_T5_P12ihipStream_tbEUlRKiE_EESL_SP_SQ_mSR_SU_bEUlT_E_NS1_11comp_targetILNS1_3genE5ELNS1_11target_archE942ELNS1_3gpuE9ELNS1_3repE0EEENS1_30default_config_static_selectorELNS0_4arch9wavefront6targetE0EEEvSO_ ; -- Begin function _ZN7rocprim17ROCPRIM_400000_NS6detail17trampoline_kernelINS0_14default_configENS1_29binary_search_config_selectorIibEEZNS1_14transform_implILb0ES3_S5_N6thrust23THRUST_200600_302600_NS17counting_iteratorIiNS8_11use_defaultESA_SA_EEPbZNS1_13binary_searchIS3_S5_PiSB_SC_NS1_16binary_search_opENS8_6detail16wrapped_functionINS0_4lessIvEEbEEEE10hipError_tPvRmT1_T2_T3_mmT4_T5_P12ihipStream_tbEUlRKiE_EESL_SP_SQ_mSR_SU_bEUlT_E_NS1_11comp_targetILNS1_3genE5ELNS1_11target_archE942ELNS1_3gpuE9ELNS1_3repE0EEENS1_30default_config_static_selectorELNS0_4arch9wavefront6targetE0EEEvSO_
	.globl	_ZN7rocprim17ROCPRIM_400000_NS6detail17trampoline_kernelINS0_14default_configENS1_29binary_search_config_selectorIibEEZNS1_14transform_implILb0ES3_S5_N6thrust23THRUST_200600_302600_NS17counting_iteratorIiNS8_11use_defaultESA_SA_EEPbZNS1_13binary_searchIS3_S5_PiSB_SC_NS1_16binary_search_opENS8_6detail16wrapped_functionINS0_4lessIvEEbEEEE10hipError_tPvRmT1_T2_T3_mmT4_T5_P12ihipStream_tbEUlRKiE_EESL_SP_SQ_mSR_SU_bEUlT_E_NS1_11comp_targetILNS1_3genE5ELNS1_11target_archE942ELNS1_3gpuE9ELNS1_3repE0EEENS1_30default_config_static_selectorELNS0_4arch9wavefront6targetE0EEEvSO_
	.p2align	8
	.type	_ZN7rocprim17ROCPRIM_400000_NS6detail17trampoline_kernelINS0_14default_configENS1_29binary_search_config_selectorIibEEZNS1_14transform_implILb0ES3_S5_N6thrust23THRUST_200600_302600_NS17counting_iteratorIiNS8_11use_defaultESA_SA_EEPbZNS1_13binary_searchIS3_S5_PiSB_SC_NS1_16binary_search_opENS8_6detail16wrapped_functionINS0_4lessIvEEbEEEE10hipError_tPvRmT1_T2_T3_mmT4_T5_P12ihipStream_tbEUlRKiE_EESL_SP_SQ_mSR_SU_bEUlT_E_NS1_11comp_targetILNS1_3genE5ELNS1_11target_archE942ELNS1_3gpuE9ELNS1_3repE0EEENS1_30default_config_static_selectorELNS0_4arch9wavefront6targetE0EEEvSO_,@function
_ZN7rocprim17ROCPRIM_400000_NS6detail17trampoline_kernelINS0_14default_configENS1_29binary_search_config_selectorIibEEZNS1_14transform_implILb0ES3_S5_N6thrust23THRUST_200600_302600_NS17counting_iteratorIiNS8_11use_defaultESA_SA_EEPbZNS1_13binary_searchIS3_S5_PiSB_SC_NS1_16binary_search_opENS8_6detail16wrapped_functionINS0_4lessIvEEbEEEE10hipError_tPvRmT1_T2_T3_mmT4_T5_P12ihipStream_tbEUlRKiE_EESL_SP_SQ_mSR_SU_bEUlT_E_NS1_11comp_targetILNS1_3genE5ELNS1_11target_archE942ELNS1_3gpuE9ELNS1_3repE0EEENS1_30default_config_static_selectorELNS0_4arch9wavefront6targetE0EEEvSO_: ; @_ZN7rocprim17ROCPRIM_400000_NS6detail17trampoline_kernelINS0_14default_configENS1_29binary_search_config_selectorIibEEZNS1_14transform_implILb0ES3_S5_N6thrust23THRUST_200600_302600_NS17counting_iteratorIiNS8_11use_defaultESA_SA_EEPbZNS1_13binary_searchIS3_S5_PiSB_SC_NS1_16binary_search_opENS8_6detail16wrapped_functionINS0_4lessIvEEbEEEE10hipError_tPvRmT1_T2_T3_mmT4_T5_P12ihipStream_tbEUlRKiE_EESL_SP_SQ_mSR_SU_bEUlT_E_NS1_11comp_targetILNS1_3genE5ELNS1_11target_archE942ELNS1_3gpuE9ELNS1_3repE0EEENS1_30default_config_static_selectorELNS0_4arch9wavefront6targetE0EEEvSO_
; %bb.0:
	.section	.rodata,"a",@progbits
	.p2align	6, 0x0
	.amdhsa_kernel _ZN7rocprim17ROCPRIM_400000_NS6detail17trampoline_kernelINS0_14default_configENS1_29binary_search_config_selectorIibEEZNS1_14transform_implILb0ES3_S5_N6thrust23THRUST_200600_302600_NS17counting_iteratorIiNS8_11use_defaultESA_SA_EEPbZNS1_13binary_searchIS3_S5_PiSB_SC_NS1_16binary_search_opENS8_6detail16wrapped_functionINS0_4lessIvEEbEEEE10hipError_tPvRmT1_T2_T3_mmT4_T5_P12ihipStream_tbEUlRKiE_EESL_SP_SQ_mSR_SU_bEUlT_E_NS1_11comp_targetILNS1_3genE5ELNS1_11target_archE942ELNS1_3gpuE9ELNS1_3repE0EEENS1_30default_config_static_selectorELNS0_4arch9wavefront6targetE0EEEvSO_
		.amdhsa_group_segment_fixed_size 0
		.amdhsa_private_segment_fixed_size 0
		.amdhsa_kernarg_size 56
		.amdhsa_user_sgpr_count 15
		.amdhsa_user_sgpr_dispatch_ptr 0
		.amdhsa_user_sgpr_queue_ptr 0
		.amdhsa_user_sgpr_kernarg_segment_ptr 1
		.amdhsa_user_sgpr_dispatch_id 0
		.amdhsa_user_sgpr_private_segment_size 0
		.amdhsa_wavefront_size32 1
		.amdhsa_uses_dynamic_stack 0
		.amdhsa_enable_private_segment 0
		.amdhsa_system_sgpr_workgroup_id_x 1
		.amdhsa_system_sgpr_workgroup_id_y 0
		.amdhsa_system_sgpr_workgroup_id_z 0
		.amdhsa_system_sgpr_workgroup_info 0
		.amdhsa_system_vgpr_workitem_id 0
		.amdhsa_next_free_vgpr 1
		.amdhsa_next_free_sgpr 1
		.amdhsa_reserve_vcc 0
		.amdhsa_float_round_mode_32 0
		.amdhsa_float_round_mode_16_64 0
		.amdhsa_float_denorm_mode_32 3
		.amdhsa_float_denorm_mode_16_64 3
		.amdhsa_dx10_clamp 1
		.amdhsa_ieee_mode 1
		.amdhsa_fp16_overflow 0
		.amdhsa_workgroup_processor_mode 1
		.amdhsa_memory_ordered 1
		.amdhsa_forward_progress 0
		.amdhsa_shared_vgpr_count 0
		.amdhsa_exception_fp_ieee_invalid_op 0
		.amdhsa_exception_fp_denorm_src 0
		.amdhsa_exception_fp_ieee_div_zero 0
		.amdhsa_exception_fp_ieee_overflow 0
		.amdhsa_exception_fp_ieee_underflow 0
		.amdhsa_exception_fp_ieee_inexact 0
		.amdhsa_exception_int_div_zero 0
	.end_amdhsa_kernel
	.section	.text._ZN7rocprim17ROCPRIM_400000_NS6detail17trampoline_kernelINS0_14default_configENS1_29binary_search_config_selectorIibEEZNS1_14transform_implILb0ES3_S5_N6thrust23THRUST_200600_302600_NS17counting_iteratorIiNS8_11use_defaultESA_SA_EEPbZNS1_13binary_searchIS3_S5_PiSB_SC_NS1_16binary_search_opENS8_6detail16wrapped_functionINS0_4lessIvEEbEEEE10hipError_tPvRmT1_T2_T3_mmT4_T5_P12ihipStream_tbEUlRKiE_EESL_SP_SQ_mSR_SU_bEUlT_E_NS1_11comp_targetILNS1_3genE5ELNS1_11target_archE942ELNS1_3gpuE9ELNS1_3repE0EEENS1_30default_config_static_selectorELNS0_4arch9wavefront6targetE0EEEvSO_,"axG",@progbits,_ZN7rocprim17ROCPRIM_400000_NS6detail17trampoline_kernelINS0_14default_configENS1_29binary_search_config_selectorIibEEZNS1_14transform_implILb0ES3_S5_N6thrust23THRUST_200600_302600_NS17counting_iteratorIiNS8_11use_defaultESA_SA_EEPbZNS1_13binary_searchIS3_S5_PiSB_SC_NS1_16binary_search_opENS8_6detail16wrapped_functionINS0_4lessIvEEbEEEE10hipError_tPvRmT1_T2_T3_mmT4_T5_P12ihipStream_tbEUlRKiE_EESL_SP_SQ_mSR_SU_bEUlT_E_NS1_11comp_targetILNS1_3genE5ELNS1_11target_archE942ELNS1_3gpuE9ELNS1_3repE0EEENS1_30default_config_static_selectorELNS0_4arch9wavefront6targetE0EEEvSO_,comdat
.Lfunc_end231:
	.size	_ZN7rocprim17ROCPRIM_400000_NS6detail17trampoline_kernelINS0_14default_configENS1_29binary_search_config_selectorIibEEZNS1_14transform_implILb0ES3_S5_N6thrust23THRUST_200600_302600_NS17counting_iteratorIiNS8_11use_defaultESA_SA_EEPbZNS1_13binary_searchIS3_S5_PiSB_SC_NS1_16binary_search_opENS8_6detail16wrapped_functionINS0_4lessIvEEbEEEE10hipError_tPvRmT1_T2_T3_mmT4_T5_P12ihipStream_tbEUlRKiE_EESL_SP_SQ_mSR_SU_bEUlT_E_NS1_11comp_targetILNS1_3genE5ELNS1_11target_archE942ELNS1_3gpuE9ELNS1_3repE0EEENS1_30default_config_static_selectorELNS0_4arch9wavefront6targetE0EEEvSO_, .Lfunc_end231-_ZN7rocprim17ROCPRIM_400000_NS6detail17trampoline_kernelINS0_14default_configENS1_29binary_search_config_selectorIibEEZNS1_14transform_implILb0ES3_S5_N6thrust23THRUST_200600_302600_NS17counting_iteratorIiNS8_11use_defaultESA_SA_EEPbZNS1_13binary_searchIS3_S5_PiSB_SC_NS1_16binary_search_opENS8_6detail16wrapped_functionINS0_4lessIvEEbEEEE10hipError_tPvRmT1_T2_T3_mmT4_T5_P12ihipStream_tbEUlRKiE_EESL_SP_SQ_mSR_SU_bEUlT_E_NS1_11comp_targetILNS1_3genE5ELNS1_11target_archE942ELNS1_3gpuE9ELNS1_3repE0EEENS1_30default_config_static_selectorELNS0_4arch9wavefront6targetE0EEEvSO_
                                        ; -- End function
	.section	.AMDGPU.csdata,"",@progbits
; Kernel info:
; codeLenInByte = 0
; NumSgprs: 0
; NumVgprs: 0
; ScratchSize: 0
; MemoryBound: 0
; FloatMode: 240
; IeeeMode: 1
; LDSByteSize: 0 bytes/workgroup (compile time only)
; SGPRBlocks: 0
; VGPRBlocks: 0
; NumSGPRsForWavesPerEU: 1
; NumVGPRsForWavesPerEU: 1
; Occupancy: 16
; WaveLimiterHint : 0
; COMPUTE_PGM_RSRC2:SCRATCH_EN: 0
; COMPUTE_PGM_RSRC2:USER_SGPR: 15
; COMPUTE_PGM_RSRC2:TRAP_HANDLER: 0
; COMPUTE_PGM_RSRC2:TGID_X_EN: 1
; COMPUTE_PGM_RSRC2:TGID_Y_EN: 0
; COMPUTE_PGM_RSRC2:TGID_Z_EN: 0
; COMPUTE_PGM_RSRC2:TIDIG_COMP_CNT: 0
	.section	.text._ZN7rocprim17ROCPRIM_400000_NS6detail17trampoline_kernelINS0_14default_configENS1_29binary_search_config_selectorIibEEZNS1_14transform_implILb0ES3_S5_N6thrust23THRUST_200600_302600_NS17counting_iteratorIiNS8_11use_defaultESA_SA_EEPbZNS1_13binary_searchIS3_S5_PiSB_SC_NS1_16binary_search_opENS8_6detail16wrapped_functionINS0_4lessIvEEbEEEE10hipError_tPvRmT1_T2_T3_mmT4_T5_P12ihipStream_tbEUlRKiE_EESL_SP_SQ_mSR_SU_bEUlT_E_NS1_11comp_targetILNS1_3genE4ELNS1_11target_archE910ELNS1_3gpuE8ELNS1_3repE0EEENS1_30default_config_static_selectorELNS0_4arch9wavefront6targetE0EEEvSO_,"axG",@progbits,_ZN7rocprim17ROCPRIM_400000_NS6detail17trampoline_kernelINS0_14default_configENS1_29binary_search_config_selectorIibEEZNS1_14transform_implILb0ES3_S5_N6thrust23THRUST_200600_302600_NS17counting_iteratorIiNS8_11use_defaultESA_SA_EEPbZNS1_13binary_searchIS3_S5_PiSB_SC_NS1_16binary_search_opENS8_6detail16wrapped_functionINS0_4lessIvEEbEEEE10hipError_tPvRmT1_T2_T3_mmT4_T5_P12ihipStream_tbEUlRKiE_EESL_SP_SQ_mSR_SU_bEUlT_E_NS1_11comp_targetILNS1_3genE4ELNS1_11target_archE910ELNS1_3gpuE8ELNS1_3repE0EEENS1_30default_config_static_selectorELNS0_4arch9wavefront6targetE0EEEvSO_,comdat
	.protected	_ZN7rocprim17ROCPRIM_400000_NS6detail17trampoline_kernelINS0_14default_configENS1_29binary_search_config_selectorIibEEZNS1_14transform_implILb0ES3_S5_N6thrust23THRUST_200600_302600_NS17counting_iteratorIiNS8_11use_defaultESA_SA_EEPbZNS1_13binary_searchIS3_S5_PiSB_SC_NS1_16binary_search_opENS8_6detail16wrapped_functionINS0_4lessIvEEbEEEE10hipError_tPvRmT1_T2_T3_mmT4_T5_P12ihipStream_tbEUlRKiE_EESL_SP_SQ_mSR_SU_bEUlT_E_NS1_11comp_targetILNS1_3genE4ELNS1_11target_archE910ELNS1_3gpuE8ELNS1_3repE0EEENS1_30default_config_static_selectorELNS0_4arch9wavefront6targetE0EEEvSO_ ; -- Begin function _ZN7rocprim17ROCPRIM_400000_NS6detail17trampoline_kernelINS0_14default_configENS1_29binary_search_config_selectorIibEEZNS1_14transform_implILb0ES3_S5_N6thrust23THRUST_200600_302600_NS17counting_iteratorIiNS8_11use_defaultESA_SA_EEPbZNS1_13binary_searchIS3_S5_PiSB_SC_NS1_16binary_search_opENS8_6detail16wrapped_functionINS0_4lessIvEEbEEEE10hipError_tPvRmT1_T2_T3_mmT4_T5_P12ihipStream_tbEUlRKiE_EESL_SP_SQ_mSR_SU_bEUlT_E_NS1_11comp_targetILNS1_3genE4ELNS1_11target_archE910ELNS1_3gpuE8ELNS1_3repE0EEENS1_30default_config_static_selectorELNS0_4arch9wavefront6targetE0EEEvSO_
	.globl	_ZN7rocprim17ROCPRIM_400000_NS6detail17trampoline_kernelINS0_14default_configENS1_29binary_search_config_selectorIibEEZNS1_14transform_implILb0ES3_S5_N6thrust23THRUST_200600_302600_NS17counting_iteratorIiNS8_11use_defaultESA_SA_EEPbZNS1_13binary_searchIS3_S5_PiSB_SC_NS1_16binary_search_opENS8_6detail16wrapped_functionINS0_4lessIvEEbEEEE10hipError_tPvRmT1_T2_T3_mmT4_T5_P12ihipStream_tbEUlRKiE_EESL_SP_SQ_mSR_SU_bEUlT_E_NS1_11comp_targetILNS1_3genE4ELNS1_11target_archE910ELNS1_3gpuE8ELNS1_3repE0EEENS1_30default_config_static_selectorELNS0_4arch9wavefront6targetE0EEEvSO_
	.p2align	8
	.type	_ZN7rocprim17ROCPRIM_400000_NS6detail17trampoline_kernelINS0_14default_configENS1_29binary_search_config_selectorIibEEZNS1_14transform_implILb0ES3_S5_N6thrust23THRUST_200600_302600_NS17counting_iteratorIiNS8_11use_defaultESA_SA_EEPbZNS1_13binary_searchIS3_S5_PiSB_SC_NS1_16binary_search_opENS8_6detail16wrapped_functionINS0_4lessIvEEbEEEE10hipError_tPvRmT1_T2_T3_mmT4_T5_P12ihipStream_tbEUlRKiE_EESL_SP_SQ_mSR_SU_bEUlT_E_NS1_11comp_targetILNS1_3genE4ELNS1_11target_archE910ELNS1_3gpuE8ELNS1_3repE0EEENS1_30default_config_static_selectorELNS0_4arch9wavefront6targetE0EEEvSO_,@function
_ZN7rocprim17ROCPRIM_400000_NS6detail17trampoline_kernelINS0_14default_configENS1_29binary_search_config_selectorIibEEZNS1_14transform_implILb0ES3_S5_N6thrust23THRUST_200600_302600_NS17counting_iteratorIiNS8_11use_defaultESA_SA_EEPbZNS1_13binary_searchIS3_S5_PiSB_SC_NS1_16binary_search_opENS8_6detail16wrapped_functionINS0_4lessIvEEbEEEE10hipError_tPvRmT1_T2_T3_mmT4_T5_P12ihipStream_tbEUlRKiE_EESL_SP_SQ_mSR_SU_bEUlT_E_NS1_11comp_targetILNS1_3genE4ELNS1_11target_archE910ELNS1_3gpuE8ELNS1_3repE0EEENS1_30default_config_static_selectorELNS0_4arch9wavefront6targetE0EEEvSO_: ; @_ZN7rocprim17ROCPRIM_400000_NS6detail17trampoline_kernelINS0_14default_configENS1_29binary_search_config_selectorIibEEZNS1_14transform_implILb0ES3_S5_N6thrust23THRUST_200600_302600_NS17counting_iteratorIiNS8_11use_defaultESA_SA_EEPbZNS1_13binary_searchIS3_S5_PiSB_SC_NS1_16binary_search_opENS8_6detail16wrapped_functionINS0_4lessIvEEbEEEE10hipError_tPvRmT1_T2_T3_mmT4_T5_P12ihipStream_tbEUlRKiE_EESL_SP_SQ_mSR_SU_bEUlT_E_NS1_11comp_targetILNS1_3genE4ELNS1_11target_archE910ELNS1_3gpuE8ELNS1_3repE0EEENS1_30default_config_static_selectorELNS0_4arch9wavefront6targetE0EEEvSO_
; %bb.0:
	.section	.rodata,"a",@progbits
	.p2align	6, 0x0
	.amdhsa_kernel _ZN7rocprim17ROCPRIM_400000_NS6detail17trampoline_kernelINS0_14default_configENS1_29binary_search_config_selectorIibEEZNS1_14transform_implILb0ES3_S5_N6thrust23THRUST_200600_302600_NS17counting_iteratorIiNS8_11use_defaultESA_SA_EEPbZNS1_13binary_searchIS3_S5_PiSB_SC_NS1_16binary_search_opENS8_6detail16wrapped_functionINS0_4lessIvEEbEEEE10hipError_tPvRmT1_T2_T3_mmT4_T5_P12ihipStream_tbEUlRKiE_EESL_SP_SQ_mSR_SU_bEUlT_E_NS1_11comp_targetILNS1_3genE4ELNS1_11target_archE910ELNS1_3gpuE8ELNS1_3repE0EEENS1_30default_config_static_selectorELNS0_4arch9wavefront6targetE0EEEvSO_
		.amdhsa_group_segment_fixed_size 0
		.amdhsa_private_segment_fixed_size 0
		.amdhsa_kernarg_size 56
		.amdhsa_user_sgpr_count 15
		.amdhsa_user_sgpr_dispatch_ptr 0
		.amdhsa_user_sgpr_queue_ptr 0
		.amdhsa_user_sgpr_kernarg_segment_ptr 1
		.amdhsa_user_sgpr_dispatch_id 0
		.amdhsa_user_sgpr_private_segment_size 0
		.amdhsa_wavefront_size32 1
		.amdhsa_uses_dynamic_stack 0
		.amdhsa_enable_private_segment 0
		.amdhsa_system_sgpr_workgroup_id_x 1
		.amdhsa_system_sgpr_workgroup_id_y 0
		.amdhsa_system_sgpr_workgroup_id_z 0
		.amdhsa_system_sgpr_workgroup_info 0
		.amdhsa_system_vgpr_workitem_id 0
		.amdhsa_next_free_vgpr 1
		.amdhsa_next_free_sgpr 1
		.amdhsa_reserve_vcc 0
		.amdhsa_float_round_mode_32 0
		.amdhsa_float_round_mode_16_64 0
		.amdhsa_float_denorm_mode_32 3
		.amdhsa_float_denorm_mode_16_64 3
		.amdhsa_dx10_clamp 1
		.amdhsa_ieee_mode 1
		.amdhsa_fp16_overflow 0
		.amdhsa_workgroup_processor_mode 1
		.amdhsa_memory_ordered 1
		.amdhsa_forward_progress 0
		.amdhsa_shared_vgpr_count 0
		.amdhsa_exception_fp_ieee_invalid_op 0
		.amdhsa_exception_fp_denorm_src 0
		.amdhsa_exception_fp_ieee_div_zero 0
		.amdhsa_exception_fp_ieee_overflow 0
		.amdhsa_exception_fp_ieee_underflow 0
		.amdhsa_exception_fp_ieee_inexact 0
		.amdhsa_exception_int_div_zero 0
	.end_amdhsa_kernel
	.section	.text._ZN7rocprim17ROCPRIM_400000_NS6detail17trampoline_kernelINS0_14default_configENS1_29binary_search_config_selectorIibEEZNS1_14transform_implILb0ES3_S5_N6thrust23THRUST_200600_302600_NS17counting_iteratorIiNS8_11use_defaultESA_SA_EEPbZNS1_13binary_searchIS3_S5_PiSB_SC_NS1_16binary_search_opENS8_6detail16wrapped_functionINS0_4lessIvEEbEEEE10hipError_tPvRmT1_T2_T3_mmT4_T5_P12ihipStream_tbEUlRKiE_EESL_SP_SQ_mSR_SU_bEUlT_E_NS1_11comp_targetILNS1_3genE4ELNS1_11target_archE910ELNS1_3gpuE8ELNS1_3repE0EEENS1_30default_config_static_selectorELNS0_4arch9wavefront6targetE0EEEvSO_,"axG",@progbits,_ZN7rocprim17ROCPRIM_400000_NS6detail17trampoline_kernelINS0_14default_configENS1_29binary_search_config_selectorIibEEZNS1_14transform_implILb0ES3_S5_N6thrust23THRUST_200600_302600_NS17counting_iteratorIiNS8_11use_defaultESA_SA_EEPbZNS1_13binary_searchIS3_S5_PiSB_SC_NS1_16binary_search_opENS8_6detail16wrapped_functionINS0_4lessIvEEbEEEE10hipError_tPvRmT1_T2_T3_mmT4_T5_P12ihipStream_tbEUlRKiE_EESL_SP_SQ_mSR_SU_bEUlT_E_NS1_11comp_targetILNS1_3genE4ELNS1_11target_archE910ELNS1_3gpuE8ELNS1_3repE0EEENS1_30default_config_static_selectorELNS0_4arch9wavefront6targetE0EEEvSO_,comdat
.Lfunc_end232:
	.size	_ZN7rocprim17ROCPRIM_400000_NS6detail17trampoline_kernelINS0_14default_configENS1_29binary_search_config_selectorIibEEZNS1_14transform_implILb0ES3_S5_N6thrust23THRUST_200600_302600_NS17counting_iteratorIiNS8_11use_defaultESA_SA_EEPbZNS1_13binary_searchIS3_S5_PiSB_SC_NS1_16binary_search_opENS8_6detail16wrapped_functionINS0_4lessIvEEbEEEE10hipError_tPvRmT1_T2_T3_mmT4_T5_P12ihipStream_tbEUlRKiE_EESL_SP_SQ_mSR_SU_bEUlT_E_NS1_11comp_targetILNS1_3genE4ELNS1_11target_archE910ELNS1_3gpuE8ELNS1_3repE0EEENS1_30default_config_static_selectorELNS0_4arch9wavefront6targetE0EEEvSO_, .Lfunc_end232-_ZN7rocprim17ROCPRIM_400000_NS6detail17trampoline_kernelINS0_14default_configENS1_29binary_search_config_selectorIibEEZNS1_14transform_implILb0ES3_S5_N6thrust23THRUST_200600_302600_NS17counting_iteratorIiNS8_11use_defaultESA_SA_EEPbZNS1_13binary_searchIS3_S5_PiSB_SC_NS1_16binary_search_opENS8_6detail16wrapped_functionINS0_4lessIvEEbEEEE10hipError_tPvRmT1_T2_T3_mmT4_T5_P12ihipStream_tbEUlRKiE_EESL_SP_SQ_mSR_SU_bEUlT_E_NS1_11comp_targetILNS1_3genE4ELNS1_11target_archE910ELNS1_3gpuE8ELNS1_3repE0EEENS1_30default_config_static_selectorELNS0_4arch9wavefront6targetE0EEEvSO_
                                        ; -- End function
	.section	.AMDGPU.csdata,"",@progbits
; Kernel info:
; codeLenInByte = 0
; NumSgprs: 0
; NumVgprs: 0
; ScratchSize: 0
; MemoryBound: 0
; FloatMode: 240
; IeeeMode: 1
; LDSByteSize: 0 bytes/workgroup (compile time only)
; SGPRBlocks: 0
; VGPRBlocks: 0
; NumSGPRsForWavesPerEU: 1
; NumVGPRsForWavesPerEU: 1
; Occupancy: 16
; WaveLimiterHint : 0
; COMPUTE_PGM_RSRC2:SCRATCH_EN: 0
; COMPUTE_PGM_RSRC2:USER_SGPR: 15
; COMPUTE_PGM_RSRC2:TRAP_HANDLER: 0
; COMPUTE_PGM_RSRC2:TGID_X_EN: 1
; COMPUTE_PGM_RSRC2:TGID_Y_EN: 0
; COMPUTE_PGM_RSRC2:TGID_Z_EN: 0
; COMPUTE_PGM_RSRC2:TIDIG_COMP_CNT: 0
	.section	.text._ZN7rocprim17ROCPRIM_400000_NS6detail17trampoline_kernelINS0_14default_configENS1_29binary_search_config_selectorIibEEZNS1_14transform_implILb0ES3_S5_N6thrust23THRUST_200600_302600_NS17counting_iteratorIiNS8_11use_defaultESA_SA_EEPbZNS1_13binary_searchIS3_S5_PiSB_SC_NS1_16binary_search_opENS8_6detail16wrapped_functionINS0_4lessIvEEbEEEE10hipError_tPvRmT1_T2_T3_mmT4_T5_P12ihipStream_tbEUlRKiE_EESL_SP_SQ_mSR_SU_bEUlT_E_NS1_11comp_targetILNS1_3genE3ELNS1_11target_archE908ELNS1_3gpuE7ELNS1_3repE0EEENS1_30default_config_static_selectorELNS0_4arch9wavefront6targetE0EEEvSO_,"axG",@progbits,_ZN7rocprim17ROCPRIM_400000_NS6detail17trampoline_kernelINS0_14default_configENS1_29binary_search_config_selectorIibEEZNS1_14transform_implILb0ES3_S5_N6thrust23THRUST_200600_302600_NS17counting_iteratorIiNS8_11use_defaultESA_SA_EEPbZNS1_13binary_searchIS3_S5_PiSB_SC_NS1_16binary_search_opENS8_6detail16wrapped_functionINS0_4lessIvEEbEEEE10hipError_tPvRmT1_T2_T3_mmT4_T5_P12ihipStream_tbEUlRKiE_EESL_SP_SQ_mSR_SU_bEUlT_E_NS1_11comp_targetILNS1_3genE3ELNS1_11target_archE908ELNS1_3gpuE7ELNS1_3repE0EEENS1_30default_config_static_selectorELNS0_4arch9wavefront6targetE0EEEvSO_,comdat
	.protected	_ZN7rocprim17ROCPRIM_400000_NS6detail17trampoline_kernelINS0_14default_configENS1_29binary_search_config_selectorIibEEZNS1_14transform_implILb0ES3_S5_N6thrust23THRUST_200600_302600_NS17counting_iteratorIiNS8_11use_defaultESA_SA_EEPbZNS1_13binary_searchIS3_S5_PiSB_SC_NS1_16binary_search_opENS8_6detail16wrapped_functionINS0_4lessIvEEbEEEE10hipError_tPvRmT1_T2_T3_mmT4_T5_P12ihipStream_tbEUlRKiE_EESL_SP_SQ_mSR_SU_bEUlT_E_NS1_11comp_targetILNS1_3genE3ELNS1_11target_archE908ELNS1_3gpuE7ELNS1_3repE0EEENS1_30default_config_static_selectorELNS0_4arch9wavefront6targetE0EEEvSO_ ; -- Begin function _ZN7rocprim17ROCPRIM_400000_NS6detail17trampoline_kernelINS0_14default_configENS1_29binary_search_config_selectorIibEEZNS1_14transform_implILb0ES3_S5_N6thrust23THRUST_200600_302600_NS17counting_iteratorIiNS8_11use_defaultESA_SA_EEPbZNS1_13binary_searchIS3_S5_PiSB_SC_NS1_16binary_search_opENS8_6detail16wrapped_functionINS0_4lessIvEEbEEEE10hipError_tPvRmT1_T2_T3_mmT4_T5_P12ihipStream_tbEUlRKiE_EESL_SP_SQ_mSR_SU_bEUlT_E_NS1_11comp_targetILNS1_3genE3ELNS1_11target_archE908ELNS1_3gpuE7ELNS1_3repE0EEENS1_30default_config_static_selectorELNS0_4arch9wavefront6targetE0EEEvSO_
	.globl	_ZN7rocprim17ROCPRIM_400000_NS6detail17trampoline_kernelINS0_14default_configENS1_29binary_search_config_selectorIibEEZNS1_14transform_implILb0ES3_S5_N6thrust23THRUST_200600_302600_NS17counting_iteratorIiNS8_11use_defaultESA_SA_EEPbZNS1_13binary_searchIS3_S5_PiSB_SC_NS1_16binary_search_opENS8_6detail16wrapped_functionINS0_4lessIvEEbEEEE10hipError_tPvRmT1_T2_T3_mmT4_T5_P12ihipStream_tbEUlRKiE_EESL_SP_SQ_mSR_SU_bEUlT_E_NS1_11comp_targetILNS1_3genE3ELNS1_11target_archE908ELNS1_3gpuE7ELNS1_3repE0EEENS1_30default_config_static_selectorELNS0_4arch9wavefront6targetE0EEEvSO_
	.p2align	8
	.type	_ZN7rocprim17ROCPRIM_400000_NS6detail17trampoline_kernelINS0_14default_configENS1_29binary_search_config_selectorIibEEZNS1_14transform_implILb0ES3_S5_N6thrust23THRUST_200600_302600_NS17counting_iteratorIiNS8_11use_defaultESA_SA_EEPbZNS1_13binary_searchIS3_S5_PiSB_SC_NS1_16binary_search_opENS8_6detail16wrapped_functionINS0_4lessIvEEbEEEE10hipError_tPvRmT1_T2_T3_mmT4_T5_P12ihipStream_tbEUlRKiE_EESL_SP_SQ_mSR_SU_bEUlT_E_NS1_11comp_targetILNS1_3genE3ELNS1_11target_archE908ELNS1_3gpuE7ELNS1_3repE0EEENS1_30default_config_static_selectorELNS0_4arch9wavefront6targetE0EEEvSO_,@function
_ZN7rocprim17ROCPRIM_400000_NS6detail17trampoline_kernelINS0_14default_configENS1_29binary_search_config_selectorIibEEZNS1_14transform_implILb0ES3_S5_N6thrust23THRUST_200600_302600_NS17counting_iteratorIiNS8_11use_defaultESA_SA_EEPbZNS1_13binary_searchIS3_S5_PiSB_SC_NS1_16binary_search_opENS8_6detail16wrapped_functionINS0_4lessIvEEbEEEE10hipError_tPvRmT1_T2_T3_mmT4_T5_P12ihipStream_tbEUlRKiE_EESL_SP_SQ_mSR_SU_bEUlT_E_NS1_11comp_targetILNS1_3genE3ELNS1_11target_archE908ELNS1_3gpuE7ELNS1_3repE0EEENS1_30default_config_static_selectorELNS0_4arch9wavefront6targetE0EEEvSO_: ; @_ZN7rocprim17ROCPRIM_400000_NS6detail17trampoline_kernelINS0_14default_configENS1_29binary_search_config_selectorIibEEZNS1_14transform_implILb0ES3_S5_N6thrust23THRUST_200600_302600_NS17counting_iteratorIiNS8_11use_defaultESA_SA_EEPbZNS1_13binary_searchIS3_S5_PiSB_SC_NS1_16binary_search_opENS8_6detail16wrapped_functionINS0_4lessIvEEbEEEE10hipError_tPvRmT1_T2_T3_mmT4_T5_P12ihipStream_tbEUlRKiE_EESL_SP_SQ_mSR_SU_bEUlT_E_NS1_11comp_targetILNS1_3genE3ELNS1_11target_archE908ELNS1_3gpuE7ELNS1_3repE0EEENS1_30default_config_static_selectorELNS0_4arch9wavefront6targetE0EEEvSO_
; %bb.0:
	.section	.rodata,"a",@progbits
	.p2align	6, 0x0
	.amdhsa_kernel _ZN7rocprim17ROCPRIM_400000_NS6detail17trampoline_kernelINS0_14default_configENS1_29binary_search_config_selectorIibEEZNS1_14transform_implILb0ES3_S5_N6thrust23THRUST_200600_302600_NS17counting_iteratorIiNS8_11use_defaultESA_SA_EEPbZNS1_13binary_searchIS3_S5_PiSB_SC_NS1_16binary_search_opENS8_6detail16wrapped_functionINS0_4lessIvEEbEEEE10hipError_tPvRmT1_T2_T3_mmT4_T5_P12ihipStream_tbEUlRKiE_EESL_SP_SQ_mSR_SU_bEUlT_E_NS1_11comp_targetILNS1_3genE3ELNS1_11target_archE908ELNS1_3gpuE7ELNS1_3repE0EEENS1_30default_config_static_selectorELNS0_4arch9wavefront6targetE0EEEvSO_
		.amdhsa_group_segment_fixed_size 0
		.amdhsa_private_segment_fixed_size 0
		.amdhsa_kernarg_size 56
		.amdhsa_user_sgpr_count 15
		.amdhsa_user_sgpr_dispatch_ptr 0
		.amdhsa_user_sgpr_queue_ptr 0
		.amdhsa_user_sgpr_kernarg_segment_ptr 1
		.amdhsa_user_sgpr_dispatch_id 0
		.amdhsa_user_sgpr_private_segment_size 0
		.amdhsa_wavefront_size32 1
		.amdhsa_uses_dynamic_stack 0
		.amdhsa_enable_private_segment 0
		.amdhsa_system_sgpr_workgroup_id_x 1
		.amdhsa_system_sgpr_workgroup_id_y 0
		.amdhsa_system_sgpr_workgroup_id_z 0
		.amdhsa_system_sgpr_workgroup_info 0
		.amdhsa_system_vgpr_workitem_id 0
		.amdhsa_next_free_vgpr 1
		.amdhsa_next_free_sgpr 1
		.amdhsa_reserve_vcc 0
		.amdhsa_float_round_mode_32 0
		.amdhsa_float_round_mode_16_64 0
		.amdhsa_float_denorm_mode_32 3
		.amdhsa_float_denorm_mode_16_64 3
		.amdhsa_dx10_clamp 1
		.amdhsa_ieee_mode 1
		.amdhsa_fp16_overflow 0
		.amdhsa_workgroup_processor_mode 1
		.amdhsa_memory_ordered 1
		.amdhsa_forward_progress 0
		.amdhsa_shared_vgpr_count 0
		.amdhsa_exception_fp_ieee_invalid_op 0
		.amdhsa_exception_fp_denorm_src 0
		.amdhsa_exception_fp_ieee_div_zero 0
		.amdhsa_exception_fp_ieee_overflow 0
		.amdhsa_exception_fp_ieee_underflow 0
		.amdhsa_exception_fp_ieee_inexact 0
		.amdhsa_exception_int_div_zero 0
	.end_amdhsa_kernel
	.section	.text._ZN7rocprim17ROCPRIM_400000_NS6detail17trampoline_kernelINS0_14default_configENS1_29binary_search_config_selectorIibEEZNS1_14transform_implILb0ES3_S5_N6thrust23THRUST_200600_302600_NS17counting_iteratorIiNS8_11use_defaultESA_SA_EEPbZNS1_13binary_searchIS3_S5_PiSB_SC_NS1_16binary_search_opENS8_6detail16wrapped_functionINS0_4lessIvEEbEEEE10hipError_tPvRmT1_T2_T3_mmT4_T5_P12ihipStream_tbEUlRKiE_EESL_SP_SQ_mSR_SU_bEUlT_E_NS1_11comp_targetILNS1_3genE3ELNS1_11target_archE908ELNS1_3gpuE7ELNS1_3repE0EEENS1_30default_config_static_selectorELNS0_4arch9wavefront6targetE0EEEvSO_,"axG",@progbits,_ZN7rocprim17ROCPRIM_400000_NS6detail17trampoline_kernelINS0_14default_configENS1_29binary_search_config_selectorIibEEZNS1_14transform_implILb0ES3_S5_N6thrust23THRUST_200600_302600_NS17counting_iteratorIiNS8_11use_defaultESA_SA_EEPbZNS1_13binary_searchIS3_S5_PiSB_SC_NS1_16binary_search_opENS8_6detail16wrapped_functionINS0_4lessIvEEbEEEE10hipError_tPvRmT1_T2_T3_mmT4_T5_P12ihipStream_tbEUlRKiE_EESL_SP_SQ_mSR_SU_bEUlT_E_NS1_11comp_targetILNS1_3genE3ELNS1_11target_archE908ELNS1_3gpuE7ELNS1_3repE0EEENS1_30default_config_static_selectorELNS0_4arch9wavefront6targetE0EEEvSO_,comdat
.Lfunc_end233:
	.size	_ZN7rocprim17ROCPRIM_400000_NS6detail17trampoline_kernelINS0_14default_configENS1_29binary_search_config_selectorIibEEZNS1_14transform_implILb0ES3_S5_N6thrust23THRUST_200600_302600_NS17counting_iteratorIiNS8_11use_defaultESA_SA_EEPbZNS1_13binary_searchIS3_S5_PiSB_SC_NS1_16binary_search_opENS8_6detail16wrapped_functionINS0_4lessIvEEbEEEE10hipError_tPvRmT1_T2_T3_mmT4_T5_P12ihipStream_tbEUlRKiE_EESL_SP_SQ_mSR_SU_bEUlT_E_NS1_11comp_targetILNS1_3genE3ELNS1_11target_archE908ELNS1_3gpuE7ELNS1_3repE0EEENS1_30default_config_static_selectorELNS0_4arch9wavefront6targetE0EEEvSO_, .Lfunc_end233-_ZN7rocprim17ROCPRIM_400000_NS6detail17trampoline_kernelINS0_14default_configENS1_29binary_search_config_selectorIibEEZNS1_14transform_implILb0ES3_S5_N6thrust23THRUST_200600_302600_NS17counting_iteratorIiNS8_11use_defaultESA_SA_EEPbZNS1_13binary_searchIS3_S5_PiSB_SC_NS1_16binary_search_opENS8_6detail16wrapped_functionINS0_4lessIvEEbEEEE10hipError_tPvRmT1_T2_T3_mmT4_T5_P12ihipStream_tbEUlRKiE_EESL_SP_SQ_mSR_SU_bEUlT_E_NS1_11comp_targetILNS1_3genE3ELNS1_11target_archE908ELNS1_3gpuE7ELNS1_3repE0EEENS1_30default_config_static_selectorELNS0_4arch9wavefront6targetE0EEEvSO_
                                        ; -- End function
	.section	.AMDGPU.csdata,"",@progbits
; Kernel info:
; codeLenInByte = 0
; NumSgprs: 0
; NumVgprs: 0
; ScratchSize: 0
; MemoryBound: 0
; FloatMode: 240
; IeeeMode: 1
; LDSByteSize: 0 bytes/workgroup (compile time only)
; SGPRBlocks: 0
; VGPRBlocks: 0
; NumSGPRsForWavesPerEU: 1
; NumVGPRsForWavesPerEU: 1
; Occupancy: 16
; WaveLimiterHint : 0
; COMPUTE_PGM_RSRC2:SCRATCH_EN: 0
; COMPUTE_PGM_RSRC2:USER_SGPR: 15
; COMPUTE_PGM_RSRC2:TRAP_HANDLER: 0
; COMPUTE_PGM_RSRC2:TGID_X_EN: 1
; COMPUTE_PGM_RSRC2:TGID_Y_EN: 0
; COMPUTE_PGM_RSRC2:TGID_Z_EN: 0
; COMPUTE_PGM_RSRC2:TIDIG_COMP_CNT: 0
	.section	.text._ZN7rocprim17ROCPRIM_400000_NS6detail17trampoline_kernelINS0_14default_configENS1_29binary_search_config_selectorIibEEZNS1_14transform_implILb0ES3_S5_N6thrust23THRUST_200600_302600_NS17counting_iteratorIiNS8_11use_defaultESA_SA_EEPbZNS1_13binary_searchIS3_S5_PiSB_SC_NS1_16binary_search_opENS8_6detail16wrapped_functionINS0_4lessIvEEbEEEE10hipError_tPvRmT1_T2_T3_mmT4_T5_P12ihipStream_tbEUlRKiE_EESL_SP_SQ_mSR_SU_bEUlT_E_NS1_11comp_targetILNS1_3genE2ELNS1_11target_archE906ELNS1_3gpuE6ELNS1_3repE0EEENS1_30default_config_static_selectorELNS0_4arch9wavefront6targetE0EEEvSO_,"axG",@progbits,_ZN7rocprim17ROCPRIM_400000_NS6detail17trampoline_kernelINS0_14default_configENS1_29binary_search_config_selectorIibEEZNS1_14transform_implILb0ES3_S5_N6thrust23THRUST_200600_302600_NS17counting_iteratorIiNS8_11use_defaultESA_SA_EEPbZNS1_13binary_searchIS3_S5_PiSB_SC_NS1_16binary_search_opENS8_6detail16wrapped_functionINS0_4lessIvEEbEEEE10hipError_tPvRmT1_T2_T3_mmT4_T5_P12ihipStream_tbEUlRKiE_EESL_SP_SQ_mSR_SU_bEUlT_E_NS1_11comp_targetILNS1_3genE2ELNS1_11target_archE906ELNS1_3gpuE6ELNS1_3repE0EEENS1_30default_config_static_selectorELNS0_4arch9wavefront6targetE0EEEvSO_,comdat
	.protected	_ZN7rocprim17ROCPRIM_400000_NS6detail17trampoline_kernelINS0_14default_configENS1_29binary_search_config_selectorIibEEZNS1_14transform_implILb0ES3_S5_N6thrust23THRUST_200600_302600_NS17counting_iteratorIiNS8_11use_defaultESA_SA_EEPbZNS1_13binary_searchIS3_S5_PiSB_SC_NS1_16binary_search_opENS8_6detail16wrapped_functionINS0_4lessIvEEbEEEE10hipError_tPvRmT1_T2_T3_mmT4_T5_P12ihipStream_tbEUlRKiE_EESL_SP_SQ_mSR_SU_bEUlT_E_NS1_11comp_targetILNS1_3genE2ELNS1_11target_archE906ELNS1_3gpuE6ELNS1_3repE0EEENS1_30default_config_static_selectorELNS0_4arch9wavefront6targetE0EEEvSO_ ; -- Begin function _ZN7rocprim17ROCPRIM_400000_NS6detail17trampoline_kernelINS0_14default_configENS1_29binary_search_config_selectorIibEEZNS1_14transform_implILb0ES3_S5_N6thrust23THRUST_200600_302600_NS17counting_iteratorIiNS8_11use_defaultESA_SA_EEPbZNS1_13binary_searchIS3_S5_PiSB_SC_NS1_16binary_search_opENS8_6detail16wrapped_functionINS0_4lessIvEEbEEEE10hipError_tPvRmT1_T2_T3_mmT4_T5_P12ihipStream_tbEUlRKiE_EESL_SP_SQ_mSR_SU_bEUlT_E_NS1_11comp_targetILNS1_3genE2ELNS1_11target_archE906ELNS1_3gpuE6ELNS1_3repE0EEENS1_30default_config_static_selectorELNS0_4arch9wavefront6targetE0EEEvSO_
	.globl	_ZN7rocprim17ROCPRIM_400000_NS6detail17trampoline_kernelINS0_14default_configENS1_29binary_search_config_selectorIibEEZNS1_14transform_implILb0ES3_S5_N6thrust23THRUST_200600_302600_NS17counting_iteratorIiNS8_11use_defaultESA_SA_EEPbZNS1_13binary_searchIS3_S5_PiSB_SC_NS1_16binary_search_opENS8_6detail16wrapped_functionINS0_4lessIvEEbEEEE10hipError_tPvRmT1_T2_T3_mmT4_T5_P12ihipStream_tbEUlRKiE_EESL_SP_SQ_mSR_SU_bEUlT_E_NS1_11comp_targetILNS1_3genE2ELNS1_11target_archE906ELNS1_3gpuE6ELNS1_3repE0EEENS1_30default_config_static_selectorELNS0_4arch9wavefront6targetE0EEEvSO_
	.p2align	8
	.type	_ZN7rocprim17ROCPRIM_400000_NS6detail17trampoline_kernelINS0_14default_configENS1_29binary_search_config_selectorIibEEZNS1_14transform_implILb0ES3_S5_N6thrust23THRUST_200600_302600_NS17counting_iteratorIiNS8_11use_defaultESA_SA_EEPbZNS1_13binary_searchIS3_S5_PiSB_SC_NS1_16binary_search_opENS8_6detail16wrapped_functionINS0_4lessIvEEbEEEE10hipError_tPvRmT1_T2_T3_mmT4_T5_P12ihipStream_tbEUlRKiE_EESL_SP_SQ_mSR_SU_bEUlT_E_NS1_11comp_targetILNS1_3genE2ELNS1_11target_archE906ELNS1_3gpuE6ELNS1_3repE0EEENS1_30default_config_static_selectorELNS0_4arch9wavefront6targetE0EEEvSO_,@function
_ZN7rocprim17ROCPRIM_400000_NS6detail17trampoline_kernelINS0_14default_configENS1_29binary_search_config_selectorIibEEZNS1_14transform_implILb0ES3_S5_N6thrust23THRUST_200600_302600_NS17counting_iteratorIiNS8_11use_defaultESA_SA_EEPbZNS1_13binary_searchIS3_S5_PiSB_SC_NS1_16binary_search_opENS8_6detail16wrapped_functionINS0_4lessIvEEbEEEE10hipError_tPvRmT1_T2_T3_mmT4_T5_P12ihipStream_tbEUlRKiE_EESL_SP_SQ_mSR_SU_bEUlT_E_NS1_11comp_targetILNS1_3genE2ELNS1_11target_archE906ELNS1_3gpuE6ELNS1_3repE0EEENS1_30default_config_static_selectorELNS0_4arch9wavefront6targetE0EEEvSO_: ; @_ZN7rocprim17ROCPRIM_400000_NS6detail17trampoline_kernelINS0_14default_configENS1_29binary_search_config_selectorIibEEZNS1_14transform_implILb0ES3_S5_N6thrust23THRUST_200600_302600_NS17counting_iteratorIiNS8_11use_defaultESA_SA_EEPbZNS1_13binary_searchIS3_S5_PiSB_SC_NS1_16binary_search_opENS8_6detail16wrapped_functionINS0_4lessIvEEbEEEE10hipError_tPvRmT1_T2_T3_mmT4_T5_P12ihipStream_tbEUlRKiE_EESL_SP_SQ_mSR_SU_bEUlT_E_NS1_11comp_targetILNS1_3genE2ELNS1_11target_archE906ELNS1_3gpuE6ELNS1_3repE0EEENS1_30default_config_static_selectorELNS0_4arch9wavefront6targetE0EEEvSO_
; %bb.0:
	.section	.rodata,"a",@progbits
	.p2align	6, 0x0
	.amdhsa_kernel _ZN7rocprim17ROCPRIM_400000_NS6detail17trampoline_kernelINS0_14default_configENS1_29binary_search_config_selectorIibEEZNS1_14transform_implILb0ES3_S5_N6thrust23THRUST_200600_302600_NS17counting_iteratorIiNS8_11use_defaultESA_SA_EEPbZNS1_13binary_searchIS3_S5_PiSB_SC_NS1_16binary_search_opENS8_6detail16wrapped_functionINS0_4lessIvEEbEEEE10hipError_tPvRmT1_T2_T3_mmT4_T5_P12ihipStream_tbEUlRKiE_EESL_SP_SQ_mSR_SU_bEUlT_E_NS1_11comp_targetILNS1_3genE2ELNS1_11target_archE906ELNS1_3gpuE6ELNS1_3repE0EEENS1_30default_config_static_selectorELNS0_4arch9wavefront6targetE0EEEvSO_
		.amdhsa_group_segment_fixed_size 0
		.amdhsa_private_segment_fixed_size 0
		.amdhsa_kernarg_size 56
		.amdhsa_user_sgpr_count 15
		.amdhsa_user_sgpr_dispatch_ptr 0
		.amdhsa_user_sgpr_queue_ptr 0
		.amdhsa_user_sgpr_kernarg_segment_ptr 1
		.amdhsa_user_sgpr_dispatch_id 0
		.amdhsa_user_sgpr_private_segment_size 0
		.amdhsa_wavefront_size32 1
		.amdhsa_uses_dynamic_stack 0
		.amdhsa_enable_private_segment 0
		.amdhsa_system_sgpr_workgroup_id_x 1
		.amdhsa_system_sgpr_workgroup_id_y 0
		.amdhsa_system_sgpr_workgroup_id_z 0
		.amdhsa_system_sgpr_workgroup_info 0
		.amdhsa_system_vgpr_workitem_id 0
		.amdhsa_next_free_vgpr 1
		.amdhsa_next_free_sgpr 1
		.amdhsa_reserve_vcc 0
		.amdhsa_float_round_mode_32 0
		.amdhsa_float_round_mode_16_64 0
		.amdhsa_float_denorm_mode_32 3
		.amdhsa_float_denorm_mode_16_64 3
		.amdhsa_dx10_clamp 1
		.amdhsa_ieee_mode 1
		.amdhsa_fp16_overflow 0
		.amdhsa_workgroup_processor_mode 1
		.amdhsa_memory_ordered 1
		.amdhsa_forward_progress 0
		.amdhsa_shared_vgpr_count 0
		.amdhsa_exception_fp_ieee_invalid_op 0
		.amdhsa_exception_fp_denorm_src 0
		.amdhsa_exception_fp_ieee_div_zero 0
		.amdhsa_exception_fp_ieee_overflow 0
		.amdhsa_exception_fp_ieee_underflow 0
		.amdhsa_exception_fp_ieee_inexact 0
		.amdhsa_exception_int_div_zero 0
	.end_amdhsa_kernel
	.section	.text._ZN7rocprim17ROCPRIM_400000_NS6detail17trampoline_kernelINS0_14default_configENS1_29binary_search_config_selectorIibEEZNS1_14transform_implILb0ES3_S5_N6thrust23THRUST_200600_302600_NS17counting_iteratorIiNS8_11use_defaultESA_SA_EEPbZNS1_13binary_searchIS3_S5_PiSB_SC_NS1_16binary_search_opENS8_6detail16wrapped_functionINS0_4lessIvEEbEEEE10hipError_tPvRmT1_T2_T3_mmT4_T5_P12ihipStream_tbEUlRKiE_EESL_SP_SQ_mSR_SU_bEUlT_E_NS1_11comp_targetILNS1_3genE2ELNS1_11target_archE906ELNS1_3gpuE6ELNS1_3repE0EEENS1_30default_config_static_selectorELNS0_4arch9wavefront6targetE0EEEvSO_,"axG",@progbits,_ZN7rocprim17ROCPRIM_400000_NS6detail17trampoline_kernelINS0_14default_configENS1_29binary_search_config_selectorIibEEZNS1_14transform_implILb0ES3_S5_N6thrust23THRUST_200600_302600_NS17counting_iteratorIiNS8_11use_defaultESA_SA_EEPbZNS1_13binary_searchIS3_S5_PiSB_SC_NS1_16binary_search_opENS8_6detail16wrapped_functionINS0_4lessIvEEbEEEE10hipError_tPvRmT1_T2_T3_mmT4_T5_P12ihipStream_tbEUlRKiE_EESL_SP_SQ_mSR_SU_bEUlT_E_NS1_11comp_targetILNS1_3genE2ELNS1_11target_archE906ELNS1_3gpuE6ELNS1_3repE0EEENS1_30default_config_static_selectorELNS0_4arch9wavefront6targetE0EEEvSO_,comdat
.Lfunc_end234:
	.size	_ZN7rocprim17ROCPRIM_400000_NS6detail17trampoline_kernelINS0_14default_configENS1_29binary_search_config_selectorIibEEZNS1_14transform_implILb0ES3_S5_N6thrust23THRUST_200600_302600_NS17counting_iteratorIiNS8_11use_defaultESA_SA_EEPbZNS1_13binary_searchIS3_S5_PiSB_SC_NS1_16binary_search_opENS8_6detail16wrapped_functionINS0_4lessIvEEbEEEE10hipError_tPvRmT1_T2_T3_mmT4_T5_P12ihipStream_tbEUlRKiE_EESL_SP_SQ_mSR_SU_bEUlT_E_NS1_11comp_targetILNS1_3genE2ELNS1_11target_archE906ELNS1_3gpuE6ELNS1_3repE0EEENS1_30default_config_static_selectorELNS0_4arch9wavefront6targetE0EEEvSO_, .Lfunc_end234-_ZN7rocprim17ROCPRIM_400000_NS6detail17trampoline_kernelINS0_14default_configENS1_29binary_search_config_selectorIibEEZNS1_14transform_implILb0ES3_S5_N6thrust23THRUST_200600_302600_NS17counting_iteratorIiNS8_11use_defaultESA_SA_EEPbZNS1_13binary_searchIS3_S5_PiSB_SC_NS1_16binary_search_opENS8_6detail16wrapped_functionINS0_4lessIvEEbEEEE10hipError_tPvRmT1_T2_T3_mmT4_T5_P12ihipStream_tbEUlRKiE_EESL_SP_SQ_mSR_SU_bEUlT_E_NS1_11comp_targetILNS1_3genE2ELNS1_11target_archE906ELNS1_3gpuE6ELNS1_3repE0EEENS1_30default_config_static_selectorELNS0_4arch9wavefront6targetE0EEEvSO_
                                        ; -- End function
	.section	.AMDGPU.csdata,"",@progbits
; Kernel info:
; codeLenInByte = 0
; NumSgprs: 0
; NumVgprs: 0
; ScratchSize: 0
; MemoryBound: 0
; FloatMode: 240
; IeeeMode: 1
; LDSByteSize: 0 bytes/workgroup (compile time only)
; SGPRBlocks: 0
; VGPRBlocks: 0
; NumSGPRsForWavesPerEU: 1
; NumVGPRsForWavesPerEU: 1
; Occupancy: 16
; WaveLimiterHint : 0
; COMPUTE_PGM_RSRC2:SCRATCH_EN: 0
; COMPUTE_PGM_RSRC2:USER_SGPR: 15
; COMPUTE_PGM_RSRC2:TRAP_HANDLER: 0
; COMPUTE_PGM_RSRC2:TGID_X_EN: 1
; COMPUTE_PGM_RSRC2:TGID_Y_EN: 0
; COMPUTE_PGM_RSRC2:TGID_Z_EN: 0
; COMPUTE_PGM_RSRC2:TIDIG_COMP_CNT: 0
	.section	.text._ZN7rocprim17ROCPRIM_400000_NS6detail17trampoline_kernelINS0_14default_configENS1_29binary_search_config_selectorIibEEZNS1_14transform_implILb0ES3_S5_N6thrust23THRUST_200600_302600_NS17counting_iteratorIiNS8_11use_defaultESA_SA_EEPbZNS1_13binary_searchIS3_S5_PiSB_SC_NS1_16binary_search_opENS8_6detail16wrapped_functionINS0_4lessIvEEbEEEE10hipError_tPvRmT1_T2_T3_mmT4_T5_P12ihipStream_tbEUlRKiE_EESL_SP_SQ_mSR_SU_bEUlT_E_NS1_11comp_targetILNS1_3genE10ELNS1_11target_archE1201ELNS1_3gpuE5ELNS1_3repE0EEENS1_30default_config_static_selectorELNS0_4arch9wavefront6targetE0EEEvSO_,"axG",@progbits,_ZN7rocprim17ROCPRIM_400000_NS6detail17trampoline_kernelINS0_14default_configENS1_29binary_search_config_selectorIibEEZNS1_14transform_implILb0ES3_S5_N6thrust23THRUST_200600_302600_NS17counting_iteratorIiNS8_11use_defaultESA_SA_EEPbZNS1_13binary_searchIS3_S5_PiSB_SC_NS1_16binary_search_opENS8_6detail16wrapped_functionINS0_4lessIvEEbEEEE10hipError_tPvRmT1_T2_T3_mmT4_T5_P12ihipStream_tbEUlRKiE_EESL_SP_SQ_mSR_SU_bEUlT_E_NS1_11comp_targetILNS1_3genE10ELNS1_11target_archE1201ELNS1_3gpuE5ELNS1_3repE0EEENS1_30default_config_static_selectorELNS0_4arch9wavefront6targetE0EEEvSO_,comdat
	.protected	_ZN7rocprim17ROCPRIM_400000_NS6detail17trampoline_kernelINS0_14default_configENS1_29binary_search_config_selectorIibEEZNS1_14transform_implILb0ES3_S5_N6thrust23THRUST_200600_302600_NS17counting_iteratorIiNS8_11use_defaultESA_SA_EEPbZNS1_13binary_searchIS3_S5_PiSB_SC_NS1_16binary_search_opENS8_6detail16wrapped_functionINS0_4lessIvEEbEEEE10hipError_tPvRmT1_T2_T3_mmT4_T5_P12ihipStream_tbEUlRKiE_EESL_SP_SQ_mSR_SU_bEUlT_E_NS1_11comp_targetILNS1_3genE10ELNS1_11target_archE1201ELNS1_3gpuE5ELNS1_3repE0EEENS1_30default_config_static_selectorELNS0_4arch9wavefront6targetE0EEEvSO_ ; -- Begin function _ZN7rocprim17ROCPRIM_400000_NS6detail17trampoline_kernelINS0_14default_configENS1_29binary_search_config_selectorIibEEZNS1_14transform_implILb0ES3_S5_N6thrust23THRUST_200600_302600_NS17counting_iteratorIiNS8_11use_defaultESA_SA_EEPbZNS1_13binary_searchIS3_S5_PiSB_SC_NS1_16binary_search_opENS8_6detail16wrapped_functionINS0_4lessIvEEbEEEE10hipError_tPvRmT1_T2_T3_mmT4_T5_P12ihipStream_tbEUlRKiE_EESL_SP_SQ_mSR_SU_bEUlT_E_NS1_11comp_targetILNS1_3genE10ELNS1_11target_archE1201ELNS1_3gpuE5ELNS1_3repE0EEENS1_30default_config_static_selectorELNS0_4arch9wavefront6targetE0EEEvSO_
	.globl	_ZN7rocprim17ROCPRIM_400000_NS6detail17trampoline_kernelINS0_14default_configENS1_29binary_search_config_selectorIibEEZNS1_14transform_implILb0ES3_S5_N6thrust23THRUST_200600_302600_NS17counting_iteratorIiNS8_11use_defaultESA_SA_EEPbZNS1_13binary_searchIS3_S5_PiSB_SC_NS1_16binary_search_opENS8_6detail16wrapped_functionINS0_4lessIvEEbEEEE10hipError_tPvRmT1_T2_T3_mmT4_T5_P12ihipStream_tbEUlRKiE_EESL_SP_SQ_mSR_SU_bEUlT_E_NS1_11comp_targetILNS1_3genE10ELNS1_11target_archE1201ELNS1_3gpuE5ELNS1_3repE0EEENS1_30default_config_static_selectorELNS0_4arch9wavefront6targetE0EEEvSO_
	.p2align	8
	.type	_ZN7rocprim17ROCPRIM_400000_NS6detail17trampoline_kernelINS0_14default_configENS1_29binary_search_config_selectorIibEEZNS1_14transform_implILb0ES3_S5_N6thrust23THRUST_200600_302600_NS17counting_iteratorIiNS8_11use_defaultESA_SA_EEPbZNS1_13binary_searchIS3_S5_PiSB_SC_NS1_16binary_search_opENS8_6detail16wrapped_functionINS0_4lessIvEEbEEEE10hipError_tPvRmT1_T2_T3_mmT4_T5_P12ihipStream_tbEUlRKiE_EESL_SP_SQ_mSR_SU_bEUlT_E_NS1_11comp_targetILNS1_3genE10ELNS1_11target_archE1201ELNS1_3gpuE5ELNS1_3repE0EEENS1_30default_config_static_selectorELNS0_4arch9wavefront6targetE0EEEvSO_,@function
_ZN7rocprim17ROCPRIM_400000_NS6detail17trampoline_kernelINS0_14default_configENS1_29binary_search_config_selectorIibEEZNS1_14transform_implILb0ES3_S5_N6thrust23THRUST_200600_302600_NS17counting_iteratorIiNS8_11use_defaultESA_SA_EEPbZNS1_13binary_searchIS3_S5_PiSB_SC_NS1_16binary_search_opENS8_6detail16wrapped_functionINS0_4lessIvEEbEEEE10hipError_tPvRmT1_T2_T3_mmT4_T5_P12ihipStream_tbEUlRKiE_EESL_SP_SQ_mSR_SU_bEUlT_E_NS1_11comp_targetILNS1_3genE10ELNS1_11target_archE1201ELNS1_3gpuE5ELNS1_3repE0EEENS1_30default_config_static_selectorELNS0_4arch9wavefront6targetE0EEEvSO_: ; @_ZN7rocprim17ROCPRIM_400000_NS6detail17trampoline_kernelINS0_14default_configENS1_29binary_search_config_selectorIibEEZNS1_14transform_implILb0ES3_S5_N6thrust23THRUST_200600_302600_NS17counting_iteratorIiNS8_11use_defaultESA_SA_EEPbZNS1_13binary_searchIS3_S5_PiSB_SC_NS1_16binary_search_opENS8_6detail16wrapped_functionINS0_4lessIvEEbEEEE10hipError_tPvRmT1_T2_T3_mmT4_T5_P12ihipStream_tbEUlRKiE_EESL_SP_SQ_mSR_SU_bEUlT_E_NS1_11comp_targetILNS1_3genE10ELNS1_11target_archE1201ELNS1_3gpuE5ELNS1_3repE0EEENS1_30default_config_static_selectorELNS0_4arch9wavefront6targetE0EEEvSO_
; %bb.0:
	.section	.rodata,"a",@progbits
	.p2align	6, 0x0
	.amdhsa_kernel _ZN7rocprim17ROCPRIM_400000_NS6detail17trampoline_kernelINS0_14default_configENS1_29binary_search_config_selectorIibEEZNS1_14transform_implILb0ES3_S5_N6thrust23THRUST_200600_302600_NS17counting_iteratorIiNS8_11use_defaultESA_SA_EEPbZNS1_13binary_searchIS3_S5_PiSB_SC_NS1_16binary_search_opENS8_6detail16wrapped_functionINS0_4lessIvEEbEEEE10hipError_tPvRmT1_T2_T3_mmT4_T5_P12ihipStream_tbEUlRKiE_EESL_SP_SQ_mSR_SU_bEUlT_E_NS1_11comp_targetILNS1_3genE10ELNS1_11target_archE1201ELNS1_3gpuE5ELNS1_3repE0EEENS1_30default_config_static_selectorELNS0_4arch9wavefront6targetE0EEEvSO_
		.amdhsa_group_segment_fixed_size 0
		.amdhsa_private_segment_fixed_size 0
		.amdhsa_kernarg_size 56
		.amdhsa_user_sgpr_count 15
		.amdhsa_user_sgpr_dispatch_ptr 0
		.amdhsa_user_sgpr_queue_ptr 0
		.amdhsa_user_sgpr_kernarg_segment_ptr 1
		.amdhsa_user_sgpr_dispatch_id 0
		.amdhsa_user_sgpr_private_segment_size 0
		.amdhsa_wavefront_size32 1
		.amdhsa_uses_dynamic_stack 0
		.amdhsa_enable_private_segment 0
		.amdhsa_system_sgpr_workgroup_id_x 1
		.amdhsa_system_sgpr_workgroup_id_y 0
		.amdhsa_system_sgpr_workgroup_id_z 0
		.amdhsa_system_sgpr_workgroup_info 0
		.amdhsa_system_vgpr_workitem_id 0
		.amdhsa_next_free_vgpr 1
		.amdhsa_next_free_sgpr 1
		.amdhsa_reserve_vcc 0
		.amdhsa_float_round_mode_32 0
		.amdhsa_float_round_mode_16_64 0
		.amdhsa_float_denorm_mode_32 3
		.amdhsa_float_denorm_mode_16_64 3
		.amdhsa_dx10_clamp 1
		.amdhsa_ieee_mode 1
		.amdhsa_fp16_overflow 0
		.amdhsa_workgroup_processor_mode 1
		.amdhsa_memory_ordered 1
		.amdhsa_forward_progress 0
		.amdhsa_shared_vgpr_count 0
		.amdhsa_exception_fp_ieee_invalid_op 0
		.amdhsa_exception_fp_denorm_src 0
		.amdhsa_exception_fp_ieee_div_zero 0
		.amdhsa_exception_fp_ieee_overflow 0
		.amdhsa_exception_fp_ieee_underflow 0
		.amdhsa_exception_fp_ieee_inexact 0
		.amdhsa_exception_int_div_zero 0
	.end_amdhsa_kernel
	.section	.text._ZN7rocprim17ROCPRIM_400000_NS6detail17trampoline_kernelINS0_14default_configENS1_29binary_search_config_selectorIibEEZNS1_14transform_implILb0ES3_S5_N6thrust23THRUST_200600_302600_NS17counting_iteratorIiNS8_11use_defaultESA_SA_EEPbZNS1_13binary_searchIS3_S5_PiSB_SC_NS1_16binary_search_opENS8_6detail16wrapped_functionINS0_4lessIvEEbEEEE10hipError_tPvRmT1_T2_T3_mmT4_T5_P12ihipStream_tbEUlRKiE_EESL_SP_SQ_mSR_SU_bEUlT_E_NS1_11comp_targetILNS1_3genE10ELNS1_11target_archE1201ELNS1_3gpuE5ELNS1_3repE0EEENS1_30default_config_static_selectorELNS0_4arch9wavefront6targetE0EEEvSO_,"axG",@progbits,_ZN7rocprim17ROCPRIM_400000_NS6detail17trampoline_kernelINS0_14default_configENS1_29binary_search_config_selectorIibEEZNS1_14transform_implILb0ES3_S5_N6thrust23THRUST_200600_302600_NS17counting_iteratorIiNS8_11use_defaultESA_SA_EEPbZNS1_13binary_searchIS3_S5_PiSB_SC_NS1_16binary_search_opENS8_6detail16wrapped_functionINS0_4lessIvEEbEEEE10hipError_tPvRmT1_T2_T3_mmT4_T5_P12ihipStream_tbEUlRKiE_EESL_SP_SQ_mSR_SU_bEUlT_E_NS1_11comp_targetILNS1_3genE10ELNS1_11target_archE1201ELNS1_3gpuE5ELNS1_3repE0EEENS1_30default_config_static_selectorELNS0_4arch9wavefront6targetE0EEEvSO_,comdat
.Lfunc_end235:
	.size	_ZN7rocprim17ROCPRIM_400000_NS6detail17trampoline_kernelINS0_14default_configENS1_29binary_search_config_selectorIibEEZNS1_14transform_implILb0ES3_S5_N6thrust23THRUST_200600_302600_NS17counting_iteratorIiNS8_11use_defaultESA_SA_EEPbZNS1_13binary_searchIS3_S5_PiSB_SC_NS1_16binary_search_opENS8_6detail16wrapped_functionINS0_4lessIvEEbEEEE10hipError_tPvRmT1_T2_T3_mmT4_T5_P12ihipStream_tbEUlRKiE_EESL_SP_SQ_mSR_SU_bEUlT_E_NS1_11comp_targetILNS1_3genE10ELNS1_11target_archE1201ELNS1_3gpuE5ELNS1_3repE0EEENS1_30default_config_static_selectorELNS0_4arch9wavefront6targetE0EEEvSO_, .Lfunc_end235-_ZN7rocprim17ROCPRIM_400000_NS6detail17trampoline_kernelINS0_14default_configENS1_29binary_search_config_selectorIibEEZNS1_14transform_implILb0ES3_S5_N6thrust23THRUST_200600_302600_NS17counting_iteratorIiNS8_11use_defaultESA_SA_EEPbZNS1_13binary_searchIS3_S5_PiSB_SC_NS1_16binary_search_opENS8_6detail16wrapped_functionINS0_4lessIvEEbEEEE10hipError_tPvRmT1_T2_T3_mmT4_T5_P12ihipStream_tbEUlRKiE_EESL_SP_SQ_mSR_SU_bEUlT_E_NS1_11comp_targetILNS1_3genE10ELNS1_11target_archE1201ELNS1_3gpuE5ELNS1_3repE0EEENS1_30default_config_static_selectorELNS0_4arch9wavefront6targetE0EEEvSO_
                                        ; -- End function
	.section	.AMDGPU.csdata,"",@progbits
; Kernel info:
; codeLenInByte = 0
; NumSgprs: 0
; NumVgprs: 0
; ScratchSize: 0
; MemoryBound: 0
; FloatMode: 240
; IeeeMode: 1
; LDSByteSize: 0 bytes/workgroup (compile time only)
; SGPRBlocks: 0
; VGPRBlocks: 0
; NumSGPRsForWavesPerEU: 1
; NumVGPRsForWavesPerEU: 1
; Occupancy: 16
; WaveLimiterHint : 0
; COMPUTE_PGM_RSRC2:SCRATCH_EN: 0
; COMPUTE_PGM_RSRC2:USER_SGPR: 15
; COMPUTE_PGM_RSRC2:TRAP_HANDLER: 0
; COMPUTE_PGM_RSRC2:TGID_X_EN: 1
; COMPUTE_PGM_RSRC2:TGID_Y_EN: 0
; COMPUTE_PGM_RSRC2:TGID_Z_EN: 0
; COMPUTE_PGM_RSRC2:TIDIG_COMP_CNT: 0
	.section	.text._ZN7rocprim17ROCPRIM_400000_NS6detail17trampoline_kernelINS0_14default_configENS1_29binary_search_config_selectorIibEEZNS1_14transform_implILb0ES3_S5_N6thrust23THRUST_200600_302600_NS17counting_iteratorIiNS8_11use_defaultESA_SA_EEPbZNS1_13binary_searchIS3_S5_PiSB_SC_NS1_16binary_search_opENS8_6detail16wrapped_functionINS0_4lessIvEEbEEEE10hipError_tPvRmT1_T2_T3_mmT4_T5_P12ihipStream_tbEUlRKiE_EESL_SP_SQ_mSR_SU_bEUlT_E_NS1_11comp_targetILNS1_3genE10ELNS1_11target_archE1200ELNS1_3gpuE4ELNS1_3repE0EEENS1_30default_config_static_selectorELNS0_4arch9wavefront6targetE0EEEvSO_,"axG",@progbits,_ZN7rocprim17ROCPRIM_400000_NS6detail17trampoline_kernelINS0_14default_configENS1_29binary_search_config_selectorIibEEZNS1_14transform_implILb0ES3_S5_N6thrust23THRUST_200600_302600_NS17counting_iteratorIiNS8_11use_defaultESA_SA_EEPbZNS1_13binary_searchIS3_S5_PiSB_SC_NS1_16binary_search_opENS8_6detail16wrapped_functionINS0_4lessIvEEbEEEE10hipError_tPvRmT1_T2_T3_mmT4_T5_P12ihipStream_tbEUlRKiE_EESL_SP_SQ_mSR_SU_bEUlT_E_NS1_11comp_targetILNS1_3genE10ELNS1_11target_archE1200ELNS1_3gpuE4ELNS1_3repE0EEENS1_30default_config_static_selectorELNS0_4arch9wavefront6targetE0EEEvSO_,comdat
	.protected	_ZN7rocprim17ROCPRIM_400000_NS6detail17trampoline_kernelINS0_14default_configENS1_29binary_search_config_selectorIibEEZNS1_14transform_implILb0ES3_S5_N6thrust23THRUST_200600_302600_NS17counting_iteratorIiNS8_11use_defaultESA_SA_EEPbZNS1_13binary_searchIS3_S5_PiSB_SC_NS1_16binary_search_opENS8_6detail16wrapped_functionINS0_4lessIvEEbEEEE10hipError_tPvRmT1_T2_T3_mmT4_T5_P12ihipStream_tbEUlRKiE_EESL_SP_SQ_mSR_SU_bEUlT_E_NS1_11comp_targetILNS1_3genE10ELNS1_11target_archE1200ELNS1_3gpuE4ELNS1_3repE0EEENS1_30default_config_static_selectorELNS0_4arch9wavefront6targetE0EEEvSO_ ; -- Begin function _ZN7rocprim17ROCPRIM_400000_NS6detail17trampoline_kernelINS0_14default_configENS1_29binary_search_config_selectorIibEEZNS1_14transform_implILb0ES3_S5_N6thrust23THRUST_200600_302600_NS17counting_iteratorIiNS8_11use_defaultESA_SA_EEPbZNS1_13binary_searchIS3_S5_PiSB_SC_NS1_16binary_search_opENS8_6detail16wrapped_functionINS0_4lessIvEEbEEEE10hipError_tPvRmT1_T2_T3_mmT4_T5_P12ihipStream_tbEUlRKiE_EESL_SP_SQ_mSR_SU_bEUlT_E_NS1_11comp_targetILNS1_3genE10ELNS1_11target_archE1200ELNS1_3gpuE4ELNS1_3repE0EEENS1_30default_config_static_selectorELNS0_4arch9wavefront6targetE0EEEvSO_
	.globl	_ZN7rocprim17ROCPRIM_400000_NS6detail17trampoline_kernelINS0_14default_configENS1_29binary_search_config_selectorIibEEZNS1_14transform_implILb0ES3_S5_N6thrust23THRUST_200600_302600_NS17counting_iteratorIiNS8_11use_defaultESA_SA_EEPbZNS1_13binary_searchIS3_S5_PiSB_SC_NS1_16binary_search_opENS8_6detail16wrapped_functionINS0_4lessIvEEbEEEE10hipError_tPvRmT1_T2_T3_mmT4_T5_P12ihipStream_tbEUlRKiE_EESL_SP_SQ_mSR_SU_bEUlT_E_NS1_11comp_targetILNS1_3genE10ELNS1_11target_archE1200ELNS1_3gpuE4ELNS1_3repE0EEENS1_30default_config_static_selectorELNS0_4arch9wavefront6targetE0EEEvSO_
	.p2align	8
	.type	_ZN7rocprim17ROCPRIM_400000_NS6detail17trampoline_kernelINS0_14default_configENS1_29binary_search_config_selectorIibEEZNS1_14transform_implILb0ES3_S5_N6thrust23THRUST_200600_302600_NS17counting_iteratorIiNS8_11use_defaultESA_SA_EEPbZNS1_13binary_searchIS3_S5_PiSB_SC_NS1_16binary_search_opENS8_6detail16wrapped_functionINS0_4lessIvEEbEEEE10hipError_tPvRmT1_T2_T3_mmT4_T5_P12ihipStream_tbEUlRKiE_EESL_SP_SQ_mSR_SU_bEUlT_E_NS1_11comp_targetILNS1_3genE10ELNS1_11target_archE1200ELNS1_3gpuE4ELNS1_3repE0EEENS1_30default_config_static_selectorELNS0_4arch9wavefront6targetE0EEEvSO_,@function
_ZN7rocprim17ROCPRIM_400000_NS6detail17trampoline_kernelINS0_14default_configENS1_29binary_search_config_selectorIibEEZNS1_14transform_implILb0ES3_S5_N6thrust23THRUST_200600_302600_NS17counting_iteratorIiNS8_11use_defaultESA_SA_EEPbZNS1_13binary_searchIS3_S5_PiSB_SC_NS1_16binary_search_opENS8_6detail16wrapped_functionINS0_4lessIvEEbEEEE10hipError_tPvRmT1_T2_T3_mmT4_T5_P12ihipStream_tbEUlRKiE_EESL_SP_SQ_mSR_SU_bEUlT_E_NS1_11comp_targetILNS1_3genE10ELNS1_11target_archE1200ELNS1_3gpuE4ELNS1_3repE0EEENS1_30default_config_static_selectorELNS0_4arch9wavefront6targetE0EEEvSO_: ; @_ZN7rocprim17ROCPRIM_400000_NS6detail17trampoline_kernelINS0_14default_configENS1_29binary_search_config_selectorIibEEZNS1_14transform_implILb0ES3_S5_N6thrust23THRUST_200600_302600_NS17counting_iteratorIiNS8_11use_defaultESA_SA_EEPbZNS1_13binary_searchIS3_S5_PiSB_SC_NS1_16binary_search_opENS8_6detail16wrapped_functionINS0_4lessIvEEbEEEE10hipError_tPvRmT1_T2_T3_mmT4_T5_P12ihipStream_tbEUlRKiE_EESL_SP_SQ_mSR_SU_bEUlT_E_NS1_11comp_targetILNS1_3genE10ELNS1_11target_archE1200ELNS1_3gpuE4ELNS1_3repE0EEENS1_30default_config_static_selectorELNS0_4arch9wavefront6targetE0EEEvSO_
; %bb.0:
	.section	.rodata,"a",@progbits
	.p2align	6, 0x0
	.amdhsa_kernel _ZN7rocprim17ROCPRIM_400000_NS6detail17trampoline_kernelINS0_14default_configENS1_29binary_search_config_selectorIibEEZNS1_14transform_implILb0ES3_S5_N6thrust23THRUST_200600_302600_NS17counting_iteratorIiNS8_11use_defaultESA_SA_EEPbZNS1_13binary_searchIS3_S5_PiSB_SC_NS1_16binary_search_opENS8_6detail16wrapped_functionINS0_4lessIvEEbEEEE10hipError_tPvRmT1_T2_T3_mmT4_T5_P12ihipStream_tbEUlRKiE_EESL_SP_SQ_mSR_SU_bEUlT_E_NS1_11comp_targetILNS1_3genE10ELNS1_11target_archE1200ELNS1_3gpuE4ELNS1_3repE0EEENS1_30default_config_static_selectorELNS0_4arch9wavefront6targetE0EEEvSO_
		.amdhsa_group_segment_fixed_size 0
		.amdhsa_private_segment_fixed_size 0
		.amdhsa_kernarg_size 56
		.amdhsa_user_sgpr_count 15
		.amdhsa_user_sgpr_dispatch_ptr 0
		.amdhsa_user_sgpr_queue_ptr 0
		.amdhsa_user_sgpr_kernarg_segment_ptr 1
		.amdhsa_user_sgpr_dispatch_id 0
		.amdhsa_user_sgpr_private_segment_size 0
		.amdhsa_wavefront_size32 1
		.amdhsa_uses_dynamic_stack 0
		.amdhsa_enable_private_segment 0
		.amdhsa_system_sgpr_workgroup_id_x 1
		.amdhsa_system_sgpr_workgroup_id_y 0
		.amdhsa_system_sgpr_workgroup_id_z 0
		.amdhsa_system_sgpr_workgroup_info 0
		.amdhsa_system_vgpr_workitem_id 0
		.amdhsa_next_free_vgpr 1
		.amdhsa_next_free_sgpr 1
		.amdhsa_reserve_vcc 0
		.amdhsa_float_round_mode_32 0
		.amdhsa_float_round_mode_16_64 0
		.amdhsa_float_denorm_mode_32 3
		.amdhsa_float_denorm_mode_16_64 3
		.amdhsa_dx10_clamp 1
		.amdhsa_ieee_mode 1
		.amdhsa_fp16_overflow 0
		.amdhsa_workgroup_processor_mode 1
		.amdhsa_memory_ordered 1
		.amdhsa_forward_progress 0
		.amdhsa_shared_vgpr_count 0
		.amdhsa_exception_fp_ieee_invalid_op 0
		.amdhsa_exception_fp_denorm_src 0
		.amdhsa_exception_fp_ieee_div_zero 0
		.amdhsa_exception_fp_ieee_overflow 0
		.amdhsa_exception_fp_ieee_underflow 0
		.amdhsa_exception_fp_ieee_inexact 0
		.amdhsa_exception_int_div_zero 0
	.end_amdhsa_kernel
	.section	.text._ZN7rocprim17ROCPRIM_400000_NS6detail17trampoline_kernelINS0_14default_configENS1_29binary_search_config_selectorIibEEZNS1_14transform_implILb0ES3_S5_N6thrust23THRUST_200600_302600_NS17counting_iteratorIiNS8_11use_defaultESA_SA_EEPbZNS1_13binary_searchIS3_S5_PiSB_SC_NS1_16binary_search_opENS8_6detail16wrapped_functionINS0_4lessIvEEbEEEE10hipError_tPvRmT1_T2_T3_mmT4_T5_P12ihipStream_tbEUlRKiE_EESL_SP_SQ_mSR_SU_bEUlT_E_NS1_11comp_targetILNS1_3genE10ELNS1_11target_archE1200ELNS1_3gpuE4ELNS1_3repE0EEENS1_30default_config_static_selectorELNS0_4arch9wavefront6targetE0EEEvSO_,"axG",@progbits,_ZN7rocprim17ROCPRIM_400000_NS6detail17trampoline_kernelINS0_14default_configENS1_29binary_search_config_selectorIibEEZNS1_14transform_implILb0ES3_S5_N6thrust23THRUST_200600_302600_NS17counting_iteratorIiNS8_11use_defaultESA_SA_EEPbZNS1_13binary_searchIS3_S5_PiSB_SC_NS1_16binary_search_opENS8_6detail16wrapped_functionINS0_4lessIvEEbEEEE10hipError_tPvRmT1_T2_T3_mmT4_T5_P12ihipStream_tbEUlRKiE_EESL_SP_SQ_mSR_SU_bEUlT_E_NS1_11comp_targetILNS1_3genE10ELNS1_11target_archE1200ELNS1_3gpuE4ELNS1_3repE0EEENS1_30default_config_static_selectorELNS0_4arch9wavefront6targetE0EEEvSO_,comdat
.Lfunc_end236:
	.size	_ZN7rocprim17ROCPRIM_400000_NS6detail17trampoline_kernelINS0_14default_configENS1_29binary_search_config_selectorIibEEZNS1_14transform_implILb0ES3_S5_N6thrust23THRUST_200600_302600_NS17counting_iteratorIiNS8_11use_defaultESA_SA_EEPbZNS1_13binary_searchIS3_S5_PiSB_SC_NS1_16binary_search_opENS8_6detail16wrapped_functionINS0_4lessIvEEbEEEE10hipError_tPvRmT1_T2_T3_mmT4_T5_P12ihipStream_tbEUlRKiE_EESL_SP_SQ_mSR_SU_bEUlT_E_NS1_11comp_targetILNS1_3genE10ELNS1_11target_archE1200ELNS1_3gpuE4ELNS1_3repE0EEENS1_30default_config_static_selectorELNS0_4arch9wavefront6targetE0EEEvSO_, .Lfunc_end236-_ZN7rocprim17ROCPRIM_400000_NS6detail17trampoline_kernelINS0_14default_configENS1_29binary_search_config_selectorIibEEZNS1_14transform_implILb0ES3_S5_N6thrust23THRUST_200600_302600_NS17counting_iteratorIiNS8_11use_defaultESA_SA_EEPbZNS1_13binary_searchIS3_S5_PiSB_SC_NS1_16binary_search_opENS8_6detail16wrapped_functionINS0_4lessIvEEbEEEE10hipError_tPvRmT1_T2_T3_mmT4_T5_P12ihipStream_tbEUlRKiE_EESL_SP_SQ_mSR_SU_bEUlT_E_NS1_11comp_targetILNS1_3genE10ELNS1_11target_archE1200ELNS1_3gpuE4ELNS1_3repE0EEENS1_30default_config_static_selectorELNS0_4arch9wavefront6targetE0EEEvSO_
                                        ; -- End function
	.section	.AMDGPU.csdata,"",@progbits
; Kernel info:
; codeLenInByte = 0
; NumSgprs: 0
; NumVgprs: 0
; ScratchSize: 0
; MemoryBound: 0
; FloatMode: 240
; IeeeMode: 1
; LDSByteSize: 0 bytes/workgroup (compile time only)
; SGPRBlocks: 0
; VGPRBlocks: 0
; NumSGPRsForWavesPerEU: 1
; NumVGPRsForWavesPerEU: 1
; Occupancy: 16
; WaveLimiterHint : 0
; COMPUTE_PGM_RSRC2:SCRATCH_EN: 0
; COMPUTE_PGM_RSRC2:USER_SGPR: 15
; COMPUTE_PGM_RSRC2:TRAP_HANDLER: 0
; COMPUTE_PGM_RSRC2:TGID_X_EN: 1
; COMPUTE_PGM_RSRC2:TGID_Y_EN: 0
; COMPUTE_PGM_RSRC2:TGID_Z_EN: 0
; COMPUTE_PGM_RSRC2:TIDIG_COMP_CNT: 0
	.section	.text._ZN7rocprim17ROCPRIM_400000_NS6detail17trampoline_kernelINS0_14default_configENS1_29binary_search_config_selectorIibEEZNS1_14transform_implILb0ES3_S5_N6thrust23THRUST_200600_302600_NS17counting_iteratorIiNS8_11use_defaultESA_SA_EEPbZNS1_13binary_searchIS3_S5_PiSB_SC_NS1_16binary_search_opENS8_6detail16wrapped_functionINS0_4lessIvEEbEEEE10hipError_tPvRmT1_T2_T3_mmT4_T5_P12ihipStream_tbEUlRKiE_EESL_SP_SQ_mSR_SU_bEUlT_E_NS1_11comp_targetILNS1_3genE9ELNS1_11target_archE1100ELNS1_3gpuE3ELNS1_3repE0EEENS1_30default_config_static_selectorELNS0_4arch9wavefront6targetE0EEEvSO_,"axG",@progbits,_ZN7rocprim17ROCPRIM_400000_NS6detail17trampoline_kernelINS0_14default_configENS1_29binary_search_config_selectorIibEEZNS1_14transform_implILb0ES3_S5_N6thrust23THRUST_200600_302600_NS17counting_iteratorIiNS8_11use_defaultESA_SA_EEPbZNS1_13binary_searchIS3_S5_PiSB_SC_NS1_16binary_search_opENS8_6detail16wrapped_functionINS0_4lessIvEEbEEEE10hipError_tPvRmT1_T2_T3_mmT4_T5_P12ihipStream_tbEUlRKiE_EESL_SP_SQ_mSR_SU_bEUlT_E_NS1_11comp_targetILNS1_3genE9ELNS1_11target_archE1100ELNS1_3gpuE3ELNS1_3repE0EEENS1_30default_config_static_selectorELNS0_4arch9wavefront6targetE0EEEvSO_,comdat
	.protected	_ZN7rocprim17ROCPRIM_400000_NS6detail17trampoline_kernelINS0_14default_configENS1_29binary_search_config_selectorIibEEZNS1_14transform_implILb0ES3_S5_N6thrust23THRUST_200600_302600_NS17counting_iteratorIiNS8_11use_defaultESA_SA_EEPbZNS1_13binary_searchIS3_S5_PiSB_SC_NS1_16binary_search_opENS8_6detail16wrapped_functionINS0_4lessIvEEbEEEE10hipError_tPvRmT1_T2_T3_mmT4_T5_P12ihipStream_tbEUlRKiE_EESL_SP_SQ_mSR_SU_bEUlT_E_NS1_11comp_targetILNS1_3genE9ELNS1_11target_archE1100ELNS1_3gpuE3ELNS1_3repE0EEENS1_30default_config_static_selectorELNS0_4arch9wavefront6targetE0EEEvSO_ ; -- Begin function _ZN7rocprim17ROCPRIM_400000_NS6detail17trampoline_kernelINS0_14default_configENS1_29binary_search_config_selectorIibEEZNS1_14transform_implILb0ES3_S5_N6thrust23THRUST_200600_302600_NS17counting_iteratorIiNS8_11use_defaultESA_SA_EEPbZNS1_13binary_searchIS3_S5_PiSB_SC_NS1_16binary_search_opENS8_6detail16wrapped_functionINS0_4lessIvEEbEEEE10hipError_tPvRmT1_T2_T3_mmT4_T5_P12ihipStream_tbEUlRKiE_EESL_SP_SQ_mSR_SU_bEUlT_E_NS1_11comp_targetILNS1_3genE9ELNS1_11target_archE1100ELNS1_3gpuE3ELNS1_3repE0EEENS1_30default_config_static_selectorELNS0_4arch9wavefront6targetE0EEEvSO_
	.globl	_ZN7rocprim17ROCPRIM_400000_NS6detail17trampoline_kernelINS0_14default_configENS1_29binary_search_config_selectorIibEEZNS1_14transform_implILb0ES3_S5_N6thrust23THRUST_200600_302600_NS17counting_iteratorIiNS8_11use_defaultESA_SA_EEPbZNS1_13binary_searchIS3_S5_PiSB_SC_NS1_16binary_search_opENS8_6detail16wrapped_functionINS0_4lessIvEEbEEEE10hipError_tPvRmT1_T2_T3_mmT4_T5_P12ihipStream_tbEUlRKiE_EESL_SP_SQ_mSR_SU_bEUlT_E_NS1_11comp_targetILNS1_3genE9ELNS1_11target_archE1100ELNS1_3gpuE3ELNS1_3repE0EEENS1_30default_config_static_selectorELNS0_4arch9wavefront6targetE0EEEvSO_
	.p2align	8
	.type	_ZN7rocprim17ROCPRIM_400000_NS6detail17trampoline_kernelINS0_14default_configENS1_29binary_search_config_selectorIibEEZNS1_14transform_implILb0ES3_S5_N6thrust23THRUST_200600_302600_NS17counting_iteratorIiNS8_11use_defaultESA_SA_EEPbZNS1_13binary_searchIS3_S5_PiSB_SC_NS1_16binary_search_opENS8_6detail16wrapped_functionINS0_4lessIvEEbEEEE10hipError_tPvRmT1_T2_T3_mmT4_T5_P12ihipStream_tbEUlRKiE_EESL_SP_SQ_mSR_SU_bEUlT_E_NS1_11comp_targetILNS1_3genE9ELNS1_11target_archE1100ELNS1_3gpuE3ELNS1_3repE0EEENS1_30default_config_static_selectorELNS0_4arch9wavefront6targetE0EEEvSO_,@function
_ZN7rocprim17ROCPRIM_400000_NS6detail17trampoline_kernelINS0_14default_configENS1_29binary_search_config_selectorIibEEZNS1_14transform_implILb0ES3_S5_N6thrust23THRUST_200600_302600_NS17counting_iteratorIiNS8_11use_defaultESA_SA_EEPbZNS1_13binary_searchIS3_S5_PiSB_SC_NS1_16binary_search_opENS8_6detail16wrapped_functionINS0_4lessIvEEbEEEE10hipError_tPvRmT1_T2_T3_mmT4_T5_P12ihipStream_tbEUlRKiE_EESL_SP_SQ_mSR_SU_bEUlT_E_NS1_11comp_targetILNS1_3genE9ELNS1_11target_archE1100ELNS1_3gpuE3ELNS1_3repE0EEENS1_30default_config_static_selectorELNS0_4arch9wavefront6targetE0EEEvSO_: ; @_ZN7rocprim17ROCPRIM_400000_NS6detail17trampoline_kernelINS0_14default_configENS1_29binary_search_config_selectorIibEEZNS1_14transform_implILb0ES3_S5_N6thrust23THRUST_200600_302600_NS17counting_iteratorIiNS8_11use_defaultESA_SA_EEPbZNS1_13binary_searchIS3_S5_PiSB_SC_NS1_16binary_search_opENS8_6detail16wrapped_functionINS0_4lessIvEEbEEEE10hipError_tPvRmT1_T2_T3_mmT4_T5_P12ihipStream_tbEUlRKiE_EESL_SP_SQ_mSR_SU_bEUlT_E_NS1_11comp_targetILNS1_3genE9ELNS1_11target_archE1100ELNS1_3gpuE3ELNS1_3repE0EEENS1_30default_config_static_selectorELNS0_4arch9wavefront6targetE0EEEvSO_
; %bb.0:
	s_clause 0x4
	s_load_b32 s12, s[0:1], 0x0
	s_load_b64 s[2:3], s[0:1], 0x8
	s_load_b32 s11, s[0:1], 0x38
	s_load_b128 s[4:7], s[0:1], 0x18
	s_load_b64 s[8:9], s[0:1], 0x28
	s_lshl_b32 s10, s15, 8
	s_waitcnt lgkmcnt(0)
	s_add_i32 s12, s12, s2
	s_add_i32 s13, s11, -1
	s_mov_b32 s11, 0
	s_cmp_lg_u32 s15, s13
	s_mov_b32 s13, -1
	s_cbranch_scc0 .LBB237_8
; %bb.1:
	v_mov_b32_e32 v1, 0
	v_mov_b32_e32 v2, 0
	v_add3_u32 v5, s12, s10, v0
	s_cmp_eq_u64 s[8:9], 0
	s_cbranch_scc1 .LBB237_5
; %bb.2:
	v_mov_b32_e32 v1, 0
	v_dual_mov_b32 v2, 0 :: v_dual_mov_b32 v3, s8
	v_mov_b32_e32 v4, s9
	.p2align	6
.LBB237_3:                              ; =>This Inner Loop Header: Depth=1
	s_delay_alu instid0(VALU_DEP_2) | instskip(NEXT) | instid1(VALU_DEP_2)
	v_sub_co_u32 v6, vcc_lo, v3, v1
	v_sub_co_ci_u32_e32 v7, vcc_lo, v4, v2, vcc_lo
	s_delay_alu instid0(VALU_DEP_1) | instskip(SKIP_1) | instid1(VALU_DEP_2)
	v_lshrrev_b64 v[8:9], 1, v[6:7]
	v_lshrrev_b64 v[6:7], 6, v[6:7]
	v_add_co_u32 v8, vcc_lo, v8, v1
	s_delay_alu instid0(VALU_DEP_3) | instskip(NEXT) | instid1(VALU_DEP_2)
	v_add_co_ci_u32_e32 v9, vcc_lo, v9, v2, vcc_lo
	v_add_co_u32 v6, vcc_lo, v8, v6
	s_delay_alu instid0(VALU_DEP_2) | instskip(NEXT) | instid1(VALU_DEP_1)
	v_add_co_ci_u32_e32 v7, vcc_lo, v9, v7, vcc_lo
	v_lshlrev_b64 v[8:9], 2, v[6:7]
	s_delay_alu instid0(VALU_DEP_1) | instskip(NEXT) | instid1(VALU_DEP_2)
	v_add_co_u32 v8, vcc_lo, s6, v8
	v_add_co_ci_u32_e32 v9, vcc_lo, s7, v9, vcc_lo
	global_load_b32 v8, v[8:9], off
	v_add_co_u32 v9, vcc_lo, v6, 1
	v_add_co_ci_u32_e32 v10, vcc_lo, 0, v7, vcc_lo
	s_waitcnt vmcnt(0)
	v_cmp_lt_i32_e32 vcc_lo, v8, v5
	v_dual_cndmask_b32 v4, v7, v4 :: v_dual_cndmask_b32 v3, v6, v3
	s_delay_alu instid0(VALU_DEP_3) | instskip(NEXT) | instid1(VALU_DEP_1)
	v_dual_cndmask_b32 v2, v2, v10 :: v_dual_cndmask_b32 v1, v1, v9
	v_cmp_ge_u64_e32 vcc_lo, v[1:2], v[3:4]
	s_or_b32 s11, vcc_lo, s11
	s_delay_alu instid0(SALU_CYCLE_1)
	s_and_not1_b32 exec_lo, exec_lo, s11
	s_cbranch_execnz .LBB237_3
; %bb.4:
	s_or_b32 exec_lo, exec_lo, s11
.LBB237_5:
	s_mov_b32 s13, 0
	s_mov_b32 s14, 0
	s_mov_b32 s11, exec_lo
	v_cmpx_ne_u64_e64 s[8:9], v[1:2]
	s_cbranch_execz .LBB237_7
; %bb.6:
	v_lshlrev_b64 v[1:2], 2, v[1:2]
	s_delay_alu instid0(VALU_DEP_1) | instskip(NEXT) | instid1(VALU_DEP_2)
	v_add_co_u32 v1, vcc_lo, s6, v1
	v_add_co_ci_u32_e32 v2, vcc_lo, s7, v2, vcc_lo
	global_load_b32 v1, v[1:2], off
	s_waitcnt vmcnt(0)
	v_cmp_le_i32_e32 vcc_lo, v1, v5
	s_and_b32 s14, vcc_lo, exec_lo
.LBB237_7:
	s_or_b32 exec_lo, exec_lo, s11
	v_cndmask_b32_e64 v1, 0, 1, s14
	s_mov_b32 s11, -1
	s_and_b32 vcc_lo, exec_lo, s13
	s_cbranch_vccnz .LBB237_9
	s_branch .LBB237_18
.LBB237_8:
                                        ; implicit-def: $vgpr1
	s_and_b32 vcc_lo, exec_lo, s13
	s_cbranch_vccz .LBB237_18
.LBB237_9:
	s_load_b32 s0, s[0:1], 0x10
                                        ; implicit-def: $vgpr1
	s_waitcnt lgkmcnt(0)
	s_sub_i32 s0, s0, s10
	s_delay_alu instid0(SALU_CYCLE_1) | instskip(NEXT) | instid1(VALU_DEP_1)
	v_cmp_gt_u32_e64 s11, s0, v0
	s_and_saveexec_b32 s0, s11
	s_cbranch_execz .LBB237_17
; %bb.10:
	v_mov_b32_e32 v1, 0
	v_mov_b32_e32 v2, 0
	v_add3_u32 v5, s12, s10, v0
	s_cmp_eq_u64 s[8:9], 0
	s_cbranch_scc1 .LBB237_14
; %bb.11:
	v_mov_b32_e32 v1, 0
	v_dual_mov_b32 v2, 0 :: v_dual_mov_b32 v3, s8
	v_mov_b32_e32 v4, s9
	s_mov_b32 s1, 0
	.p2align	6
.LBB237_12:                             ; =>This Inner Loop Header: Depth=1
	s_delay_alu instid0(VALU_DEP_2) | instskip(NEXT) | instid1(VALU_DEP_2)
	v_sub_co_u32 v6, vcc_lo, v3, v1
	v_sub_co_ci_u32_e32 v7, vcc_lo, v4, v2, vcc_lo
	s_delay_alu instid0(VALU_DEP_1) | instskip(SKIP_1) | instid1(VALU_DEP_2)
	v_lshrrev_b64 v[8:9], 1, v[6:7]
	v_lshrrev_b64 v[6:7], 6, v[6:7]
	v_add_co_u32 v8, vcc_lo, v8, v1
	s_delay_alu instid0(VALU_DEP_3) | instskip(NEXT) | instid1(VALU_DEP_2)
	v_add_co_ci_u32_e32 v9, vcc_lo, v9, v2, vcc_lo
	v_add_co_u32 v6, vcc_lo, v8, v6
	s_delay_alu instid0(VALU_DEP_2) | instskip(NEXT) | instid1(VALU_DEP_1)
	v_add_co_ci_u32_e32 v7, vcc_lo, v9, v7, vcc_lo
	v_lshlrev_b64 v[8:9], 2, v[6:7]
	s_delay_alu instid0(VALU_DEP_1) | instskip(NEXT) | instid1(VALU_DEP_2)
	v_add_co_u32 v8, vcc_lo, s6, v8
	v_add_co_ci_u32_e32 v9, vcc_lo, s7, v9, vcc_lo
	global_load_b32 v8, v[8:9], off
	v_add_co_u32 v9, vcc_lo, v6, 1
	v_add_co_ci_u32_e32 v10, vcc_lo, 0, v7, vcc_lo
	s_waitcnt vmcnt(0)
	v_cmp_lt_i32_e32 vcc_lo, v8, v5
	v_dual_cndmask_b32 v4, v7, v4 :: v_dual_cndmask_b32 v3, v6, v3
	s_delay_alu instid0(VALU_DEP_3) | instskip(NEXT) | instid1(VALU_DEP_1)
	v_dual_cndmask_b32 v2, v2, v10 :: v_dual_cndmask_b32 v1, v1, v9
	v_cmp_ge_u64_e32 vcc_lo, v[1:2], v[3:4]
	s_or_b32 s1, vcc_lo, s1
	s_delay_alu instid0(SALU_CYCLE_1)
	s_and_not1_b32 exec_lo, exec_lo, s1
	s_cbranch_execnz .LBB237_12
; %bb.13:
	s_or_b32 exec_lo, exec_lo, s1
.LBB237_14:
	s_delay_alu instid0(VALU_DEP_2)
	v_cmp_ne_u64_e32 vcc_lo, s[8:9], v[1:2]
	s_mov_b32 s8, 0
	s_and_saveexec_b32 s1, vcc_lo
	s_cbranch_execz .LBB237_16
; %bb.15:
	v_lshlrev_b64 v[1:2], 2, v[1:2]
	s_delay_alu instid0(VALU_DEP_1) | instskip(NEXT) | instid1(VALU_DEP_2)
	v_add_co_u32 v1, vcc_lo, s6, v1
	v_add_co_ci_u32_e32 v2, vcc_lo, s7, v2, vcc_lo
	global_load_b32 v1, v[1:2], off
	s_waitcnt vmcnt(0)
	v_cmp_le_i32_e32 vcc_lo, v1, v5
	s_and_b32 s8, vcc_lo, exec_lo
.LBB237_16:
	s_or_b32 exec_lo, exec_lo, s1
	v_cndmask_b32_e64 v1, 0, 1, s8
.LBB237_17:
	s_or_b32 exec_lo, exec_lo, s0
.LBB237_18:
	s_and_saveexec_b32 s0, s11
	s_cbranch_execz .LBB237_20
; %bb.19:
	s_add_u32 s0, s4, s2
	s_addc_u32 s1, s5, s3
	s_add_u32 s0, s0, s10
	s_addc_u32 s1, s1, 0
	global_store_b8 v0, v1, s[0:1]
.LBB237_20:
	s_nop 0
	s_sendmsg sendmsg(MSG_DEALLOC_VGPRS)
	s_endpgm
	.section	.rodata,"a",@progbits
	.p2align	6, 0x0
	.amdhsa_kernel _ZN7rocprim17ROCPRIM_400000_NS6detail17trampoline_kernelINS0_14default_configENS1_29binary_search_config_selectorIibEEZNS1_14transform_implILb0ES3_S5_N6thrust23THRUST_200600_302600_NS17counting_iteratorIiNS8_11use_defaultESA_SA_EEPbZNS1_13binary_searchIS3_S5_PiSB_SC_NS1_16binary_search_opENS8_6detail16wrapped_functionINS0_4lessIvEEbEEEE10hipError_tPvRmT1_T2_T3_mmT4_T5_P12ihipStream_tbEUlRKiE_EESL_SP_SQ_mSR_SU_bEUlT_E_NS1_11comp_targetILNS1_3genE9ELNS1_11target_archE1100ELNS1_3gpuE3ELNS1_3repE0EEENS1_30default_config_static_selectorELNS0_4arch9wavefront6targetE0EEEvSO_
		.amdhsa_group_segment_fixed_size 0
		.amdhsa_private_segment_fixed_size 0
		.amdhsa_kernarg_size 312
		.amdhsa_user_sgpr_count 15
		.amdhsa_user_sgpr_dispatch_ptr 0
		.amdhsa_user_sgpr_queue_ptr 0
		.amdhsa_user_sgpr_kernarg_segment_ptr 1
		.amdhsa_user_sgpr_dispatch_id 0
		.amdhsa_user_sgpr_private_segment_size 0
		.amdhsa_wavefront_size32 1
		.amdhsa_uses_dynamic_stack 0
		.amdhsa_enable_private_segment 0
		.amdhsa_system_sgpr_workgroup_id_x 1
		.amdhsa_system_sgpr_workgroup_id_y 0
		.amdhsa_system_sgpr_workgroup_id_z 0
		.amdhsa_system_sgpr_workgroup_info 0
		.amdhsa_system_vgpr_workitem_id 0
		.amdhsa_next_free_vgpr 11
		.amdhsa_next_free_sgpr 16
		.amdhsa_reserve_vcc 1
		.amdhsa_float_round_mode_32 0
		.amdhsa_float_round_mode_16_64 0
		.amdhsa_float_denorm_mode_32 3
		.amdhsa_float_denorm_mode_16_64 3
		.amdhsa_dx10_clamp 1
		.amdhsa_ieee_mode 1
		.amdhsa_fp16_overflow 0
		.amdhsa_workgroup_processor_mode 1
		.amdhsa_memory_ordered 1
		.amdhsa_forward_progress 0
		.amdhsa_shared_vgpr_count 0
		.amdhsa_exception_fp_ieee_invalid_op 0
		.amdhsa_exception_fp_denorm_src 0
		.amdhsa_exception_fp_ieee_div_zero 0
		.amdhsa_exception_fp_ieee_overflow 0
		.amdhsa_exception_fp_ieee_underflow 0
		.amdhsa_exception_fp_ieee_inexact 0
		.amdhsa_exception_int_div_zero 0
	.end_amdhsa_kernel
	.section	.text._ZN7rocprim17ROCPRIM_400000_NS6detail17trampoline_kernelINS0_14default_configENS1_29binary_search_config_selectorIibEEZNS1_14transform_implILb0ES3_S5_N6thrust23THRUST_200600_302600_NS17counting_iteratorIiNS8_11use_defaultESA_SA_EEPbZNS1_13binary_searchIS3_S5_PiSB_SC_NS1_16binary_search_opENS8_6detail16wrapped_functionINS0_4lessIvEEbEEEE10hipError_tPvRmT1_T2_T3_mmT4_T5_P12ihipStream_tbEUlRKiE_EESL_SP_SQ_mSR_SU_bEUlT_E_NS1_11comp_targetILNS1_3genE9ELNS1_11target_archE1100ELNS1_3gpuE3ELNS1_3repE0EEENS1_30default_config_static_selectorELNS0_4arch9wavefront6targetE0EEEvSO_,"axG",@progbits,_ZN7rocprim17ROCPRIM_400000_NS6detail17trampoline_kernelINS0_14default_configENS1_29binary_search_config_selectorIibEEZNS1_14transform_implILb0ES3_S5_N6thrust23THRUST_200600_302600_NS17counting_iteratorIiNS8_11use_defaultESA_SA_EEPbZNS1_13binary_searchIS3_S5_PiSB_SC_NS1_16binary_search_opENS8_6detail16wrapped_functionINS0_4lessIvEEbEEEE10hipError_tPvRmT1_T2_T3_mmT4_T5_P12ihipStream_tbEUlRKiE_EESL_SP_SQ_mSR_SU_bEUlT_E_NS1_11comp_targetILNS1_3genE9ELNS1_11target_archE1100ELNS1_3gpuE3ELNS1_3repE0EEENS1_30default_config_static_selectorELNS0_4arch9wavefront6targetE0EEEvSO_,comdat
.Lfunc_end237:
	.size	_ZN7rocprim17ROCPRIM_400000_NS6detail17trampoline_kernelINS0_14default_configENS1_29binary_search_config_selectorIibEEZNS1_14transform_implILb0ES3_S5_N6thrust23THRUST_200600_302600_NS17counting_iteratorIiNS8_11use_defaultESA_SA_EEPbZNS1_13binary_searchIS3_S5_PiSB_SC_NS1_16binary_search_opENS8_6detail16wrapped_functionINS0_4lessIvEEbEEEE10hipError_tPvRmT1_T2_T3_mmT4_T5_P12ihipStream_tbEUlRKiE_EESL_SP_SQ_mSR_SU_bEUlT_E_NS1_11comp_targetILNS1_3genE9ELNS1_11target_archE1100ELNS1_3gpuE3ELNS1_3repE0EEENS1_30default_config_static_selectorELNS0_4arch9wavefront6targetE0EEEvSO_, .Lfunc_end237-_ZN7rocprim17ROCPRIM_400000_NS6detail17trampoline_kernelINS0_14default_configENS1_29binary_search_config_selectorIibEEZNS1_14transform_implILb0ES3_S5_N6thrust23THRUST_200600_302600_NS17counting_iteratorIiNS8_11use_defaultESA_SA_EEPbZNS1_13binary_searchIS3_S5_PiSB_SC_NS1_16binary_search_opENS8_6detail16wrapped_functionINS0_4lessIvEEbEEEE10hipError_tPvRmT1_T2_T3_mmT4_T5_P12ihipStream_tbEUlRKiE_EESL_SP_SQ_mSR_SU_bEUlT_E_NS1_11comp_targetILNS1_3genE9ELNS1_11target_archE1100ELNS1_3gpuE3ELNS1_3repE0EEENS1_30default_config_static_selectorELNS0_4arch9wavefront6targetE0EEEvSO_
                                        ; -- End function
	.section	.AMDGPU.csdata,"",@progbits
; Kernel info:
; codeLenInByte = 752
; NumSgprs: 18
; NumVgprs: 11
; ScratchSize: 0
; MemoryBound: 0
; FloatMode: 240
; IeeeMode: 1
; LDSByteSize: 0 bytes/workgroup (compile time only)
; SGPRBlocks: 2
; VGPRBlocks: 1
; NumSGPRsForWavesPerEU: 18
; NumVGPRsForWavesPerEU: 11
; Occupancy: 16
; WaveLimiterHint : 0
; COMPUTE_PGM_RSRC2:SCRATCH_EN: 0
; COMPUTE_PGM_RSRC2:USER_SGPR: 15
; COMPUTE_PGM_RSRC2:TRAP_HANDLER: 0
; COMPUTE_PGM_RSRC2:TGID_X_EN: 1
; COMPUTE_PGM_RSRC2:TGID_Y_EN: 0
; COMPUTE_PGM_RSRC2:TGID_Z_EN: 0
; COMPUTE_PGM_RSRC2:TIDIG_COMP_CNT: 0
	.section	.text._ZN7rocprim17ROCPRIM_400000_NS6detail17trampoline_kernelINS0_14default_configENS1_29binary_search_config_selectorIibEEZNS1_14transform_implILb0ES3_S5_N6thrust23THRUST_200600_302600_NS17counting_iteratorIiNS8_11use_defaultESA_SA_EEPbZNS1_13binary_searchIS3_S5_PiSB_SC_NS1_16binary_search_opENS8_6detail16wrapped_functionINS0_4lessIvEEbEEEE10hipError_tPvRmT1_T2_T3_mmT4_T5_P12ihipStream_tbEUlRKiE_EESL_SP_SQ_mSR_SU_bEUlT_E_NS1_11comp_targetILNS1_3genE8ELNS1_11target_archE1030ELNS1_3gpuE2ELNS1_3repE0EEENS1_30default_config_static_selectorELNS0_4arch9wavefront6targetE0EEEvSO_,"axG",@progbits,_ZN7rocprim17ROCPRIM_400000_NS6detail17trampoline_kernelINS0_14default_configENS1_29binary_search_config_selectorIibEEZNS1_14transform_implILb0ES3_S5_N6thrust23THRUST_200600_302600_NS17counting_iteratorIiNS8_11use_defaultESA_SA_EEPbZNS1_13binary_searchIS3_S5_PiSB_SC_NS1_16binary_search_opENS8_6detail16wrapped_functionINS0_4lessIvEEbEEEE10hipError_tPvRmT1_T2_T3_mmT4_T5_P12ihipStream_tbEUlRKiE_EESL_SP_SQ_mSR_SU_bEUlT_E_NS1_11comp_targetILNS1_3genE8ELNS1_11target_archE1030ELNS1_3gpuE2ELNS1_3repE0EEENS1_30default_config_static_selectorELNS0_4arch9wavefront6targetE0EEEvSO_,comdat
	.protected	_ZN7rocprim17ROCPRIM_400000_NS6detail17trampoline_kernelINS0_14default_configENS1_29binary_search_config_selectorIibEEZNS1_14transform_implILb0ES3_S5_N6thrust23THRUST_200600_302600_NS17counting_iteratorIiNS8_11use_defaultESA_SA_EEPbZNS1_13binary_searchIS3_S5_PiSB_SC_NS1_16binary_search_opENS8_6detail16wrapped_functionINS0_4lessIvEEbEEEE10hipError_tPvRmT1_T2_T3_mmT4_T5_P12ihipStream_tbEUlRKiE_EESL_SP_SQ_mSR_SU_bEUlT_E_NS1_11comp_targetILNS1_3genE8ELNS1_11target_archE1030ELNS1_3gpuE2ELNS1_3repE0EEENS1_30default_config_static_selectorELNS0_4arch9wavefront6targetE0EEEvSO_ ; -- Begin function _ZN7rocprim17ROCPRIM_400000_NS6detail17trampoline_kernelINS0_14default_configENS1_29binary_search_config_selectorIibEEZNS1_14transform_implILb0ES3_S5_N6thrust23THRUST_200600_302600_NS17counting_iteratorIiNS8_11use_defaultESA_SA_EEPbZNS1_13binary_searchIS3_S5_PiSB_SC_NS1_16binary_search_opENS8_6detail16wrapped_functionINS0_4lessIvEEbEEEE10hipError_tPvRmT1_T2_T3_mmT4_T5_P12ihipStream_tbEUlRKiE_EESL_SP_SQ_mSR_SU_bEUlT_E_NS1_11comp_targetILNS1_3genE8ELNS1_11target_archE1030ELNS1_3gpuE2ELNS1_3repE0EEENS1_30default_config_static_selectorELNS0_4arch9wavefront6targetE0EEEvSO_
	.globl	_ZN7rocprim17ROCPRIM_400000_NS6detail17trampoline_kernelINS0_14default_configENS1_29binary_search_config_selectorIibEEZNS1_14transform_implILb0ES3_S5_N6thrust23THRUST_200600_302600_NS17counting_iteratorIiNS8_11use_defaultESA_SA_EEPbZNS1_13binary_searchIS3_S5_PiSB_SC_NS1_16binary_search_opENS8_6detail16wrapped_functionINS0_4lessIvEEbEEEE10hipError_tPvRmT1_T2_T3_mmT4_T5_P12ihipStream_tbEUlRKiE_EESL_SP_SQ_mSR_SU_bEUlT_E_NS1_11comp_targetILNS1_3genE8ELNS1_11target_archE1030ELNS1_3gpuE2ELNS1_3repE0EEENS1_30default_config_static_selectorELNS0_4arch9wavefront6targetE0EEEvSO_
	.p2align	8
	.type	_ZN7rocprim17ROCPRIM_400000_NS6detail17trampoline_kernelINS0_14default_configENS1_29binary_search_config_selectorIibEEZNS1_14transform_implILb0ES3_S5_N6thrust23THRUST_200600_302600_NS17counting_iteratorIiNS8_11use_defaultESA_SA_EEPbZNS1_13binary_searchIS3_S5_PiSB_SC_NS1_16binary_search_opENS8_6detail16wrapped_functionINS0_4lessIvEEbEEEE10hipError_tPvRmT1_T2_T3_mmT4_T5_P12ihipStream_tbEUlRKiE_EESL_SP_SQ_mSR_SU_bEUlT_E_NS1_11comp_targetILNS1_3genE8ELNS1_11target_archE1030ELNS1_3gpuE2ELNS1_3repE0EEENS1_30default_config_static_selectorELNS0_4arch9wavefront6targetE0EEEvSO_,@function
_ZN7rocprim17ROCPRIM_400000_NS6detail17trampoline_kernelINS0_14default_configENS1_29binary_search_config_selectorIibEEZNS1_14transform_implILb0ES3_S5_N6thrust23THRUST_200600_302600_NS17counting_iteratorIiNS8_11use_defaultESA_SA_EEPbZNS1_13binary_searchIS3_S5_PiSB_SC_NS1_16binary_search_opENS8_6detail16wrapped_functionINS0_4lessIvEEbEEEE10hipError_tPvRmT1_T2_T3_mmT4_T5_P12ihipStream_tbEUlRKiE_EESL_SP_SQ_mSR_SU_bEUlT_E_NS1_11comp_targetILNS1_3genE8ELNS1_11target_archE1030ELNS1_3gpuE2ELNS1_3repE0EEENS1_30default_config_static_selectorELNS0_4arch9wavefront6targetE0EEEvSO_: ; @_ZN7rocprim17ROCPRIM_400000_NS6detail17trampoline_kernelINS0_14default_configENS1_29binary_search_config_selectorIibEEZNS1_14transform_implILb0ES3_S5_N6thrust23THRUST_200600_302600_NS17counting_iteratorIiNS8_11use_defaultESA_SA_EEPbZNS1_13binary_searchIS3_S5_PiSB_SC_NS1_16binary_search_opENS8_6detail16wrapped_functionINS0_4lessIvEEbEEEE10hipError_tPvRmT1_T2_T3_mmT4_T5_P12ihipStream_tbEUlRKiE_EESL_SP_SQ_mSR_SU_bEUlT_E_NS1_11comp_targetILNS1_3genE8ELNS1_11target_archE1030ELNS1_3gpuE2ELNS1_3repE0EEENS1_30default_config_static_selectorELNS0_4arch9wavefront6targetE0EEEvSO_
; %bb.0:
	.section	.rodata,"a",@progbits
	.p2align	6, 0x0
	.amdhsa_kernel _ZN7rocprim17ROCPRIM_400000_NS6detail17trampoline_kernelINS0_14default_configENS1_29binary_search_config_selectorIibEEZNS1_14transform_implILb0ES3_S5_N6thrust23THRUST_200600_302600_NS17counting_iteratorIiNS8_11use_defaultESA_SA_EEPbZNS1_13binary_searchIS3_S5_PiSB_SC_NS1_16binary_search_opENS8_6detail16wrapped_functionINS0_4lessIvEEbEEEE10hipError_tPvRmT1_T2_T3_mmT4_T5_P12ihipStream_tbEUlRKiE_EESL_SP_SQ_mSR_SU_bEUlT_E_NS1_11comp_targetILNS1_3genE8ELNS1_11target_archE1030ELNS1_3gpuE2ELNS1_3repE0EEENS1_30default_config_static_selectorELNS0_4arch9wavefront6targetE0EEEvSO_
		.amdhsa_group_segment_fixed_size 0
		.amdhsa_private_segment_fixed_size 0
		.amdhsa_kernarg_size 56
		.amdhsa_user_sgpr_count 15
		.amdhsa_user_sgpr_dispatch_ptr 0
		.amdhsa_user_sgpr_queue_ptr 0
		.amdhsa_user_sgpr_kernarg_segment_ptr 1
		.amdhsa_user_sgpr_dispatch_id 0
		.amdhsa_user_sgpr_private_segment_size 0
		.amdhsa_wavefront_size32 1
		.amdhsa_uses_dynamic_stack 0
		.amdhsa_enable_private_segment 0
		.amdhsa_system_sgpr_workgroup_id_x 1
		.amdhsa_system_sgpr_workgroup_id_y 0
		.amdhsa_system_sgpr_workgroup_id_z 0
		.amdhsa_system_sgpr_workgroup_info 0
		.amdhsa_system_vgpr_workitem_id 0
		.amdhsa_next_free_vgpr 1
		.amdhsa_next_free_sgpr 1
		.amdhsa_reserve_vcc 0
		.amdhsa_float_round_mode_32 0
		.amdhsa_float_round_mode_16_64 0
		.amdhsa_float_denorm_mode_32 3
		.amdhsa_float_denorm_mode_16_64 3
		.amdhsa_dx10_clamp 1
		.amdhsa_ieee_mode 1
		.amdhsa_fp16_overflow 0
		.amdhsa_workgroup_processor_mode 1
		.amdhsa_memory_ordered 1
		.amdhsa_forward_progress 0
		.amdhsa_shared_vgpr_count 0
		.amdhsa_exception_fp_ieee_invalid_op 0
		.amdhsa_exception_fp_denorm_src 0
		.amdhsa_exception_fp_ieee_div_zero 0
		.amdhsa_exception_fp_ieee_overflow 0
		.amdhsa_exception_fp_ieee_underflow 0
		.amdhsa_exception_fp_ieee_inexact 0
		.amdhsa_exception_int_div_zero 0
	.end_amdhsa_kernel
	.section	.text._ZN7rocprim17ROCPRIM_400000_NS6detail17trampoline_kernelINS0_14default_configENS1_29binary_search_config_selectorIibEEZNS1_14transform_implILb0ES3_S5_N6thrust23THRUST_200600_302600_NS17counting_iteratorIiNS8_11use_defaultESA_SA_EEPbZNS1_13binary_searchIS3_S5_PiSB_SC_NS1_16binary_search_opENS8_6detail16wrapped_functionINS0_4lessIvEEbEEEE10hipError_tPvRmT1_T2_T3_mmT4_T5_P12ihipStream_tbEUlRKiE_EESL_SP_SQ_mSR_SU_bEUlT_E_NS1_11comp_targetILNS1_3genE8ELNS1_11target_archE1030ELNS1_3gpuE2ELNS1_3repE0EEENS1_30default_config_static_selectorELNS0_4arch9wavefront6targetE0EEEvSO_,"axG",@progbits,_ZN7rocprim17ROCPRIM_400000_NS6detail17trampoline_kernelINS0_14default_configENS1_29binary_search_config_selectorIibEEZNS1_14transform_implILb0ES3_S5_N6thrust23THRUST_200600_302600_NS17counting_iteratorIiNS8_11use_defaultESA_SA_EEPbZNS1_13binary_searchIS3_S5_PiSB_SC_NS1_16binary_search_opENS8_6detail16wrapped_functionINS0_4lessIvEEbEEEE10hipError_tPvRmT1_T2_T3_mmT4_T5_P12ihipStream_tbEUlRKiE_EESL_SP_SQ_mSR_SU_bEUlT_E_NS1_11comp_targetILNS1_3genE8ELNS1_11target_archE1030ELNS1_3gpuE2ELNS1_3repE0EEENS1_30default_config_static_selectorELNS0_4arch9wavefront6targetE0EEEvSO_,comdat
.Lfunc_end238:
	.size	_ZN7rocprim17ROCPRIM_400000_NS6detail17trampoline_kernelINS0_14default_configENS1_29binary_search_config_selectorIibEEZNS1_14transform_implILb0ES3_S5_N6thrust23THRUST_200600_302600_NS17counting_iteratorIiNS8_11use_defaultESA_SA_EEPbZNS1_13binary_searchIS3_S5_PiSB_SC_NS1_16binary_search_opENS8_6detail16wrapped_functionINS0_4lessIvEEbEEEE10hipError_tPvRmT1_T2_T3_mmT4_T5_P12ihipStream_tbEUlRKiE_EESL_SP_SQ_mSR_SU_bEUlT_E_NS1_11comp_targetILNS1_3genE8ELNS1_11target_archE1030ELNS1_3gpuE2ELNS1_3repE0EEENS1_30default_config_static_selectorELNS0_4arch9wavefront6targetE0EEEvSO_, .Lfunc_end238-_ZN7rocprim17ROCPRIM_400000_NS6detail17trampoline_kernelINS0_14default_configENS1_29binary_search_config_selectorIibEEZNS1_14transform_implILb0ES3_S5_N6thrust23THRUST_200600_302600_NS17counting_iteratorIiNS8_11use_defaultESA_SA_EEPbZNS1_13binary_searchIS3_S5_PiSB_SC_NS1_16binary_search_opENS8_6detail16wrapped_functionINS0_4lessIvEEbEEEE10hipError_tPvRmT1_T2_T3_mmT4_T5_P12ihipStream_tbEUlRKiE_EESL_SP_SQ_mSR_SU_bEUlT_E_NS1_11comp_targetILNS1_3genE8ELNS1_11target_archE1030ELNS1_3gpuE2ELNS1_3repE0EEENS1_30default_config_static_selectorELNS0_4arch9wavefront6targetE0EEEvSO_
                                        ; -- End function
	.section	.AMDGPU.csdata,"",@progbits
; Kernel info:
; codeLenInByte = 0
; NumSgprs: 0
; NumVgprs: 0
; ScratchSize: 0
; MemoryBound: 0
; FloatMode: 240
; IeeeMode: 1
; LDSByteSize: 0 bytes/workgroup (compile time only)
; SGPRBlocks: 0
; VGPRBlocks: 0
; NumSGPRsForWavesPerEU: 1
; NumVGPRsForWavesPerEU: 1
; Occupancy: 16
; WaveLimiterHint : 0
; COMPUTE_PGM_RSRC2:SCRATCH_EN: 0
; COMPUTE_PGM_RSRC2:USER_SGPR: 15
; COMPUTE_PGM_RSRC2:TRAP_HANDLER: 0
; COMPUTE_PGM_RSRC2:TGID_X_EN: 1
; COMPUTE_PGM_RSRC2:TGID_Y_EN: 0
; COMPUTE_PGM_RSRC2:TGID_Z_EN: 0
; COMPUTE_PGM_RSRC2:TIDIG_COMP_CNT: 0
	.section	.text._Z20binary_search_kernelIsEvmPT_Pb,"axG",@progbits,_Z20binary_search_kernelIsEvmPT_Pb,comdat
	.protected	_Z20binary_search_kernelIsEvmPT_Pb ; -- Begin function _Z20binary_search_kernelIsEvmPT_Pb
	.globl	_Z20binary_search_kernelIsEvmPT_Pb
	.p2align	8
	.type	_Z20binary_search_kernelIsEvmPT_Pb,@function
_Z20binary_search_kernelIsEvmPT_Pb:     ; @_Z20binary_search_kernelIsEvmPT_Pb
; %bb.0:
	s_clause 0x1
	s_load_b128 s[4:7], s[0:1], 0x0
	s_load_b64 s[2:3], s[0:1], 0x10
	s_waitcnt lgkmcnt(0)
	s_lshl_b64 s[0:1], s[4:5], 1
	s_delay_alu instid0(SALU_CYCLE_1) | instskip(NEXT) | instid1(SALU_CYCLE_1)
	s_ashr_i64 s[8:9], s[0:1], 1
	v_cmp_lt_i64_e64 s0, s[8:9], 1
	s_delay_alu instid0(VALU_DEP_1)
	s_and_b32 vcc_lo, exec_lo, s0
	s_mov_b64 s[0:1], 0
	s_cbranch_vccnz .LBB239_3
; %bb.1:
	v_mov_b32_e32 v0, 0
	s_mov_b64 s[10:11], s[8:9]
	.p2align	6
.LBB239_2:                              ; =>This Inner Loop Header: Depth=1
	s_delay_alu instid0(SALU_CYCLE_1) | instskip(SKIP_1) | instid1(SALU_CYCLE_1)
	s_sub_u32 s12, s10, s0
	s_subb_u32 s13, s11, s1
	s_lshr_b32 s14, s13, 31
	s_delay_alu instid0(SALU_CYCLE_1) | instskip(SKIP_1) | instid1(SALU_CYCLE_1)
	s_add_u32 s12, s12, s14
	s_addc_u32 s13, s13, 0
	s_ashr_i64 s[12:13], s[12:13], 1
	s_delay_alu instid0(SALU_CYCLE_1) | instskip(SKIP_1) | instid1(SALU_CYCLE_1)
	s_add_u32 s12, s12, s0
	s_addc_u32 s13, s13, s1
	s_lshl_b64 s[14:15], s[12:13], 1
	s_delay_alu instid0(SALU_CYCLE_1)
	s_add_u32 s14, s6, s14
	s_addc_u32 s15, s7, s15
	global_load_i16 v1, v0, s[14:15]
	s_add_u32 s14, s12, 1
	s_addc_u32 s16, s13, 0
	s_waitcnt vmcnt(0)
	v_readfirstlane_b32 s15, v1
	s_delay_alu instid0(VALU_DEP_1) | instskip(SKIP_4) | instid1(SALU_CYCLE_1)
	s_cmp_lt_i32 s15, 0
	s_cselect_b32 s1, s16, s1
	s_cselect_b32 s0, s14, s0
	;; [unrolled: 1-line block ×4, first 2 shown]
	v_cmp_lt_i64_e64 s12, s[0:1], s[10:11]
	s_delay_alu instid0(VALU_DEP_1)
	s_and_b32 vcc_lo, exec_lo, s12
	s_cbranch_vccnz .LBB239_2
.LBB239_3:
	v_cmp_gt_i64_e64 s10, s[8:9], 0
	s_cmp_eq_u64 s[0:1], s[4:5]
	s_mov_b32 s11, 0
	s_cbranch_scc1 .LBB239_5
; %bb.4:
	s_lshl_b64 s[0:1], s[0:1], 1
	v_mov_b32_e32 v0, 0
	s_add_u32 s0, s6, s0
	s_addc_u32 s1, s7, s1
	global_load_i16 v0, v0, s[0:1]
	s_waitcnt vmcnt(0)
	v_cmp_gt_i32_e64 s11, 1, v0
.LBB239_5:
	s_delay_alu instid0(VALU_DEP_1) | instskip(NEXT) | instid1(VALU_DEP_2)
	v_cndmask_b32_e64 v0, 0, 1, s10
	v_cndmask_b32_e64 v1, 0, 1, s11
	s_and_not1_b32 vcc_lo, exec_lo, s10
	s_mov_b64 s[10:11], 0
	s_delay_alu instid0(VALU_DEP_2)
	v_cmp_ne_u32_e64 s0, 1, v0
	v_mov_b32_e32 v0, 0
	global_store_b8 v0, v1, s[2:3]
	s_cbranch_vccnz .LBB239_8
; %bb.6:
	s_mov_b64 s[12:13], s[8:9]
	.p2align	6
.LBB239_7:                              ; =>This Inner Loop Header: Depth=1
	s_delay_alu instid0(SALU_CYCLE_1) | instskip(SKIP_1) | instid1(SALU_CYCLE_1)
	s_sub_u32 s1, s12, s10
	s_subb_u32 s15, s13, s11
	s_lshr_b32 s14, s15, 31
	s_delay_alu instid0(SALU_CYCLE_1) | instskip(SKIP_1) | instid1(SALU_CYCLE_1)
	s_add_u32 s14, s1, s14
	s_addc_u32 s15, s15, 0
	s_ashr_i64 s[14:15], s[14:15], 1
	s_delay_alu instid0(SALU_CYCLE_1) | instskip(SKIP_1) | instid1(SALU_CYCLE_1)
	s_add_u32 s14, s14, s10
	s_addc_u32 s15, s15, s11
	s_lshl_b64 s[16:17], s[14:15], 1
	s_delay_alu instid0(SALU_CYCLE_1)
	s_add_u32 s16, s6, s16
	s_addc_u32 s17, s7, s17
	s_add_u32 s1, s14, 1
	global_load_i16 v1, v0, s[16:17]
	s_addc_u32 s17, s15, 0
	s_waitcnt vmcnt(0)
	v_readfirstlane_b32 s16, v1
	s_delay_alu instid0(VALU_DEP_1) | instskip(SKIP_4) | instid1(SALU_CYCLE_1)
	s_cmp_lt_i32 s16, 1
	s_cselect_b32 s11, s17, s11
	s_cselect_b32 s10, s1, s10
	;; [unrolled: 1-line block ×4, first 2 shown]
	v_cmp_lt_i64_e64 s1, s[10:11], s[12:13]
	s_delay_alu instid0(VALU_DEP_1)
	s_and_b32 vcc_lo, exec_lo, s1
	s_cbranch_vccnz .LBB239_7
.LBB239_8:
	s_cmp_eq_u64 s[10:11], s[4:5]
	s_mov_b32 s1, 0
	s_cbranch_scc1 .LBB239_10
; %bb.9:
	s_lshl_b64 s[10:11], s[10:11], 1
	v_mov_b32_e32 v0, 0
	s_add_u32 s10, s6, s10
	s_addc_u32 s11, s7, s11
	global_load_i16 v0, v0, s[10:11]
	s_waitcnt vmcnt(0)
	v_cmp_gt_i32_e64 s1, 2, v0
.LBB239_10:
	s_delay_alu instid0(VALU_DEP_1)
	v_cndmask_b32_e64 v1, 0, 1, s1
	v_mov_b32_e32 v0, 0
	s_and_b32 vcc_lo, exec_lo, s0
	s_mov_b64 s[10:11], 0
	global_store_b8 v0, v1, s[2:3] offset:1
	s_cbranch_vccnz .LBB239_13
; %bb.11:
	s_mov_b64 s[12:13], s[8:9]
	.p2align	6
.LBB239_12:                             ; =>This Inner Loop Header: Depth=1
	s_delay_alu instid0(SALU_CYCLE_1) | instskip(SKIP_1) | instid1(SALU_CYCLE_1)
	s_sub_u32 s1, s12, s10
	s_subb_u32 s15, s13, s11
	s_lshr_b32 s14, s15, 31
	s_delay_alu instid0(SALU_CYCLE_1) | instskip(SKIP_1) | instid1(SALU_CYCLE_1)
	s_add_u32 s14, s1, s14
	s_addc_u32 s15, s15, 0
	s_ashr_i64 s[14:15], s[14:15], 1
	s_delay_alu instid0(SALU_CYCLE_1) | instskip(SKIP_1) | instid1(SALU_CYCLE_1)
	s_add_u32 s14, s14, s10
	s_addc_u32 s15, s15, s11
	s_lshl_b64 s[16:17], s[14:15], 1
	s_delay_alu instid0(SALU_CYCLE_1)
	s_add_u32 s16, s6, s16
	s_addc_u32 s17, s7, s17
	s_add_u32 s1, s14, 1
	global_load_i16 v1, v0, s[16:17]
	s_addc_u32 s17, s15, 0
	s_waitcnt vmcnt(0)
	v_readfirstlane_b32 s16, v1
	s_delay_alu instid0(VALU_DEP_1) | instskip(SKIP_4) | instid1(SALU_CYCLE_1)
	s_cmp_lt_i32 s16, 2
	s_cselect_b32 s11, s17, s11
	s_cselect_b32 s10, s1, s10
	;; [unrolled: 1-line block ×4, first 2 shown]
	v_cmp_lt_i64_e64 s1, s[10:11], s[12:13]
	s_delay_alu instid0(VALU_DEP_1)
	s_and_b32 vcc_lo, exec_lo, s1
	s_cbranch_vccnz .LBB239_12
.LBB239_13:
	s_cmp_eq_u64 s[10:11], s[4:5]
	s_mov_b32 s1, 0
	s_cbranch_scc1 .LBB239_15
; %bb.14:
	s_lshl_b64 s[10:11], s[10:11], 1
	v_mov_b32_e32 v0, 0
	s_add_u32 s10, s6, s10
	s_addc_u32 s11, s7, s11
	global_load_i16 v0, v0, s[10:11]
	s_waitcnt vmcnt(0)
	v_cmp_gt_i32_e64 s1, 3, v0
.LBB239_15:
	s_delay_alu instid0(VALU_DEP_1)
	v_cndmask_b32_e64 v1, 0, 1, s1
	v_mov_b32_e32 v0, 0
	s_and_b32 vcc_lo, exec_lo, s0
	s_mov_b64 s[10:11], 0
	global_store_b8 v0, v1, s[2:3] offset:2
	s_cbranch_vccnz .LBB239_18
; %bb.16:
	s_mov_b64 s[12:13], s[8:9]
	.p2align	6
.LBB239_17:                             ; =>This Inner Loop Header: Depth=1
	s_delay_alu instid0(SALU_CYCLE_1) | instskip(SKIP_1) | instid1(SALU_CYCLE_1)
	s_sub_u32 s1, s12, s10
	s_subb_u32 s15, s13, s11
	s_lshr_b32 s14, s15, 31
	s_delay_alu instid0(SALU_CYCLE_1) | instskip(SKIP_1) | instid1(SALU_CYCLE_1)
	s_add_u32 s14, s1, s14
	s_addc_u32 s15, s15, 0
	s_ashr_i64 s[14:15], s[14:15], 1
	s_delay_alu instid0(SALU_CYCLE_1) | instskip(SKIP_1) | instid1(SALU_CYCLE_1)
	s_add_u32 s14, s14, s10
	s_addc_u32 s15, s15, s11
	s_lshl_b64 s[16:17], s[14:15], 1
	s_delay_alu instid0(SALU_CYCLE_1)
	s_add_u32 s16, s6, s16
	s_addc_u32 s17, s7, s17
	s_add_u32 s1, s14, 1
	global_load_i16 v1, v0, s[16:17]
	s_addc_u32 s17, s15, 0
	s_waitcnt vmcnt(0)
	v_readfirstlane_b32 s16, v1
	s_delay_alu instid0(VALU_DEP_1) | instskip(SKIP_4) | instid1(SALU_CYCLE_1)
	s_cmp_lt_i32 s16, 3
	s_cselect_b32 s11, s17, s11
	s_cselect_b32 s10, s1, s10
	;; [unrolled: 1-line block ×4, first 2 shown]
	v_cmp_lt_i64_e64 s1, s[10:11], s[12:13]
	s_delay_alu instid0(VALU_DEP_1)
	s_and_b32 vcc_lo, exec_lo, s1
	s_cbranch_vccnz .LBB239_17
.LBB239_18:
	s_cmp_eq_u64 s[10:11], s[4:5]
	s_mov_b32 s1, 0
	s_cbranch_scc1 .LBB239_20
; %bb.19:
	s_lshl_b64 s[10:11], s[10:11], 1
	v_mov_b32_e32 v0, 0
	s_add_u32 s10, s6, s10
	s_addc_u32 s11, s7, s11
	global_load_i16 v0, v0, s[10:11]
	s_waitcnt vmcnt(0)
	v_cmp_gt_i32_e64 s1, 4, v0
.LBB239_20:
	s_delay_alu instid0(VALU_DEP_1)
	v_cndmask_b32_e64 v1, 0, 1, s1
	v_mov_b32_e32 v0, 0
	s_and_b32 vcc_lo, exec_lo, s0
	s_mov_b64 s[10:11], 0
	global_store_b8 v0, v1, s[2:3] offset:3
	s_cbranch_vccnz .LBB239_23
; %bb.21:
	s_mov_b64 s[12:13], s[8:9]
	.p2align	6
.LBB239_22:                             ; =>This Inner Loop Header: Depth=1
	s_delay_alu instid0(SALU_CYCLE_1) | instskip(SKIP_1) | instid1(SALU_CYCLE_1)
	s_sub_u32 s1, s12, s10
	s_subb_u32 s15, s13, s11
	s_lshr_b32 s14, s15, 31
	s_delay_alu instid0(SALU_CYCLE_1) | instskip(SKIP_1) | instid1(SALU_CYCLE_1)
	s_add_u32 s14, s1, s14
	s_addc_u32 s15, s15, 0
	s_ashr_i64 s[14:15], s[14:15], 1
	s_delay_alu instid0(SALU_CYCLE_1) | instskip(SKIP_1) | instid1(SALU_CYCLE_1)
	s_add_u32 s14, s14, s10
	s_addc_u32 s15, s15, s11
	s_lshl_b64 s[16:17], s[14:15], 1
	s_delay_alu instid0(SALU_CYCLE_1)
	s_add_u32 s16, s6, s16
	s_addc_u32 s17, s7, s17
	s_add_u32 s1, s14, 1
	global_load_i16 v1, v0, s[16:17]
	s_addc_u32 s17, s15, 0
	s_waitcnt vmcnt(0)
	v_readfirstlane_b32 s16, v1
	s_delay_alu instid0(VALU_DEP_1) | instskip(SKIP_4) | instid1(SALU_CYCLE_1)
	s_cmp_lt_i32 s16, 4
	s_cselect_b32 s11, s17, s11
	s_cselect_b32 s10, s1, s10
	;; [unrolled: 1-line block ×4, first 2 shown]
	v_cmp_lt_i64_e64 s1, s[10:11], s[12:13]
	s_delay_alu instid0(VALU_DEP_1)
	s_and_b32 vcc_lo, exec_lo, s1
	s_cbranch_vccnz .LBB239_22
.LBB239_23:
	s_cmp_eq_u64 s[10:11], s[4:5]
	s_mov_b32 s1, 0
	s_cbranch_scc1 .LBB239_25
; %bb.24:
	s_lshl_b64 s[10:11], s[10:11], 1
	v_mov_b32_e32 v0, 0
	s_add_u32 s10, s6, s10
	s_addc_u32 s11, s7, s11
	global_load_i16 v0, v0, s[10:11]
	s_waitcnt vmcnt(0)
	v_cmp_gt_i32_e64 s1, 5, v0
.LBB239_25:
	s_delay_alu instid0(VALU_DEP_1)
	v_cndmask_b32_e64 v1, 0, 1, s1
	v_mov_b32_e32 v0, 0
	s_and_b32 vcc_lo, exec_lo, s0
	s_mov_b64 s[10:11], 0
	global_store_b8 v0, v1, s[2:3] offset:4
	s_cbranch_vccnz .LBB239_28
; %bb.26:
	s_mov_b64 s[12:13], s[8:9]
	.p2align	6
.LBB239_27:                             ; =>This Inner Loop Header: Depth=1
	s_delay_alu instid0(SALU_CYCLE_1) | instskip(SKIP_1) | instid1(SALU_CYCLE_1)
	s_sub_u32 s1, s12, s10
	s_subb_u32 s15, s13, s11
	s_lshr_b32 s14, s15, 31
	s_delay_alu instid0(SALU_CYCLE_1) | instskip(SKIP_1) | instid1(SALU_CYCLE_1)
	s_add_u32 s14, s1, s14
	s_addc_u32 s15, s15, 0
	s_ashr_i64 s[14:15], s[14:15], 1
	s_delay_alu instid0(SALU_CYCLE_1) | instskip(SKIP_1) | instid1(SALU_CYCLE_1)
	s_add_u32 s14, s14, s10
	s_addc_u32 s15, s15, s11
	s_lshl_b64 s[16:17], s[14:15], 1
	s_delay_alu instid0(SALU_CYCLE_1)
	s_add_u32 s16, s6, s16
	s_addc_u32 s17, s7, s17
	s_add_u32 s1, s14, 1
	global_load_i16 v1, v0, s[16:17]
	s_addc_u32 s17, s15, 0
	s_waitcnt vmcnt(0)
	v_readfirstlane_b32 s16, v1
	s_delay_alu instid0(VALU_DEP_1) | instskip(SKIP_4) | instid1(SALU_CYCLE_1)
	s_cmp_lt_i32 s16, 5
	s_cselect_b32 s11, s17, s11
	s_cselect_b32 s10, s1, s10
	;; [unrolled: 1-line block ×4, first 2 shown]
	v_cmp_lt_i64_e64 s1, s[10:11], s[12:13]
	s_delay_alu instid0(VALU_DEP_1)
	s_and_b32 vcc_lo, exec_lo, s1
	s_cbranch_vccnz .LBB239_27
.LBB239_28:
	s_cmp_eq_u64 s[10:11], s[4:5]
	s_mov_b32 s1, 0
	s_cbranch_scc1 .LBB239_30
; %bb.29:
	s_lshl_b64 s[10:11], s[10:11], 1
	v_mov_b32_e32 v0, 0
	s_add_u32 s10, s6, s10
	s_addc_u32 s11, s7, s11
	global_load_i16 v0, v0, s[10:11]
	s_waitcnt vmcnt(0)
	v_cmp_gt_i32_e64 s1, 6, v0
.LBB239_30:
	s_delay_alu instid0(VALU_DEP_1)
	v_cndmask_b32_e64 v1, 0, 1, s1
	v_mov_b32_e32 v0, 0
	s_and_b32 vcc_lo, exec_lo, s0
	s_mov_b64 s[10:11], 0
	global_store_b8 v0, v1, s[2:3] offset:5
	s_cbranch_vccnz .LBB239_33
; %bb.31:
	s_mov_b64 s[12:13], s[8:9]
	.p2align	6
.LBB239_32:                             ; =>This Inner Loop Header: Depth=1
	s_delay_alu instid0(SALU_CYCLE_1) | instskip(SKIP_1) | instid1(SALU_CYCLE_1)
	s_sub_u32 s1, s12, s10
	s_subb_u32 s15, s13, s11
	s_lshr_b32 s14, s15, 31
	s_delay_alu instid0(SALU_CYCLE_1) | instskip(SKIP_1) | instid1(SALU_CYCLE_1)
	s_add_u32 s14, s1, s14
	s_addc_u32 s15, s15, 0
	s_ashr_i64 s[14:15], s[14:15], 1
	s_delay_alu instid0(SALU_CYCLE_1) | instskip(SKIP_1) | instid1(SALU_CYCLE_1)
	s_add_u32 s14, s14, s10
	s_addc_u32 s15, s15, s11
	s_lshl_b64 s[16:17], s[14:15], 1
	s_delay_alu instid0(SALU_CYCLE_1)
	s_add_u32 s16, s6, s16
	s_addc_u32 s17, s7, s17
	s_add_u32 s1, s14, 1
	global_load_i16 v1, v0, s[16:17]
	s_addc_u32 s17, s15, 0
	s_waitcnt vmcnt(0)
	v_readfirstlane_b32 s16, v1
	s_delay_alu instid0(VALU_DEP_1) | instskip(SKIP_4) | instid1(SALU_CYCLE_1)
	s_cmp_lt_i32 s16, 6
	s_cselect_b32 s11, s17, s11
	s_cselect_b32 s10, s1, s10
	;; [unrolled: 1-line block ×4, first 2 shown]
	v_cmp_lt_i64_e64 s1, s[10:11], s[12:13]
	s_delay_alu instid0(VALU_DEP_1)
	s_and_b32 vcc_lo, exec_lo, s1
	s_cbranch_vccnz .LBB239_32
.LBB239_33:
	s_cmp_eq_u64 s[10:11], s[4:5]
	s_mov_b32 s1, 0
	s_cbranch_scc1 .LBB239_35
; %bb.34:
	s_lshl_b64 s[10:11], s[10:11], 1
	v_mov_b32_e32 v0, 0
	s_add_u32 s10, s6, s10
	s_addc_u32 s11, s7, s11
	global_load_i16 v0, v0, s[10:11]
	s_waitcnt vmcnt(0)
	v_cmp_gt_i32_e64 s1, 7, v0
.LBB239_35:
	s_delay_alu instid0(VALU_DEP_1)
	v_cndmask_b32_e64 v1, 0, 1, s1
	v_mov_b32_e32 v0, 0
	s_and_b32 vcc_lo, exec_lo, s0
	s_mov_b64 s[10:11], 0
	global_store_b8 v0, v1, s[2:3] offset:6
	s_cbranch_vccnz .LBB239_38
; %bb.36:
	s_mov_b64 s[12:13], s[8:9]
	.p2align	6
.LBB239_37:                             ; =>This Inner Loop Header: Depth=1
	s_delay_alu instid0(SALU_CYCLE_1) | instskip(SKIP_1) | instid1(SALU_CYCLE_1)
	s_sub_u32 s1, s12, s10
	s_subb_u32 s15, s13, s11
	s_lshr_b32 s14, s15, 31
	s_delay_alu instid0(SALU_CYCLE_1) | instskip(SKIP_1) | instid1(SALU_CYCLE_1)
	s_add_u32 s14, s1, s14
	s_addc_u32 s15, s15, 0
	s_ashr_i64 s[14:15], s[14:15], 1
	s_delay_alu instid0(SALU_CYCLE_1) | instskip(SKIP_1) | instid1(SALU_CYCLE_1)
	s_add_u32 s14, s14, s10
	s_addc_u32 s15, s15, s11
	s_lshl_b64 s[16:17], s[14:15], 1
	s_delay_alu instid0(SALU_CYCLE_1)
	s_add_u32 s16, s6, s16
	s_addc_u32 s17, s7, s17
	s_add_u32 s1, s14, 1
	global_load_i16 v1, v0, s[16:17]
	s_addc_u32 s17, s15, 0
	s_waitcnt vmcnt(0)
	v_readfirstlane_b32 s16, v1
	s_delay_alu instid0(VALU_DEP_1) | instskip(SKIP_4) | instid1(SALU_CYCLE_1)
	s_cmp_lt_i32 s16, 7
	s_cselect_b32 s11, s17, s11
	s_cselect_b32 s10, s1, s10
	;; [unrolled: 1-line block ×4, first 2 shown]
	v_cmp_lt_i64_e64 s1, s[10:11], s[12:13]
	s_delay_alu instid0(VALU_DEP_1)
	s_and_b32 vcc_lo, exec_lo, s1
	s_cbranch_vccnz .LBB239_37
.LBB239_38:
	s_cmp_eq_u64 s[10:11], s[4:5]
	s_mov_b32 s1, 0
	s_cbranch_scc1 .LBB239_40
; %bb.39:
	s_lshl_b64 s[10:11], s[10:11], 1
	v_mov_b32_e32 v0, 0
	s_add_u32 s10, s6, s10
	s_addc_u32 s11, s7, s11
	global_load_i16 v0, v0, s[10:11]
	s_waitcnt vmcnt(0)
	v_cmp_gt_i32_e64 s1, 8, v0
.LBB239_40:
	s_delay_alu instid0(VALU_DEP_1)
	v_cndmask_b32_e64 v1, 0, 1, s1
	v_mov_b32_e32 v0, 0
	s_and_b32 vcc_lo, exec_lo, s0
	s_mov_b64 s[10:11], 0
	global_store_b8 v0, v1, s[2:3] offset:7
	s_cbranch_vccnz .LBB239_43
; %bb.41:
	s_mov_b64 s[12:13], s[8:9]
	.p2align	6
.LBB239_42:                             ; =>This Inner Loop Header: Depth=1
	s_delay_alu instid0(SALU_CYCLE_1) | instskip(SKIP_1) | instid1(SALU_CYCLE_1)
	s_sub_u32 s1, s12, s10
	s_subb_u32 s15, s13, s11
	s_lshr_b32 s14, s15, 31
	s_delay_alu instid0(SALU_CYCLE_1) | instskip(SKIP_1) | instid1(SALU_CYCLE_1)
	s_add_u32 s14, s1, s14
	s_addc_u32 s15, s15, 0
	s_ashr_i64 s[14:15], s[14:15], 1
	s_delay_alu instid0(SALU_CYCLE_1) | instskip(SKIP_1) | instid1(SALU_CYCLE_1)
	s_add_u32 s14, s14, s10
	s_addc_u32 s15, s15, s11
	s_lshl_b64 s[16:17], s[14:15], 1
	s_delay_alu instid0(SALU_CYCLE_1)
	s_add_u32 s16, s6, s16
	s_addc_u32 s17, s7, s17
	s_add_u32 s1, s14, 1
	global_load_i16 v1, v0, s[16:17]
	s_addc_u32 s17, s15, 0
	s_waitcnt vmcnt(0)
	v_readfirstlane_b32 s16, v1
	s_delay_alu instid0(VALU_DEP_1) | instskip(SKIP_4) | instid1(SALU_CYCLE_1)
	s_cmp_lt_i32 s16, 8
	s_cselect_b32 s11, s17, s11
	s_cselect_b32 s10, s1, s10
	;; [unrolled: 1-line block ×4, first 2 shown]
	v_cmp_lt_i64_e64 s1, s[10:11], s[12:13]
	s_delay_alu instid0(VALU_DEP_1)
	s_and_b32 vcc_lo, exec_lo, s1
	s_cbranch_vccnz .LBB239_42
.LBB239_43:
	s_cmp_eq_u64 s[10:11], s[4:5]
	s_mov_b32 s1, 0
	s_cbranch_scc1 .LBB239_45
; %bb.44:
	s_lshl_b64 s[10:11], s[10:11], 1
	v_mov_b32_e32 v0, 0
	s_add_u32 s10, s6, s10
	s_addc_u32 s11, s7, s11
	global_load_i16 v0, v0, s[10:11]
	s_waitcnt vmcnt(0)
	v_cmp_gt_i32_e64 s1, 9, v0
.LBB239_45:
	s_delay_alu instid0(VALU_DEP_1)
	v_cndmask_b32_e64 v1, 0, 1, s1
	v_mov_b32_e32 v0, 0
	s_and_b32 vcc_lo, exec_lo, s0
	s_mov_b64 s[0:1], 0
	global_store_b8 v0, v1, s[2:3] offset:8
	s_cbranch_vccnz .LBB239_47
	.p2align	6
.LBB239_46:                             ; =>This Inner Loop Header: Depth=1
	s_sub_u32 s10, s8, s0
	s_subb_u32 s11, s9, s1
	s_delay_alu instid0(SALU_CYCLE_1) | instskip(NEXT) | instid1(SALU_CYCLE_1)
	s_lshr_b32 s12, s11, 31
	s_add_u32 s10, s10, s12
	s_addc_u32 s11, s11, 0
	s_delay_alu instid0(SALU_CYCLE_1) | instskip(NEXT) | instid1(SALU_CYCLE_1)
	s_ashr_i64 s[10:11], s[10:11], 1
	s_add_u32 s10, s10, s0
	s_addc_u32 s11, s11, s1
	s_delay_alu instid0(SALU_CYCLE_1) | instskip(NEXT) | instid1(SALU_CYCLE_1)
	s_lshl_b64 s[12:13], s[10:11], 1
	s_add_u32 s12, s6, s12
	s_addc_u32 s13, s7, s13
	global_load_i16 v1, v0, s[12:13]
	s_add_u32 s12, s10, 1
	s_addc_u32 s14, s11, 0
	s_waitcnt vmcnt(0)
	v_readfirstlane_b32 s13, v1
	s_delay_alu instid0(VALU_DEP_1) | instskip(SKIP_4) | instid1(SALU_CYCLE_1)
	s_cmp_lt_i32 s13, 9
	s_cselect_b32 s1, s14, s1
	s_cselect_b32 s0, s12, s0
	;; [unrolled: 1-line block ×4, first 2 shown]
	v_cmp_lt_i64_e64 s10, s[0:1], s[8:9]
	s_delay_alu instid0(VALU_DEP_1)
	s_and_b32 vcc_lo, exec_lo, s10
	s_cbranch_vccnz .LBB239_46
.LBB239_47:
	s_cmp_eq_u64 s[0:1], s[4:5]
	s_mov_b32 s4, 0
	s_cbranch_scc1 .LBB239_49
; %bb.48:
	s_lshl_b64 s[0:1], s[0:1], 1
	v_mov_b32_e32 v0, 0
	s_add_u32 s0, s6, s0
	s_addc_u32 s1, s7, s1
	global_load_i16 v0, v0, s[0:1]
	s_waitcnt vmcnt(0)
	v_cmp_gt_i32_e64 s4, 10, v0
.LBB239_49:
	v_mov_b32_e32 v0, 0
	s_delay_alu instid0(VALU_DEP_2)
	v_cndmask_b32_e64 v1, 0, 1, s4
	global_store_b8 v0, v1, s[2:3] offset:9
	s_nop 0
	s_sendmsg sendmsg(MSG_DEALLOC_VGPRS)
	s_endpgm
	.section	.rodata,"a",@progbits
	.p2align	6, 0x0
	.amdhsa_kernel _Z20binary_search_kernelIsEvmPT_Pb
		.amdhsa_group_segment_fixed_size 0
		.amdhsa_private_segment_fixed_size 0
		.amdhsa_kernarg_size 24
		.amdhsa_user_sgpr_count 15
		.amdhsa_user_sgpr_dispatch_ptr 0
		.amdhsa_user_sgpr_queue_ptr 0
		.amdhsa_user_sgpr_kernarg_segment_ptr 1
		.amdhsa_user_sgpr_dispatch_id 0
		.amdhsa_user_sgpr_private_segment_size 0
		.amdhsa_wavefront_size32 1
		.amdhsa_uses_dynamic_stack 0
		.amdhsa_enable_private_segment 0
		.amdhsa_system_sgpr_workgroup_id_x 1
		.amdhsa_system_sgpr_workgroup_id_y 0
		.amdhsa_system_sgpr_workgroup_id_z 0
		.amdhsa_system_sgpr_workgroup_info 0
		.amdhsa_system_vgpr_workitem_id 0
		.amdhsa_next_free_vgpr 2
		.amdhsa_next_free_sgpr 18
		.amdhsa_reserve_vcc 1
		.amdhsa_float_round_mode_32 0
		.amdhsa_float_round_mode_16_64 0
		.amdhsa_float_denorm_mode_32 3
		.amdhsa_float_denorm_mode_16_64 3
		.amdhsa_dx10_clamp 1
		.amdhsa_ieee_mode 1
		.amdhsa_fp16_overflow 0
		.amdhsa_workgroup_processor_mode 1
		.amdhsa_memory_ordered 1
		.amdhsa_forward_progress 0
		.amdhsa_shared_vgpr_count 0
		.amdhsa_exception_fp_ieee_invalid_op 0
		.amdhsa_exception_fp_denorm_src 0
		.amdhsa_exception_fp_ieee_div_zero 0
		.amdhsa_exception_fp_ieee_overflow 0
		.amdhsa_exception_fp_ieee_underflow 0
		.amdhsa_exception_fp_ieee_inexact 0
		.amdhsa_exception_int_div_zero 0
	.end_amdhsa_kernel
	.section	.text._Z20binary_search_kernelIsEvmPT_Pb,"axG",@progbits,_Z20binary_search_kernelIsEvmPT_Pb,comdat
.Lfunc_end239:
	.size	_Z20binary_search_kernelIsEvmPT_Pb, .Lfunc_end239-_Z20binary_search_kernelIsEvmPT_Pb
                                        ; -- End function
	.section	.AMDGPU.csdata,"",@progbits
; Kernel info:
; codeLenInByte = 2244
; NumSgprs: 20
; NumVgprs: 2
; ScratchSize: 0
; MemoryBound: 0
; FloatMode: 240
; IeeeMode: 1
; LDSByteSize: 0 bytes/workgroup (compile time only)
; SGPRBlocks: 2
; VGPRBlocks: 0
; NumSGPRsForWavesPerEU: 20
; NumVGPRsForWavesPerEU: 2
; Occupancy: 16
; WaveLimiterHint : 0
; COMPUTE_PGM_RSRC2:SCRATCH_EN: 0
; COMPUTE_PGM_RSRC2:USER_SGPR: 15
; COMPUTE_PGM_RSRC2:TRAP_HANDLER: 0
; COMPUTE_PGM_RSRC2:TGID_X_EN: 1
; COMPUTE_PGM_RSRC2:TGID_Y_EN: 0
; COMPUTE_PGM_RSRC2:TGID_Z_EN: 0
; COMPUTE_PGM_RSRC2:TIDIG_COMP_CNT: 0
	.section	.text._ZN7rocprim17ROCPRIM_400000_NS6detail17trampoline_kernelINS0_14default_configENS1_29binary_search_config_selectorIsbEEZNS1_14transform_implILb0ES3_S5_N6thrust23THRUST_200600_302600_NS17counting_iteratorIsNS8_11use_defaultESA_SA_EEPbZNS1_13binary_searchIS3_S5_PsSB_SC_NS1_16binary_search_opENS8_6detail16wrapped_functionINS0_4lessIvEEbEEEE10hipError_tPvRmT1_T2_T3_mmT4_T5_P12ihipStream_tbEUlRKsE_EESL_SP_SQ_mSR_SU_bEUlT_E_NS1_11comp_targetILNS1_3genE0ELNS1_11target_archE4294967295ELNS1_3gpuE0ELNS1_3repE0EEENS1_30default_config_static_selectorELNS0_4arch9wavefront6targetE0EEEvSO_,"axG",@progbits,_ZN7rocprim17ROCPRIM_400000_NS6detail17trampoline_kernelINS0_14default_configENS1_29binary_search_config_selectorIsbEEZNS1_14transform_implILb0ES3_S5_N6thrust23THRUST_200600_302600_NS17counting_iteratorIsNS8_11use_defaultESA_SA_EEPbZNS1_13binary_searchIS3_S5_PsSB_SC_NS1_16binary_search_opENS8_6detail16wrapped_functionINS0_4lessIvEEbEEEE10hipError_tPvRmT1_T2_T3_mmT4_T5_P12ihipStream_tbEUlRKsE_EESL_SP_SQ_mSR_SU_bEUlT_E_NS1_11comp_targetILNS1_3genE0ELNS1_11target_archE4294967295ELNS1_3gpuE0ELNS1_3repE0EEENS1_30default_config_static_selectorELNS0_4arch9wavefront6targetE0EEEvSO_,comdat
	.protected	_ZN7rocprim17ROCPRIM_400000_NS6detail17trampoline_kernelINS0_14default_configENS1_29binary_search_config_selectorIsbEEZNS1_14transform_implILb0ES3_S5_N6thrust23THRUST_200600_302600_NS17counting_iteratorIsNS8_11use_defaultESA_SA_EEPbZNS1_13binary_searchIS3_S5_PsSB_SC_NS1_16binary_search_opENS8_6detail16wrapped_functionINS0_4lessIvEEbEEEE10hipError_tPvRmT1_T2_T3_mmT4_T5_P12ihipStream_tbEUlRKsE_EESL_SP_SQ_mSR_SU_bEUlT_E_NS1_11comp_targetILNS1_3genE0ELNS1_11target_archE4294967295ELNS1_3gpuE0ELNS1_3repE0EEENS1_30default_config_static_selectorELNS0_4arch9wavefront6targetE0EEEvSO_ ; -- Begin function _ZN7rocprim17ROCPRIM_400000_NS6detail17trampoline_kernelINS0_14default_configENS1_29binary_search_config_selectorIsbEEZNS1_14transform_implILb0ES3_S5_N6thrust23THRUST_200600_302600_NS17counting_iteratorIsNS8_11use_defaultESA_SA_EEPbZNS1_13binary_searchIS3_S5_PsSB_SC_NS1_16binary_search_opENS8_6detail16wrapped_functionINS0_4lessIvEEbEEEE10hipError_tPvRmT1_T2_T3_mmT4_T5_P12ihipStream_tbEUlRKsE_EESL_SP_SQ_mSR_SU_bEUlT_E_NS1_11comp_targetILNS1_3genE0ELNS1_11target_archE4294967295ELNS1_3gpuE0ELNS1_3repE0EEENS1_30default_config_static_selectorELNS0_4arch9wavefront6targetE0EEEvSO_
	.globl	_ZN7rocprim17ROCPRIM_400000_NS6detail17trampoline_kernelINS0_14default_configENS1_29binary_search_config_selectorIsbEEZNS1_14transform_implILb0ES3_S5_N6thrust23THRUST_200600_302600_NS17counting_iteratorIsNS8_11use_defaultESA_SA_EEPbZNS1_13binary_searchIS3_S5_PsSB_SC_NS1_16binary_search_opENS8_6detail16wrapped_functionINS0_4lessIvEEbEEEE10hipError_tPvRmT1_T2_T3_mmT4_T5_P12ihipStream_tbEUlRKsE_EESL_SP_SQ_mSR_SU_bEUlT_E_NS1_11comp_targetILNS1_3genE0ELNS1_11target_archE4294967295ELNS1_3gpuE0ELNS1_3repE0EEENS1_30default_config_static_selectorELNS0_4arch9wavefront6targetE0EEEvSO_
	.p2align	8
	.type	_ZN7rocprim17ROCPRIM_400000_NS6detail17trampoline_kernelINS0_14default_configENS1_29binary_search_config_selectorIsbEEZNS1_14transform_implILb0ES3_S5_N6thrust23THRUST_200600_302600_NS17counting_iteratorIsNS8_11use_defaultESA_SA_EEPbZNS1_13binary_searchIS3_S5_PsSB_SC_NS1_16binary_search_opENS8_6detail16wrapped_functionINS0_4lessIvEEbEEEE10hipError_tPvRmT1_T2_T3_mmT4_T5_P12ihipStream_tbEUlRKsE_EESL_SP_SQ_mSR_SU_bEUlT_E_NS1_11comp_targetILNS1_3genE0ELNS1_11target_archE4294967295ELNS1_3gpuE0ELNS1_3repE0EEENS1_30default_config_static_selectorELNS0_4arch9wavefront6targetE0EEEvSO_,@function
_ZN7rocprim17ROCPRIM_400000_NS6detail17trampoline_kernelINS0_14default_configENS1_29binary_search_config_selectorIsbEEZNS1_14transform_implILb0ES3_S5_N6thrust23THRUST_200600_302600_NS17counting_iteratorIsNS8_11use_defaultESA_SA_EEPbZNS1_13binary_searchIS3_S5_PsSB_SC_NS1_16binary_search_opENS8_6detail16wrapped_functionINS0_4lessIvEEbEEEE10hipError_tPvRmT1_T2_T3_mmT4_T5_P12ihipStream_tbEUlRKsE_EESL_SP_SQ_mSR_SU_bEUlT_E_NS1_11comp_targetILNS1_3genE0ELNS1_11target_archE4294967295ELNS1_3gpuE0ELNS1_3repE0EEENS1_30default_config_static_selectorELNS0_4arch9wavefront6targetE0EEEvSO_: ; @_ZN7rocprim17ROCPRIM_400000_NS6detail17trampoline_kernelINS0_14default_configENS1_29binary_search_config_selectorIsbEEZNS1_14transform_implILb0ES3_S5_N6thrust23THRUST_200600_302600_NS17counting_iteratorIsNS8_11use_defaultESA_SA_EEPbZNS1_13binary_searchIS3_S5_PsSB_SC_NS1_16binary_search_opENS8_6detail16wrapped_functionINS0_4lessIvEEbEEEE10hipError_tPvRmT1_T2_T3_mmT4_T5_P12ihipStream_tbEUlRKsE_EESL_SP_SQ_mSR_SU_bEUlT_E_NS1_11comp_targetILNS1_3genE0ELNS1_11target_archE4294967295ELNS1_3gpuE0ELNS1_3repE0EEENS1_30default_config_static_selectorELNS0_4arch9wavefront6targetE0EEEvSO_
; %bb.0:
	.section	.rodata,"a",@progbits
	.p2align	6, 0x0
	.amdhsa_kernel _ZN7rocprim17ROCPRIM_400000_NS6detail17trampoline_kernelINS0_14default_configENS1_29binary_search_config_selectorIsbEEZNS1_14transform_implILb0ES3_S5_N6thrust23THRUST_200600_302600_NS17counting_iteratorIsNS8_11use_defaultESA_SA_EEPbZNS1_13binary_searchIS3_S5_PsSB_SC_NS1_16binary_search_opENS8_6detail16wrapped_functionINS0_4lessIvEEbEEEE10hipError_tPvRmT1_T2_T3_mmT4_T5_P12ihipStream_tbEUlRKsE_EESL_SP_SQ_mSR_SU_bEUlT_E_NS1_11comp_targetILNS1_3genE0ELNS1_11target_archE4294967295ELNS1_3gpuE0ELNS1_3repE0EEENS1_30default_config_static_selectorELNS0_4arch9wavefront6targetE0EEEvSO_
		.amdhsa_group_segment_fixed_size 0
		.amdhsa_private_segment_fixed_size 0
		.amdhsa_kernarg_size 56
		.amdhsa_user_sgpr_count 15
		.amdhsa_user_sgpr_dispatch_ptr 0
		.amdhsa_user_sgpr_queue_ptr 0
		.amdhsa_user_sgpr_kernarg_segment_ptr 1
		.amdhsa_user_sgpr_dispatch_id 0
		.amdhsa_user_sgpr_private_segment_size 0
		.amdhsa_wavefront_size32 1
		.amdhsa_uses_dynamic_stack 0
		.amdhsa_enable_private_segment 0
		.amdhsa_system_sgpr_workgroup_id_x 1
		.amdhsa_system_sgpr_workgroup_id_y 0
		.amdhsa_system_sgpr_workgroup_id_z 0
		.amdhsa_system_sgpr_workgroup_info 0
		.amdhsa_system_vgpr_workitem_id 0
		.amdhsa_next_free_vgpr 1
		.amdhsa_next_free_sgpr 1
		.amdhsa_reserve_vcc 0
		.amdhsa_float_round_mode_32 0
		.amdhsa_float_round_mode_16_64 0
		.amdhsa_float_denorm_mode_32 3
		.amdhsa_float_denorm_mode_16_64 3
		.amdhsa_dx10_clamp 1
		.amdhsa_ieee_mode 1
		.amdhsa_fp16_overflow 0
		.amdhsa_workgroup_processor_mode 1
		.amdhsa_memory_ordered 1
		.amdhsa_forward_progress 0
		.amdhsa_shared_vgpr_count 0
		.amdhsa_exception_fp_ieee_invalid_op 0
		.amdhsa_exception_fp_denorm_src 0
		.amdhsa_exception_fp_ieee_div_zero 0
		.amdhsa_exception_fp_ieee_overflow 0
		.amdhsa_exception_fp_ieee_underflow 0
		.amdhsa_exception_fp_ieee_inexact 0
		.amdhsa_exception_int_div_zero 0
	.end_amdhsa_kernel
	.section	.text._ZN7rocprim17ROCPRIM_400000_NS6detail17trampoline_kernelINS0_14default_configENS1_29binary_search_config_selectorIsbEEZNS1_14transform_implILb0ES3_S5_N6thrust23THRUST_200600_302600_NS17counting_iteratorIsNS8_11use_defaultESA_SA_EEPbZNS1_13binary_searchIS3_S5_PsSB_SC_NS1_16binary_search_opENS8_6detail16wrapped_functionINS0_4lessIvEEbEEEE10hipError_tPvRmT1_T2_T3_mmT4_T5_P12ihipStream_tbEUlRKsE_EESL_SP_SQ_mSR_SU_bEUlT_E_NS1_11comp_targetILNS1_3genE0ELNS1_11target_archE4294967295ELNS1_3gpuE0ELNS1_3repE0EEENS1_30default_config_static_selectorELNS0_4arch9wavefront6targetE0EEEvSO_,"axG",@progbits,_ZN7rocprim17ROCPRIM_400000_NS6detail17trampoline_kernelINS0_14default_configENS1_29binary_search_config_selectorIsbEEZNS1_14transform_implILb0ES3_S5_N6thrust23THRUST_200600_302600_NS17counting_iteratorIsNS8_11use_defaultESA_SA_EEPbZNS1_13binary_searchIS3_S5_PsSB_SC_NS1_16binary_search_opENS8_6detail16wrapped_functionINS0_4lessIvEEbEEEE10hipError_tPvRmT1_T2_T3_mmT4_T5_P12ihipStream_tbEUlRKsE_EESL_SP_SQ_mSR_SU_bEUlT_E_NS1_11comp_targetILNS1_3genE0ELNS1_11target_archE4294967295ELNS1_3gpuE0ELNS1_3repE0EEENS1_30default_config_static_selectorELNS0_4arch9wavefront6targetE0EEEvSO_,comdat
.Lfunc_end240:
	.size	_ZN7rocprim17ROCPRIM_400000_NS6detail17trampoline_kernelINS0_14default_configENS1_29binary_search_config_selectorIsbEEZNS1_14transform_implILb0ES3_S5_N6thrust23THRUST_200600_302600_NS17counting_iteratorIsNS8_11use_defaultESA_SA_EEPbZNS1_13binary_searchIS3_S5_PsSB_SC_NS1_16binary_search_opENS8_6detail16wrapped_functionINS0_4lessIvEEbEEEE10hipError_tPvRmT1_T2_T3_mmT4_T5_P12ihipStream_tbEUlRKsE_EESL_SP_SQ_mSR_SU_bEUlT_E_NS1_11comp_targetILNS1_3genE0ELNS1_11target_archE4294967295ELNS1_3gpuE0ELNS1_3repE0EEENS1_30default_config_static_selectorELNS0_4arch9wavefront6targetE0EEEvSO_, .Lfunc_end240-_ZN7rocprim17ROCPRIM_400000_NS6detail17trampoline_kernelINS0_14default_configENS1_29binary_search_config_selectorIsbEEZNS1_14transform_implILb0ES3_S5_N6thrust23THRUST_200600_302600_NS17counting_iteratorIsNS8_11use_defaultESA_SA_EEPbZNS1_13binary_searchIS3_S5_PsSB_SC_NS1_16binary_search_opENS8_6detail16wrapped_functionINS0_4lessIvEEbEEEE10hipError_tPvRmT1_T2_T3_mmT4_T5_P12ihipStream_tbEUlRKsE_EESL_SP_SQ_mSR_SU_bEUlT_E_NS1_11comp_targetILNS1_3genE0ELNS1_11target_archE4294967295ELNS1_3gpuE0ELNS1_3repE0EEENS1_30default_config_static_selectorELNS0_4arch9wavefront6targetE0EEEvSO_
                                        ; -- End function
	.section	.AMDGPU.csdata,"",@progbits
; Kernel info:
; codeLenInByte = 0
; NumSgprs: 0
; NumVgprs: 0
; ScratchSize: 0
; MemoryBound: 0
; FloatMode: 240
; IeeeMode: 1
; LDSByteSize: 0 bytes/workgroup (compile time only)
; SGPRBlocks: 0
; VGPRBlocks: 0
; NumSGPRsForWavesPerEU: 1
; NumVGPRsForWavesPerEU: 1
; Occupancy: 16
; WaveLimiterHint : 0
; COMPUTE_PGM_RSRC2:SCRATCH_EN: 0
; COMPUTE_PGM_RSRC2:USER_SGPR: 15
; COMPUTE_PGM_RSRC2:TRAP_HANDLER: 0
; COMPUTE_PGM_RSRC2:TGID_X_EN: 1
; COMPUTE_PGM_RSRC2:TGID_Y_EN: 0
; COMPUTE_PGM_RSRC2:TGID_Z_EN: 0
; COMPUTE_PGM_RSRC2:TIDIG_COMP_CNT: 0
	.section	.text._ZN7rocprim17ROCPRIM_400000_NS6detail17trampoline_kernelINS0_14default_configENS1_29binary_search_config_selectorIsbEEZNS1_14transform_implILb0ES3_S5_N6thrust23THRUST_200600_302600_NS17counting_iteratorIsNS8_11use_defaultESA_SA_EEPbZNS1_13binary_searchIS3_S5_PsSB_SC_NS1_16binary_search_opENS8_6detail16wrapped_functionINS0_4lessIvEEbEEEE10hipError_tPvRmT1_T2_T3_mmT4_T5_P12ihipStream_tbEUlRKsE_EESL_SP_SQ_mSR_SU_bEUlT_E_NS1_11comp_targetILNS1_3genE5ELNS1_11target_archE942ELNS1_3gpuE9ELNS1_3repE0EEENS1_30default_config_static_selectorELNS0_4arch9wavefront6targetE0EEEvSO_,"axG",@progbits,_ZN7rocprim17ROCPRIM_400000_NS6detail17trampoline_kernelINS0_14default_configENS1_29binary_search_config_selectorIsbEEZNS1_14transform_implILb0ES3_S5_N6thrust23THRUST_200600_302600_NS17counting_iteratorIsNS8_11use_defaultESA_SA_EEPbZNS1_13binary_searchIS3_S5_PsSB_SC_NS1_16binary_search_opENS8_6detail16wrapped_functionINS0_4lessIvEEbEEEE10hipError_tPvRmT1_T2_T3_mmT4_T5_P12ihipStream_tbEUlRKsE_EESL_SP_SQ_mSR_SU_bEUlT_E_NS1_11comp_targetILNS1_3genE5ELNS1_11target_archE942ELNS1_3gpuE9ELNS1_3repE0EEENS1_30default_config_static_selectorELNS0_4arch9wavefront6targetE0EEEvSO_,comdat
	.protected	_ZN7rocprim17ROCPRIM_400000_NS6detail17trampoline_kernelINS0_14default_configENS1_29binary_search_config_selectorIsbEEZNS1_14transform_implILb0ES3_S5_N6thrust23THRUST_200600_302600_NS17counting_iteratorIsNS8_11use_defaultESA_SA_EEPbZNS1_13binary_searchIS3_S5_PsSB_SC_NS1_16binary_search_opENS8_6detail16wrapped_functionINS0_4lessIvEEbEEEE10hipError_tPvRmT1_T2_T3_mmT4_T5_P12ihipStream_tbEUlRKsE_EESL_SP_SQ_mSR_SU_bEUlT_E_NS1_11comp_targetILNS1_3genE5ELNS1_11target_archE942ELNS1_3gpuE9ELNS1_3repE0EEENS1_30default_config_static_selectorELNS0_4arch9wavefront6targetE0EEEvSO_ ; -- Begin function _ZN7rocprim17ROCPRIM_400000_NS6detail17trampoline_kernelINS0_14default_configENS1_29binary_search_config_selectorIsbEEZNS1_14transform_implILb0ES3_S5_N6thrust23THRUST_200600_302600_NS17counting_iteratorIsNS8_11use_defaultESA_SA_EEPbZNS1_13binary_searchIS3_S5_PsSB_SC_NS1_16binary_search_opENS8_6detail16wrapped_functionINS0_4lessIvEEbEEEE10hipError_tPvRmT1_T2_T3_mmT4_T5_P12ihipStream_tbEUlRKsE_EESL_SP_SQ_mSR_SU_bEUlT_E_NS1_11comp_targetILNS1_3genE5ELNS1_11target_archE942ELNS1_3gpuE9ELNS1_3repE0EEENS1_30default_config_static_selectorELNS0_4arch9wavefront6targetE0EEEvSO_
	.globl	_ZN7rocprim17ROCPRIM_400000_NS6detail17trampoline_kernelINS0_14default_configENS1_29binary_search_config_selectorIsbEEZNS1_14transform_implILb0ES3_S5_N6thrust23THRUST_200600_302600_NS17counting_iteratorIsNS8_11use_defaultESA_SA_EEPbZNS1_13binary_searchIS3_S5_PsSB_SC_NS1_16binary_search_opENS8_6detail16wrapped_functionINS0_4lessIvEEbEEEE10hipError_tPvRmT1_T2_T3_mmT4_T5_P12ihipStream_tbEUlRKsE_EESL_SP_SQ_mSR_SU_bEUlT_E_NS1_11comp_targetILNS1_3genE5ELNS1_11target_archE942ELNS1_3gpuE9ELNS1_3repE0EEENS1_30default_config_static_selectorELNS0_4arch9wavefront6targetE0EEEvSO_
	.p2align	8
	.type	_ZN7rocprim17ROCPRIM_400000_NS6detail17trampoline_kernelINS0_14default_configENS1_29binary_search_config_selectorIsbEEZNS1_14transform_implILb0ES3_S5_N6thrust23THRUST_200600_302600_NS17counting_iteratorIsNS8_11use_defaultESA_SA_EEPbZNS1_13binary_searchIS3_S5_PsSB_SC_NS1_16binary_search_opENS8_6detail16wrapped_functionINS0_4lessIvEEbEEEE10hipError_tPvRmT1_T2_T3_mmT4_T5_P12ihipStream_tbEUlRKsE_EESL_SP_SQ_mSR_SU_bEUlT_E_NS1_11comp_targetILNS1_3genE5ELNS1_11target_archE942ELNS1_3gpuE9ELNS1_3repE0EEENS1_30default_config_static_selectorELNS0_4arch9wavefront6targetE0EEEvSO_,@function
_ZN7rocprim17ROCPRIM_400000_NS6detail17trampoline_kernelINS0_14default_configENS1_29binary_search_config_selectorIsbEEZNS1_14transform_implILb0ES3_S5_N6thrust23THRUST_200600_302600_NS17counting_iteratorIsNS8_11use_defaultESA_SA_EEPbZNS1_13binary_searchIS3_S5_PsSB_SC_NS1_16binary_search_opENS8_6detail16wrapped_functionINS0_4lessIvEEbEEEE10hipError_tPvRmT1_T2_T3_mmT4_T5_P12ihipStream_tbEUlRKsE_EESL_SP_SQ_mSR_SU_bEUlT_E_NS1_11comp_targetILNS1_3genE5ELNS1_11target_archE942ELNS1_3gpuE9ELNS1_3repE0EEENS1_30default_config_static_selectorELNS0_4arch9wavefront6targetE0EEEvSO_: ; @_ZN7rocprim17ROCPRIM_400000_NS6detail17trampoline_kernelINS0_14default_configENS1_29binary_search_config_selectorIsbEEZNS1_14transform_implILb0ES3_S5_N6thrust23THRUST_200600_302600_NS17counting_iteratorIsNS8_11use_defaultESA_SA_EEPbZNS1_13binary_searchIS3_S5_PsSB_SC_NS1_16binary_search_opENS8_6detail16wrapped_functionINS0_4lessIvEEbEEEE10hipError_tPvRmT1_T2_T3_mmT4_T5_P12ihipStream_tbEUlRKsE_EESL_SP_SQ_mSR_SU_bEUlT_E_NS1_11comp_targetILNS1_3genE5ELNS1_11target_archE942ELNS1_3gpuE9ELNS1_3repE0EEENS1_30default_config_static_selectorELNS0_4arch9wavefront6targetE0EEEvSO_
; %bb.0:
	.section	.rodata,"a",@progbits
	.p2align	6, 0x0
	.amdhsa_kernel _ZN7rocprim17ROCPRIM_400000_NS6detail17trampoline_kernelINS0_14default_configENS1_29binary_search_config_selectorIsbEEZNS1_14transform_implILb0ES3_S5_N6thrust23THRUST_200600_302600_NS17counting_iteratorIsNS8_11use_defaultESA_SA_EEPbZNS1_13binary_searchIS3_S5_PsSB_SC_NS1_16binary_search_opENS8_6detail16wrapped_functionINS0_4lessIvEEbEEEE10hipError_tPvRmT1_T2_T3_mmT4_T5_P12ihipStream_tbEUlRKsE_EESL_SP_SQ_mSR_SU_bEUlT_E_NS1_11comp_targetILNS1_3genE5ELNS1_11target_archE942ELNS1_3gpuE9ELNS1_3repE0EEENS1_30default_config_static_selectorELNS0_4arch9wavefront6targetE0EEEvSO_
		.amdhsa_group_segment_fixed_size 0
		.amdhsa_private_segment_fixed_size 0
		.amdhsa_kernarg_size 56
		.amdhsa_user_sgpr_count 15
		.amdhsa_user_sgpr_dispatch_ptr 0
		.amdhsa_user_sgpr_queue_ptr 0
		.amdhsa_user_sgpr_kernarg_segment_ptr 1
		.amdhsa_user_sgpr_dispatch_id 0
		.amdhsa_user_sgpr_private_segment_size 0
		.amdhsa_wavefront_size32 1
		.amdhsa_uses_dynamic_stack 0
		.amdhsa_enable_private_segment 0
		.amdhsa_system_sgpr_workgroup_id_x 1
		.amdhsa_system_sgpr_workgroup_id_y 0
		.amdhsa_system_sgpr_workgroup_id_z 0
		.amdhsa_system_sgpr_workgroup_info 0
		.amdhsa_system_vgpr_workitem_id 0
		.amdhsa_next_free_vgpr 1
		.amdhsa_next_free_sgpr 1
		.amdhsa_reserve_vcc 0
		.amdhsa_float_round_mode_32 0
		.amdhsa_float_round_mode_16_64 0
		.amdhsa_float_denorm_mode_32 3
		.amdhsa_float_denorm_mode_16_64 3
		.amdhsa_dx10_clamp 1
		.amdhsa_ieee_mode 1
		.amdhsa_fp16_overflow 0
		.amdhsa_workgroup_processor_mode 1
		.amdhsa_memory_ordered 1
		.amdhsa_forward_progress 0
		.amdhsa_shared_vgpr_count 0
		.amdhsa_exception_fp_ieee_invalid_op 0
		.amdhsa_exception_fp_denorm_src 0
		.amdhsa_exception_fp_ieee_div_zero 0
		.amdhsa_exception_fp_ieee_overflow 0
		.amdhsa_exception_fp_ieee_underflow 0
		.amdhsa_exception_fp_ieee_inexact 0
		.amdhsa_exception_int_div_zero 0
	.end_amdhsa_kernel
	.section	.text._ZN7rocprim17ROCPRIM_400000_NS6detail17trampoline_kernelINS0_14default_configENS1_29binary_search_config_selectorIsbEEZNS1_14transform_implILb0ES3_S5_N6thrust23THRUST_200600_302600_NS17counting_iteratorIsNS8_11use_defaultESA_SA_EEPbZNS1_13binary_searchIS3_S5_PsSB_SC_NS1_16binary_search_opENS8_6detail16wrapped_functionINS0_4lessIvEEbEEEE10hipError_tPvRmT1_T2_T3_mmT4_T5_P12ihipStream_tbEUlRKsE_EESL_SP_SQ_mSR_SU_bEUlT_E_NS1_11comp_targetILNS1_3genE5ELNS1_11target_archE942ELNS1_3gpuE9ELNS1_3repE0EEENS1_30default_config_static_selectorELNS0_4arch9wavefront6targetE0EEEvSO_,"axG",@progbits,_ZN7rocprim17ROCPRIM_400000_NS6detail17trampoline_kernelINS0_14default_configENS1_29binary_search_config_selectorIsbEEZNS1_14transform_implILb0ES3_S5_N6thrust23THRUST_200600_302600_NS17counting_iteratorIsNS8_11use_defaultESA_SA_EEPbZNS1_13binary_searchIS3_S5_PsSB_SC_NS1_16binary_search_opENS8_6detail16wrapped_functionINS0_4lessIvEEbEEEE10hipError_tPvRmT1_T2_T3_mmT4_T5_P12ihipStream_tbEUlRKsE_EESL_SP_SQ_mSR_SU_bEUlT_E_NS1_11comp_targetILNS1_3genE5ELNS1_11target_archE942ELNS1_3gpuE9ELNS1_3repE0EEENS1_30default_config_static_selectorELNS0_4arch9wavefront6targetE0EEEvSO_,comdat
.Lfunc_end241:
	.size	_ZN7rocprim17ROCPRIM_400000_NS6detail17trampoline_kernelINS0_14default_configENS1_29binary_search_config_selectorIsbEEZNS1_14transform_implILb0ES3_S5_N6thrust23THRUST_200600_302600_NS17counting_iteratorIsNS8_11use_defaultESA_SA_EEPbZNS1_13binary_searchIS3_S5_PsSB_SC_NS1_16binary_search_opENS8_6detail16wrapped_functionINS0_4lessIvEEbEEEE10hipError_tPvRmT1_T2_T3_mmT4_T5_P12ihipStream_tbEUlRKsE_EESL_SP_SQ_mSR_SU_bEUlT_E_NS1_11comp_targetILNS1_3genE5ELNS1_11target_archE942ELNS1_3gpuE9ELNS1_3repE0EEENS1_30default_config_static_selectorELNS0_4arch9wavefront6targetE0EEEvSO_, .Lfunc_end241-_ZN7rocprim17ROCPRIM_400000_NS6detail17trampoline_kernelINS0_14default_configENS1_29binary_search_config_selectorIsbEEZNS1_14transform_implILb0ES3_S5_N6thrust23THRUST_200600_302600_NS17counting_iteratorIsNS8_11use_defaultESA_SA_EEPbZNS1_13binary_searchIS3_S5_PsSB_SC_NS1_16binary_search_opENS8_6detail16wrapped_functionINS0_4lessIvEEbEEEE10hipError_tPvRmT1_T2_T3_mmT4_T5_P12ihipStream_tbEUlRKsE_EESL_SP_SQ_mSR_SU_bEUlT_E_NS1_11comp_targetILNS1_3genE5ELNS1_11target_archE942ELNS1_3gpuE9ELNS1_3repE0EEENS1_30default_config_static_selectorELNS0_4arch9wavefront6targetE0EEEvSO_
                                        ; -- End function
	.section	.AMDGPU.csdata,"",@progbits
; Kernel info:
; codeLenInByte = 0
; NumSgprs: 0
; NumVgprs: 0
; ScratchSize: 0
; MemoryBound: 0
; FloatMode: 240
; IeeeMode: 1
; LDSByteSize: 0 bytes/workgroup (compile time only)
; SGPRBlocks: 0
; VGPRBlocks: 0
; NumSGPRsForWavesPerEU: 1
; NumVGPRsForWavesPerEU: 1
; Occupancy: 16
; WaveLimiterHint : 0
; COMPUTE_PGM_RSRC2:SCRATCH_EN: 0
; COMPUTE_PGM_RSRC2:USER_SGPR: 15
; COMPUTE_PGM_RSRC2:TRAP_HANDLER: 0
; COMPUTE_PGM_RSRC2:TGID_X_EN: 1
; COMPUTE_PGM_RSRC2:TGID_Y_EN: 0
; COMPUTE_PGM_RSRC2:TGID_Z_EN: 0
; COMPUTE_PGM_RSRC2:TIDIG_COMP_CNT: 0
	.section	.text._ZN7rocprim17ROCPRIM_400000_NS6detail17trampoline_kernelINS0_14default_configENS1_29binary_search_config_selectorIsbEEZNS1_14transform_implILb0ES3_S5_N6thrust23THRUST_200600_302600_NS17counting_iteratorIsNS8_11use_defaultESA_SA_EEPbZNS1_13binary_searchIS3_S5_PsSB_SC_NS1_16binary_search_opENS8_6detail16wrapped_functionINS0_4lessIvEEbEEEE10hipError_tPvRmT1_T2_T3_mmT4_T5_P12ihipStream_tbEUlRKsE_EESL_SP_SQ_mSR_SU_bEUlT_E_NS1_11comp_targetILNS1_3genE4ELNS1_11target_archE910ELNS1_3gpuE8ELNS1_3repE0EEENS1_30default_config_static_selectorELNS0_4arch9wavefront6targetE0EEEvSO_,"axG",@progbits,_ZN7rocprim17ROCPRIM_400000_NS6detail17trampoline_kernelINS0_14default_configENS1_29binary_search_config_selectorIsbEEZNS1_14transform_implILb0ES3_S5_N6thrust23THRUST_200600_302600_NS17counting_iteratorIsNS8_11use_defaultESA_SA_EEPbZNS1_13binary_searchIS3_S5_PsSB_SC_NS1_16binary_search_opENS8_6detail16wrapped_functionINS0_4lessIvEEbEEEE10hipError_tPvRmT1_T2_T3_mmT4_T5_P12ihipStream_tbEUlRKsE_EESL_SP_SQ_mSR_SU_bEUlT_E_NS1_11comp_targetILNS1_3genE4ELNS1_11target_archE910ELNS1_3gpuE8ELNS1_3repE0EEENS1_30default_config_static_selectorELNS0_4arch9wavefront6targetE0EEEvSO_,comdat
	.protected	_ZN7rocprim17ROCPRIM_400000_NS6detail17trampoline_kernelINS0_14default_configENS1_29binary_search_config_selectorIsbEEZNS1_14transform_implILb0ES3_S5_N6thrust23THRUST_200600_302600_NS17counting_iteratorIsNS8_11use_defaultESA_SA_EEPbZNS1_13binary_searchIS3_S5_PsSB_SC_NS1_16binary_search_opENS8_6detail16wrapped_functionINS0_4lessIvEEbEEEE10hipError_tPvRmT1_T2_T3_mmT4_T5_P12ihipStream_tbEUlRKsE_EESL_SP_SQ_mSR_SU_bEUlT_E_NS1_11comp_targetILNS1_3genE4ELNS1_11target_archE910ELNS1_3gpuE8ELNS1_3repE0EEENS1_30default_config_static_selectorELNS0_4arch9wavefront6targetE0EEEvSO_ ; -- Begin function _ZN7rocprim17ROCPRIM_400000_NS6detail17trampoline_kernelINS0_14default_configENS1_29binary_search_config_selectorIsbEEZNS1_14transform_implILb0ES3_S5_N6thrust23THRUST_200600_302600_NS17counting_iteratorIsNS8_11use_defaultESA_SA_EEPbZNS1_13binary_searchIS3_S5_PsSB_SC_NS1_16binary_search_opENS8_6detail16wrapped_functionINS0_4lessIvEEbEEEE10hipError_tPvRmT1_T2_T3_mmT4_T5_P12ihipStream_tbEUlRKsE_EESL_SP_SQ_mSR_SU_bEUlT_E_NS1_11comp_targetILNS1_3genE4ELNS1_11target_archE910ELNS1_3gpuE8ELNS1_3repE0EEENS1_30default_config_static_selectorELNS0_4arch9wavefront6targetE0EEEvSO_
	.globl	_ZN7rocprim17ROCPRIM_400000_NS6detail17trampoline_kernelINS0_14default_configENS1_29binary_search_config_selectorIsbEEZNS1_14transform_implILb0ES3_S5_N6thrust23THRUST_200600_302600_NS17counting_iteratorIsNS8_11use_defaultESA_SA_EEPbZNS1_13binary_searchIS3_S5_PsSB_SC_NS1_16binary_search_opENS8_6detail16wrapped_functionINS0_4lessIvEEbEEEE10hipError_tPvRmT1_T2_T3_mmT4_T5_P12ihipStream_tbEUlRKsE_EESL_SP_SQ_mSR_SU_bEUlT_E_NS1_11comp_targetILNS1_3genE4ELNS1_11target_archE910ELNS1_3gpuE8ELNS1_3repE0EEENS1_30default_config_static_selectorELNS0_4arch9wavefront6targetE0EEEvSO_
	.p2align	8
	.type	_ZN7rocprim17ROCPRIM_400000_NS6detail17trampoline_kernelINS0_14default_configENS1_29binary_search_config_selectorIsbEEZNS1_14transform_implILb0ES3_S5_N6thrust23THRUST_200600_302600_NS17counting_iteratorIsNS8_11use_defaultESA_SA_EEPbZNS1_13binary_searchIS3_S5_PsSB_SC_NS1_16binary_search_opENS8_6detail16wrapped_functionINS0_4lessIvEEbEEEE10hipError_tPvRmT1_T2_T3_mmT4_T5_P12ihipStream_tbEUlRKsE_EESL_SP_SQ_mSR_SU_bEUlT_E_NS1_11comp_targetILNS1_3genE4ELNS1_11target_archE910ELNS1_3gpuE8ELNS1_3repE0EEENS1_30default_config_static_selectorELNS0_4arch9wavefront6targetE0EEEvSO_,@function
_ZN7rocprim17ROCPRIM_400000_NS6detail17trampoline_kernelINS0_14default_configENS1_29binary_search_config_selectorIsbEEZNS1_14transform_implILb0ES3_S5_N6thrust23THRUST_200600_302600_NS17counting_iteratorIsNS8_11use_defaultESA_SA_EEPbZNS1_13binary_searchIS3_S5_PsSB_SC_NS1_16binary_search_opENS8_6detail16wrapped_functionINS0_4lessIvEEbEEEE10hipError_tPvRmT1_T2_T3_mmT4_T5_P12ihipStream_tbEUlRKsE_EESL_SP_SQ_mSR_SU_bEUlT_E_NS1_11comp_targetILNS1_3genE4ELNS1_11target_archE910ELNS1_3gpuE8ELNS1_3repE0EEENS1_30default_config_static_selectorELNS0_4arch9wavefront6targetE0EEEvSO_: ; @_ZN7rocprim17ROCPRIM_400000_NS6detail17trampoline_kernelINS0_14default_configENS1_29binary_search_config_selectorIsbEEZNS1_14transform_implILb0ES3_S5_N6thrust23THRUST_200600_302600_NS17counting_iteratorIsNS8_11use_defaultESA_SA_EEPbZNS1_13binary_searchIS3_S5_PsSB_SC_NS1_16binary_search_opENS8_6detail16wrapped_functionINS0_4lessIvEEbEEEE10hipError_tPvRmT1_T2_T3_mmT4_T5_P12ihipStream_tbEUlRKsE_EESL_SP_SQ_mSR_SU_bEUlT_E_NS1_11comp_targetILNS1_3genE4ELNS1_11target_archE910ELNS1_3gpuE8ELNS1_3repE0EEENS1_30default_config_static_selectorELNS0_4arch9wavefront6targetE0EEEvSO_
; %bb.0:
	.section	.rodata,"a",@progbits
	.p2align	6, 0x0
	.amdhsa_kernel _ZN7rocprim17ROCPRIM_400000_NS6detail17trampoline_kernelINS0_14default_configENS1_29binary_search_config_selectorIsbEEZNS1_14transform_implILb0ES3_S5_N6thrust23THRUST_200600_302600_NS17counting_iteratorIsNS8_11use_defaultESA_SA_EEPbZNS1_13binary_searchIS3_S5_PsSB_SC_NS1_16binary_search_opENS8_6detail16wrapped_functionINS0_4lessIvEEbEEEE10hipError_tPvRmT1_T2_T3_mmT4_T5_P12ihipStream_tbEUlRKsE_EESL_SP_SQ_mSR_SU_bEUlT_E_NS1_11comp_targetILNS1_3genE4ELNS1_11target_archE910ELNS1_3gpuE8ELNS1_3repE0EEENS1_30default_config_static_selectorELNS0_4arch9wavefront6targetE0EEEvSO_
		.amdhsa_group_segment_fixed_size 0
		.amdhsa_private_segment_fixed_size 0
		.amdhsa_kernarg_size 56
		.amdhsa_user_sgpr_count 15
		.amdhsa_user_sgpr_dispatch_ptr 0
		.amdhsa_user_sgpr_queue_ptr 0
		.amdhsa_user_sgpr_kernarg_segment_ptr 1
		.amdhsa_user_sgpr_dispatch_id 0
		.amdhsa_user_sgpr_private_segment_size 0
		.amdhsa_wavefront_size32 1
		.amdhsa_uses_dynamic_stack 0
		.amdhsa_enable_private_segment 0
		.amdhsa_system_sgpr_workgroup_id_x 1
		.amdhsa_system_sgpr_workgroup_id_y 0
		.amdhsa_system_sgpr_workgroup_id_z 0
		.amdhsa_system_sgpr_workgroup_info 0
		.amdhsa_system_vgpr_workitem_id 0
		.amdhsa_next_free_vgpr 1
		.amdhsa_next_free_sgpr 1
		.amdhsa_reserve_vcc 0
		.amdhsa_float_round_mode_32 0
		.amdhsa_float_round_mode_16_64 0
		.amdhsa_float_denorm_mode_32 3
		.amdhsa_float_denorm_mode_16_64 3
		.amdhsa_dx10_clamp 1
		.amdhsa_ieee_mode 1
		.amdhsa_fp16_overflow 0
		.amdhsa_workgroup_processor_mode 1
		.amdhsa_memory_ordered 1
		.amdhsa_forward_progress 0
		.amdhsa_shared_vgpr_count 0
		.amdhsa_exception_fp_ieee_invalid_op 0
		.amdhsa_exception_fp_denorm_src 0
		.amdhsa_exception_fp_ieee_div_zero 0
		.amdhsa_exception_fp_ieee_overflow 0
		.amdhsa_exception_fp_ieee_underflow 0
		.amdhsa_exception_fp_ieee_inexact 0
		.amdhsa_exception_int_div_zero 0
	.end_amdhsa_kernel
	.section	.text._ZN7rocprim17ROCPRIM_400000_NS6detail17trampoline_kernelINS0_14default_configENS1_29binary_search_config_selectorIsbEEZNS1_14transform_implILb0ES3_S5_N6thrust23THRUST_200600_302600_NS17counting_iteratorIsNS8_11use_defaultESA_SA_EEPbZNS1_13binary_searchIS3_S5_PsSB_SC_NS1_16binary_search_opENS8_6detail16wrapped_functionINS0_4lessIvEEbEEEE10hipError_tPvRmT1_T2_T3_mmT4_T5_P12ihipStream_tbEUlRKsE_EESL_SP_SQ_mSR_SU_bEUlT_E_NS1_11comp_targetILNS1_3genE4ELNS1_11target_archE910ELNS1_3gpuE8ELNS1_3repE0EEENS1_30default_config_static_selectorELNS0_4arch9wavefront6targetE0EEEvSO_,"axG",@progbits,_ZN7rocprim17ROCPRIM_400000_NS6detail17trampoline_kernelINS0_14default_configENS1_29binary_search_config_selectorIsbEEZNS1_14transform_implILb0ES3_S5_N6thrust23THRUST_200600_302600_NS17counting_iteratorIsNS8_11use_defaultESA_SA_EEPbZNS1_13binary_searchIS3_S5_PsSB_SC_NS1_16binary_search_opENS8_6detail16wrapped_functionINS0_4lessIvEEbEEEE10hipError_tPvRmT1_T2_T3_mmT4_T5_P12ihipStream_tbEUlRKsE_EESL_SP_SQ_mSR_SU_bEUlT_E_NS1_11comp_targetILNS1_3genE4ELNS1_11target_archE910ELNS1_3gpuE8ELNS1_3repE0EEENS1_30default_config_static_selectorELNS0_4arch9wavefront6targetE0EEEvSO_,comdat
.Lfunc_end242:
	.size	_ZN7rocprim17ROCPRIM_400000_NS6detail17trampoline_kernelINS0_14default_configENS1_29binary_search_config_selectorIsbEEZNS1_14transform_implILb0ES3_S5_N6thrust23THRUST_200600_302600_NS17counting_iteratorIsNS8_11use_defaultESA_SA_EEPbZNS1_13binary_searchIS3_S5_PsSB_SC_NS1_16binary_search_opENS8_6detail16wrapped_functionINS0_4lessIvEEbEEEE10hipError_tPvRmT1_T2_T3_mmT4_T5_P12ihipStream_tbEUlRKsE_EESL_SP_SQ_mSR_SU_bEUlT_E_NS1_11comp_targetILNS1_3genE4ELNS1_11target_archE910ELNS1_3gpuE8ELNS1_3repE0EEENS1_30default_config_static_selectorELNS0_4arch9wavefront6targetE0EEEvSO_, .Lfunc_end242-_ZN7rocprim17ROCPRIM_400000_NS6detail17trampoline_kernelINS0_14default_configENS1_29binary_search_config_selectorIsbEEZNS1_14transform_implILb0ES3_S5_N6thrust23THRUST_200600_302600_NS17counting_iteratorIsNS8_11use_defaultESA_SA_EEPbZNS1_13binary_searchIS3_S5_PsSB_SC_NS1_16binary_search_opENS8_6detail16wrapped_functionINS0_4lessIvEEbEEEE10hipError_tPvRmT1_T2_T3_mmT4_T5_P12ihipStream_tbEUlRKsE_EESL_SP_SQ_mSR_SU_bEUlT_E_NS1_11comp_targetILNS1_3genE4ELNS1_11target_archE910ELNS1_3gpuE8ELNS1_3repE0EEENS1_30default_config_static_selectorELNS0_4arch9wavefront6targetE0EEEvSO_
                                        ; -- End function
	.section	.AMDGPU.csdata,"",@progbits
; Kernel info:
; codeLenInByte = 0
; NumSgprs: 0
; NumVgprs: 0
; ScratchSize: 0
; MemoryBound: 0
; FloatMode: 240
; IeeeMode: 1
; LDSByteSize: 0 bytes/workgroup (compile time only)
; SGPRBlocks: 0
; VGPRBlocks: 0
; NumSGPRsForWavesPerEU: 1
; NumVGPRsForWavesPerEU: 1
; Occupancy: 16
; WaveLimiterHint : 0
; COMPUTE_PGM_RSRC2:SCRATCH_EN: 0
; COMPUTE_PGM_RSRC2:USER_SGPR: 15
; COMPUTE_PGM_RSRC2:TRAP_HANDLER: 0
; COMPUTE_PGM_RSRC2:TGID_X_EN: 1
; COMPUTE_PGM_RSRC2:TGID_Y_EN: 0
; COMPUTE_PGM_RSRC2:TGID_Z_EN: 0
; COMPUTE_PGM_RSRC2:TIDIG_COMP_CNT: 0
	.section	.text._ZN7rocprim17ROCPRIM_400000_NS6detail17trampoline_kernelINS0_14default_configENS1_29binary_search_config_selectorIsbEEZNS1_14transform_implILb0ES3_S5_N6thrust23THRUST_200600_302600_NS17counting_iteratorIsNS8_11use_defaultESA_SA_EEPbZNS1_13binary_searchIS3_S5_PsSB_SC_NS1_16binary_search_opENS8_6detail16wrapped_functionINS0_4lessIvEEbEEEE10hipError_tPvRmT1_T2_T3_mmT4_T5_P12ihipStream_tbEUlRKsE_EESL_SP_SQ_mSR_SU_bEUlT_E_NS1_11comp_targetILNS1_3genE3ELNS1_11target_archE908ELNS1_3gpuE7ELNS1_3repE0EEENS1_30default_config_static_selectorELNS0_4arch9wavefront6targetE0EEEvSO_,"axG",@progbits,_ZN7rocprim17ROCPRIM_400000_NS6detail17trampoline_kernelINS0_14default_configENS1_29binary_search_config_selectorIsbEEZNS1_14transform_implILb0ES3_S5_N6thrust23THRUST_200600_302600_NS17counting_iteratorIsNS8_11use_defaultESA_SA_EEPbZNS1_13binary_searchIS3_S5_PsSB_SC_NS1_16binary_search_opENS8_6detail16wrapped_functionINS0_4lessIvEEbEEEE10hipError_tPvRmT1_T2_T3_mmT4_T5_P12ihipStream_tbEUlRKsE_EESL_SP_SQ_mSR_SU_bEUlT_E_NS1_11comp_targetILNS1_3genE3ELNS1_11target_archE908ELNS1_3gpuE7ELNS1_3repE0EEENS1_30default_config_static_selectorELNS0_4arch9wavefront6targetE0EEEvSO_,comdat
	.protected	_ZN7rocprim17ROCPRIM_400000_NS6detail17trampoline_kernelINS0_14default_configENS1_29binary_search_config_selectorIsbEEZNS1_14transform_implILb0ES3_S5_N6thrust23THRUST_200600_302600_NS17counting_iteratorIsNS8_11use_defaultESA_SA_EEPbZNS1_13binary_searchIS3_S5_PsSB_SC_NS1_16binary_search_opENS8_6detail16wrapped_functionINS0_4lessIvEEbEEEE10hipError_tPvRmT1_T2_T3_mmT4_T5_P12ihipStream_tbEUlRKsE_EESL_SP_SQ_mSR_SU_bEUlT_E_NS1_11comp_targetILNS1_3genE3ELNS1_11target_archE908ELNS1_3gpuE7ELNS1_3repE0EEENS1_30default_config_static_selectorELNS0_4arch9wavefront6targetE0EEEvSO_ ; -- Begin function _ZN7rocprim17ROCPRIM_400000_NS6detail17trampoline_kernelINS0_14default_configENS1_29binary_search_config_selectorIsbEEZNS1_14transform_implILb0ES3_S5_N6thrust23THRUST_200600_302600_NS17counting_iteratorIsNS8_11use_defaultESA_SA_EEPbZNS1_13binary_searchIS3_S5_PsSB_SC_NS1_16binary_search_opENS8_6detail16wrapped_functionINS0_4lessIvEEbEEEE10hipError_tPvRmT1_T2_T3_mmT4_T5_P12ihipStream_tbEUlRKsE_EESL_SP_SQ_mSR_SU_bEUlT_E_NS1_11comp_targetILNS1_3genE3ELNS1_11target_archE908ELNS1_3gpuE7ELNS1_3repE0EEENS1_30default_config_static_selectorELNS0_4arch9wavefront6targetE0EEEvSO_
	.globl	_ZN7rocprim17ROCPRIM_400000_NS6detail17trampoline_kernelINS0_14default_configENS1_29binary_search_config_selectorIsbEEZNS1_14transform_implILb0ES3_S5_N6thrust23THRUST_200600_302600_NS17counting_iteratorIsNS8_11use_defaultESA_SA_EEPbZNS1_13binary_searchIS3_S5_PsSB_SC_NS1_16binary_search_opENS8_6detail16wrapped_functionINS0_4lessIvEEbEEEE10hipError_tPvRmT1_T2_T3_mmT4_T5_P12ihipStream_tbEUlRKsE_EESL_SP_SQ_mSR_SU_bEUlT_E_NS1_11comp_targetILNS1_3genE3ELNS1_11target_archE908ELNS1_3gpuE7ELNS1_3repE0EEENS1_30default_config_static_selectorELNS0_4arch9wavefront6targetE0EEEvSO_
	.p2align	8
	.type	_ZN7rocprim17ROCPRIM_400000_NS6detail17trampoline_kernelINS0_14default_configENS1_29binary_search_config_selectorIsbEEZNS1_14transform_implILb0ES3_S5_N6thrust23THRUST_200600_302600_NS17counting_iteratorIsNS8_11use_defaultESA_SA_EEPbZNS1_13binary_searchIS3_S5_PsSB_SC_NS1_16binary_search_opENS8_6detail16wrapped_functionINS0_4lessIvEEbEEEE10hipError_tPvRmT1_T2_T3_mmT4_T5_P12ihipStream_tbEUlRKsE_EESL_SP_SQ_mSR_SU_bEUlT_E_NS1_11comp_targetILNS1_3genE3ELNS1_11target_archE908ELNS1_3gpuE7ELNS1_3repE0EEENS1_30default_config_static_selectorELNS0_4arch9wavefront6targetE0EEEvSO_,@function
_ZN7rocprim17ROCPRIM_400000_NS6detail17trampoline_kernelINS0_14default_configENS1_29binary_search_config_selectorIsbEEZNS1_14transform_implILb0ES3_S5_N6thrust23THRUST_200600_302600_NS17counting_iteratorIsNS8_11use_defaultESA_SA_EEPbZNS1_13binary_searchIS3_S5_PsSB_SC_NS1_16binary_search_opENS8_6detail16wrapped_functionINS0_4lessIvEEbEEEE10hipError_tPvRmT1_T2_T3_mmT4_T5_P12ihipStream_tbEUlRKsE_EESL_SP_SQ_mSR_SU_bEUlT_E_NS1_11comp_targetILNS1_3genE3ELNS1_11target_archE908ELNS1_3gpuE7ELNS1_3repE0EEENS1_30default_config_static_selectorELNS0_4arch9wavefront6targetE0EEEvSO_: ; @_ZN7rocprim17ROCPRIM_400000_NS6detail17trampoline_kernelINS0_14default_configENS1_29binary_search_config_selectorIsbEEZNS1_14transform_implILb0ES3_S5_N6thrust23THRUST_200600_302600_NS17counting_iteratorIsNS8_11use_defaultESA_SA_EEPbZNS1_13binary_searchIS3_S5_PsSB_SC_NS1_16binary_search_opENS8_6detail16wrapped_functionINS0_4lessIvEEbEEEE10hipError_tPvRmT1_T2_T3_mmT4_T5_P12ihipStream_tbEUlRKsE_EESL_SP_SQ_mSR_SU_bEUlT_E_NS1_11comp_targetILNS1_3genE3ELNS1_11target_archE908ELNS1_3gpuE7ELNS1_3repE0EEENS1_30default_config_static_selectorELNS0_4arch9wavefront6targetE0EEEvSO_
; %bb.0:
	.section	.rodata,"a",@progbits
	.p2align	6, 0x0
	.amdhsa_kernel _ZN7rocprim17ROCPRIM_400000_NS6detail17trampoline_kernelINS0_14default_configENS1_29binary_search_config_selectorIsbEEZNS1_14transform_implILb0ES3_S5_N6thrust23THRUST_200600_302600_NS17counting_iteratorIsNS8_11use_defaultESA_SA_EEPbZNS1_13binary_searchIS3_S5_PsSB_SC_NS1_16binary_search_opENS8_6detail16wrapped_functionINS0_4lessIvEEbEEEE10hipError_tPvRmT1_T2_T3_mmT4_T5_P12ihipStream_tbEUlRKsE_EESL_SP_SQ_mSR_SU_bEUlT_E_NS1_11comp_targetILNS1_3genE3ELNS1_11target_archE908ELNS1_3gpuE7ELNS1_3repE0EEENS1_30default_config_static_selectorELNS0_4arch9wavefront6targetE0EEEvSO_
		.amdhsa_group_segment_fixed_size 0
		.amdhsa_private_segment_fixed_size 0
		.amdhsa_kernarg_size 56
		.amdhsa_user_sgpr_count 15
		.amdhsa_user_sgpr_dispatch_ptr 0
		.amdhsa_user_sgpr_queue_ptr 0
		.amdhsa_user_sgpr_kernarg_segment_ptr 1
		.amdhsa_user_sgpr_dispatch_id 0
		.amdhsa_user_sgpr_private_segment_size 0
		.amdhsa_wavefront_size32 1
		.amdhsa_uses_dynamic_stack 0
		.amdhsa_enable_private_segment 0
		.amdhsa_system_sgpr_workgroup_id_x 1
		.amdhsa_system_sgpr_workgroup_id_y 0
		.amdhsa_system_sgpr_workgroup_id_z 0
		.amdhsa_system_sgpr_workgroup_info 0
		.amdhsa_system_vgpr_workitem_id 0
		.amdhsa_next_free_vgpr 1
		.amdhsa_next_free_sgpr 1
		.amdhsa_reserve_vcc 0
		.amdhsa_float_round_mode_32 0
		.amdhsa_float_round_mode_16_64 0
		.amdhsa_float_denorm_mode_32 3
		.amdhsa_float_denorm_mode_16_64 3
		.amdhsa_dx10_clamp 1
		.amdhsa_ieee_mode 1
		.amdhsa_fp16_overflow 0
		.amdhsa_workgroup_processor_mode 1
		.amdhsa_memory_ordered 1
		.amdhsa_forward_progress 0
		.amdhsa_shared_vgpr_count 0
		.amdhsa_exception_fp_ieee_invalid_op 0
		.amdhsa_exception_fp_denorm_src 0
		.amdhsa_exception_fp_ieee_div_zero 0
		.amdhsa_exception_fp_ieee_overflow 0
		.amdhsa_exception_fp_ieee_underflow 0
		.amdhsa_exception_fp_ieee_inexact 0
		.amdhsa_exception_int_div_zero 0
	.end_amdhsa_kernel
	.section	.text._ZN7rocprim17ROCPRIM_400000_NS6detail17trampoline_kernelINS0_14default_configENS1_29binary_search_config_selectorIsbEEZNS1_14transform_implILb0ES3_S5_N6thrust23THRUST_200600_302600_NS17counting_iteratorIsNS8_11use_defaultESA_SA_EEPbZNS1_13binary_searchIS3_S5_PsSB_SC_NS1_16binary_search_opENS8_6detail16wrapped_functionINS0_4lessIvEEbEEEE10hipError_tPvRmT1_T2_T3_mmT4_T5_P12ihipStream_tbEUlRKsE_EESL_SP_SQ_mSR_SU_bEUlT_E_NS1_11comp_targetILNS1_3genE3ELNS1_11target_archE908ELNS1_3gpuE7ELNS1_3repE0EEENS1_30default_config_static_selectorELNS0_4arch9wavefront6targetE0EEEvSO_,"axG",@progbits,_ZN7rocprim17ROCPRIM_400000_NS6detail17trampoline_kernelINS0_14default_configENS1_29binary_search_config_selectorIsbEEZNS1_14transform_implILb0ES3_S5_N6thrust23THRUST_200600_302600_NS17counting_iteratorIsNS8_11use_defaultESA_SA_EEPbZNS1_13binary_searchIS3_S5_PsSB_SC_NS1_16binary_search_opENS8_6detail16wrapped_functionINS0_4lessIvEEbEEEE10hipError_tPvRmT1_T2_T3_mmT4_T5_P12ihipStream_tbEUlRKsE_EESL_SP_SQ_mSR_SU_bEUlT_E_NS1_11comp_targetILNS1_3genE3ELNS1_11target_archE908ELNS1_3gpuE7ELNS1_3repE0EEENS1_30default_config_static_selectorELNS0_4arch9wavefront6targetE0EEEvSO_,comdat
.Lfunc_end243:
	.size	_ZN7rocprim17ROCPRIM_400000_NS6detail17trampoline_kernelINS0_14default_configENS1_29binary_search_config_selectorIsbEEZNS1_14transform_implILb0ES3_S5_N6thrust23THRUST_200600_302600_NS17counting_iteratorIsNS8_11use_defaultESA_SA_EEPbZNS1_13binary_searchIS3_S5_PsSB_SC_NS1_16binary_search_opENS8_6detail16wrapped_functionINS0_4lessIvEEbEEEE10hipError_tPvRmT1_T2_T3_mmT4_T5_P12ihipStream_tbEUlRKsE_EESL_SP_SQ_mSR_SU_bEUlT_E_NS1_11comp_targetILNS1_3genE3ELNS1_11target_archE908ELNS1_3gpuE7ELNS1_3repE0EEENS1_30default_config_static_selectorELNS0_4arch9wavefront6targetE0EEEvSO_, .Lfunc_end243-_ZN7rocprim17ROCPRIM_400000_NS6detail17trampoline_kernelINS0_14default_configENS1_29binary_search_config_selectorIsbEEZNS1_14transform_implILb0ES3_S5_N6thrust23THRUST_200600_302600_NS17counting_iteratorIsNS8_11use_defaultESA_SA_EEPbZNS1_13binary_searchIS3_S5_PsSB_SC_NS1_16binary_search_opENS8_6detail16wrapped_functionINS0_4lessIvEEbEEEE10hipError_tPvRmT1_T2_T3_mmT4_T5_P12ihipStream_tbEUlRKsE_EESL_SP_SQ_mSR_SU_bEUlT_E_NS1_11comp_targetILNS1_3genE3ELNS1_11target_archE908ELNS1_3gpuE7ELNS1_3repE0EEENS1_30default_config_static_selectorELNS0_4arch9wavefront6targetE0EEEvSO_
                                        ; -- End function
	.section	.AMDGPU.csdata,"",@progbits
; Kernel info:
; codeLenInByte = 0
; NumSgprs: 0
; NumVgprs: 0
; ScratchSize: 0
; MemoryBound: 0
; FloatMode: 240
; IeeeMode: 1
; LDSByteSize: 0 bytes/workgroup (compile time only)
; SGPRBlocks: 0
; VGPRBlocks: 0
; NumSGPRsForWavesPerEU: 1
; NumVGPRsForWavesPerEU: 1
; Occupancy: 16
; WaveLimiterHint : 0
; COMPUTE_PGM_RSRC2:SCRATCH_EN: 0
; COMPUTE_PGM_RSRC2:USER_SGPR: 15
; COMPUTE_PGM_RSRC2:TRAP_HANDLER: 0
; COMPUTE_PGM_RSRC2:TGID_X_EN: 1
; COMPUTE_PGM_RSRC2:TGID_Y_EN: 0
; COMPUTE_PGM_RSRC2:TGID_Z_EN: 0
; COMPUTE_PGM_RSRC2:TIDIG_COMP_CNT: 0
	.section	.text._ZN7rocprim17ROCPRIM_400000_NS6detail17trampoline_kernelINS0_14default_configENS1_29binary_search_config_selectorIsbEEZNS1_14transform_implILb0ES3_S5_N6thrust23THRUST_200600_302600_NS17counting_iteratorIsNS8_11use_defaultESA_SA_EEPbZNS1_13binary_searchIS3_S5_PsSB_SC_NS1_16binary_search_opENS8_6detail16wrapped_functionINS0_4lessIvEEbEEEE10hipError_tPvRmT1_T2_T3_mmT4_T5_P12ihipStream_tbEUlRKsE_EESL_SP_SQ_mSR_SU_bEUlT_E_NS1_11comp_targetILNS1_3genE2ELNS1_11target_archE906ELNS1_3gpuE6ELNS1_3repE0EEENS1_30default_config_static_selectorELNS0_4arch9wavefront6targetE0EEEvSO_,"axG",@progbits,_ZN7rocprim17ROCPRIM_400000_NS6detail17trampoline_kernelINS0_14default_configENS1_29binary_search_config_selectorIsbEEZNS1_14transform_implILb0ES3_S5_N6thrust23THRUST_200600_302600_NS17counting_iteratorIsNS8_11use_defaultESA_SA_EEPbZNS1_13binary_searchIS3_S5_PsSB_SC_NS1_16binary_search_opENS8_6detail16wrapped_functionINS0_4lessIvEEbEEEE10hipError_tPvRmT1_T2_T3_mmT4_T5_P12ihipStream_tbEUlRKsE_EESL_SP_SQ_mSR_SU_bEUlT_E_NS1_11comp_targetILNS1_3genE2ELNS1_11target_archE906ELNS1_3gpuE6ELNS1_3repE0EEENS1_30default_config_static_selectorELNS0_4arch9wavefront6targetE0EEEvSO_,comdat
	.protected	_ZN7rocprim17ROCPRIM_400000_NS6detail17trampoline_kernelINS0_14default_configENS1_29binary_search_config_selectorIsbEEZNS1_14transform_implILb0ES3_S5_N6thrust23THRUST_200600_302600_NS17counting_iteratorIsNS8_11use_defaultESA_SA_EEPbZNS1_13binary_searchIS3_S5_PsSB_SC_NS1_16binary_search_opENS8_6detail16wrapped_functionINS0_4lessIvEEbEEEE10hipError_tPvRmT1_T2_T3_mmT4_T5_P12ihipStream_tbEUlRKsE_EESL_SP_SQ_mSR_SU_bEUlT_E_NS1_11comp_targetILNS1_3genE2ELNS1_11target_archE906ELNS1_3gpuE6ELNS1_3repE0EEENS1_30default_config_static_selectorELNS0_4arch9wavefront6targetE0EEEvSO_ ; -- Begin function _ZN7rocprim17ROCPRIM_400000_NS6detail17trampoline_kernelINS0_14default_configENS1_29binary_search_config_selectorIsbEEZNS1_14transform_implILb0ES3_S5_N6thrust23THRUST_200600_302600_NS17counting_iteratorIsNS8_11use_defaultESA_SA_EEPbZNS1_13binary_searchIS3_S5_PsSB_SC_NS1_16binary_search_opENS8_6detail16wrapped_functionINS0_4lessIvEEbEEEE10hipError_tPvRmT1_T2_T3_mmT4_T5_P12ihipStream_tbEUlRKsE_EESL_SP_SQ_mSR_SU_bEUlT_E_NS1_11comp_targetILNS1_3genE2ELNS1_11target_archE906ELNS1_3gpuE6ELNS1_3repE0EEENS1_30default_config_static_selectorELNS0_4arch9wavefront6targetE0EEEvSO_
	.globl	_ZN7rocprim17ROCPRIM_400000_NS6detail17trampoline_kernelINS0_14default_configENS1_29binary_search_config_selectorIsbEEZNS1_14transform_implILb0ES3_S5_N6thrust23THRUST_200600_302600_NS17counting_iteratorIsNS8_11use_defaultESA_SA_EEPbZNS1_13binary_searchIS3_S5_PsSB_SC_NS1_16binary_search_opENS8_6detail16wrapped_functionINS0_4lessIvEEbEEEE10hipError_tPvRmT1_T2_T3_mmT4_T5_P12ihipStream_tbEUlRKsE_EESL_SP_SQ_mSR_SU_bEUlT_E_NS1_11comp_targetILNS1_3genE2ELNS1_11target_archE906ELNS1_3gpuE6ELNS1_3repE0EEENS1_30default_config_static_selectorELNS0_4arch9wavefront6targetE0EEEvSO_
	.p2align	8
	.type	_ZN7rocprim17ROCPRIM_400000_NS6detail17trampoline_kernelINS0_14default_configENS1_29binary_search_config_selectorIsbEEZNS1_14transform_implILb0ES3_S5_N6thrust23THRUST_200600_302600_NS17counting_iteratorIsNS8_11use_defaultESA_SA_EEPbZNS1_13binary_searchIS3_S5_PsSB_SC_NS1_16binary_search_opENS8_6detail16wrapped_functionINS0_4lessIvEEbEEEE10hipError_tPvRmT1_T2_T3_mmT4_T5_P12ihipStream_tbEUlRKsE_EESL_SP_SQ_mSR_SU_bEUlT_E_NS1_11comp_targetILNS1_3genE2ELNS1_11target_archE906ELNS1_3gpuE6ELNS1_3repE0EEENS1_30default_config_static_selectorELNS0_4arch9wavefront6targetE0EEEvSO_,@function
_ZN7rocprim17ROCPRIM_400000_NS6detail17trampoline_kernelINS0_14default_configENS1_29binary_search_config_selectorIsbEEZNS1_14transform_implILb0ES3_S5_N6thrust23THRUST_200600_302600_NS17counting_iteratorIsNS8_11use_defaultESA_SA_EEPbZNS1_13binary_searchIS3_S5_PsSB_SC_NS1_16binary_search_opENS8_6detail16wrapped_functionINS0_4lessIvEEbEEEE10hipError_tPvRmT1_T2_T3_mmT4_T5_P12ihipStream_tbEUlRKsE_EESL_SP_SQ_mSR_SU_bEUlT_E_NS1_11comp_targetILNS1_3genE2ELNS1_11target_archE906ELNS1_3gpuE6ELNS1_3repE0EEENS1_30default_config_static_selectorELNS0_4arch9wavefront6targetE0EEEvSO_: ; @_ZN7rocprim17ROCPRIM_400000_NS6detail17trampoline_kernelINS0_14default_configENS1_29binary_search_config_selectorIsbEEZNS1_14transform_implILb0ES3_S5_N6thrust23THRUST_200600_302600_NS17counting_iteratorIsNS8_11use_defaultESA_SA_EEPbZNS1_13binary_searchIS3_S5_PsSB_SC_NS1_16binary_search_opENS8_6detail16wrapped_functionINS0_4lessIvEEbEEEE10hipError_tPvRmT1_T2_T3_mmT4_T5_P12ihipStream_tbEUlRKsE_EESL_SP_SQ_mSR_SU_bEUlT_E_NS1_11comp_targetILNS1_3genE2ELNS1_11target_archE906ELNS1_3gpuE6ELNS1_3repE0EEENS1_30default_config_static_selectorELNS0_4arch9wavefront6targetE0EEEvSO_
; %bb.0:
	.section	.rodata,"a",@progbits
	.p2align	6, 0x0
	.amdhsa_kernel _ZN7rocprim17ROCPRIM_400000_NS6detail17trampoline_kernelINS0_14default_configENS1_29binary_search_config_selectorIsbEEZNS1_14transform_implILb0ES3_S5_N6thrust23THRUST_200600_302600_NS17counting_iteratorIsNS8_11use_defaultESA_SA_EEPbZNS1_13binary_searchIS3_S5_PsSB_SC_NS1_16binary_search_opENS8_6detail16wrapped_functionINS0_4lessIvEEbEEEE10hipError_tPvRmT1_T2_T3_mmT4_T5_P12ihipStream_tbEUlRKsE_EESL_SP_SQ_mSR_SU_bEUlT_E_NS1_11comp_targetILNS1_3genE2ELNS1_11target_archE906ELNS1_3gpuE6ELNS1_3repE0EEENS1_30default_config_static_selectorELNS0_4arch9wavefront6targetE0EEEvSO_
		.amdhsa_group_segment_fixed_size 0
		.amdhsa_private_segment_fixed_size 0
		.amdhsa_kernarg_size 56
		.amdhsa_user_sgpr_count 15
		.amdhsa_user_sgpr_dispatch_ptr 0
		.amdhsa_user_sgpr_queue_ptr 0
		.amdhsa_user_sgpr_kernarg_segment_ptr 1
		.amdhsa_user_sgpr_dispatch_id 0
		.amdhsa_user_sgpr_private_segment_size 0
		.amdhsa_wavefront_size32 1
		.amdhsa_uses_dynamic_stack 0
		.amdhsa_enable_private_segment 0
		.amdhsa_system_sgpr_workgroup_id_x 1
		.amdhsa_system_sgpr_workgroup_id_y 0
		.amdhsa_system_sgpr_workgroup_id_z 0
		.amdhsa_system_sgpr_workgroup_info 0
		.amdhsa_system_vgpr_workitem_id 0
		.amdhsa_next_free_vgpr 1
		.amdhsa_next_free_sgpr 1
		.amdhsa_reserve_vcc 0
		.amdhsa_float_round_mode_32 0
		.amdhsa_float_round_mode_16_64 0
		.amdhsa_float_denorm_mode_32 3
		.amdhsa_float_denorm_mode_16_64 3
		.amdhsa_dx10_clamp 1
		.amdhsa_ieee_mode 1
		.amdhsa_fp16_overflow 0
		.amdhsa_workgroup_processor_mode 1
		.amdhsa_memory_ordered 1
		.amdhsa_forward_progress 0
		.amdhsa_shared_vgpr_count 0
		.amdhsa_exception_fp_ieee_invalid_op 0
		.amdhsa_exception_fp_denorm_src 0
		.amdhsa_exception_fp_ieee_div_zero 0
		.amdhsa_exception_fp_ieee_overflow 0
		.amdhsa_exception_fp_ieee_underflow 0
		.amdhsa_exception_fp_ieee_inexact 0
		.amdhsa_exception_int_div_zero 0
	.end_amdhsa_kernel
	.section	.text._ZN7rocprim17ROCPRIM_400000_NS6detail17trampoline_kernelINS0_14default_configENS1_29binary_search_config_selectorIsbEEZNS1_14transform_implILb0ES3_S5_N6thrust23THRUST_200600_302600_NS17counting_iteratorIsNS8_11use_defaultESA_SA_EEPbZNS1_13binary_searchIS3_S5_PsSB_SC_NS1_16binary_search_opENS8_6detail16wrapped_functionINS0_4lessIvEEbEEEE10hipError_tPvRmT1_T2_T3_mmT4_T5_P12ihipStream_tbEUlRKsE_EESL_SP_SQ_mSR_SU_bEUlT_E_NS1_11comp_targetILNS1_3genE2ELNS1_11target_archE906ELNS1_3gpuE6ELNS1_3repE0EEENS1_30default_config_static_selectorELNS0_4arch9wavefront6targetE0EEEvSO_,"axG",@progbits,_ZN7rocprim17ROCPRIM_400000_NS6detail17trampoline_kernelINS0_14default_configENS1_29binary_search_config_selectorIsbEEZNS1_14transform_implILb0ES3_S5_N6thrust23THRUST_200600_302600_NS17counting_iteratorIsNS8_11use_defaultESA_SA_EEPbZNS1_13binary_searchIS3_S5_PsSB_SC_NS1_16binary_search_opENS8_6detail16wrapped_functionINS0_4lessIvEEbEEEE10hipError_tPvRmT1_T2_T3_mmT4_T5_P12ihipStream_tbEUlRKsE_EESL_SP_SQ_mSR_SU_bEUlT_E_NS1_11comp_targetILNS1_3genE2ELNS1_11target_archE906ELNS1_3gpuE6ELNS1_3repE0EEENS1_30default_config_static_selectorELNS0_4arch9wavefront6targetE0EEEvSO_,comdat
.Lfunc_end244:
	.size	_ZN7rocprim17ROCPRIM_400000_NS6detail17trampoline_kernelINS0_14default_configENS1_29binary_search_config_selectorIsbEEZNS1_14transform_implILb0ES3_S5_N6thrust23THRUST_200600_302600_NS17counting_iteratorIsNS8_11use_defaultESA_SA_EEPbZNS1_13binary_searchIS3_S5_PsSB_SC_NS1_16binary_search_opENS8_6detail16wrapped_functionINS0_4lessIvEEbEEEE10hipError_tPvRmT1_T2_T3_mmT4_T5_P12ihipStream_tbEUlRKsE_EESL_SP_SQ_mSR_SU_bEUlT_E_NS1_11comp_targetILNS1_3genE2ELNS1_11target_archE906ELNS1_3gpuE6ELNS1_3repE0EEENS1_30default_config_static_selectorELNS0_4arch9wavefront6targetE0EEEvSO_, .Lfunc_end244-_ZN7rocprim17ROCPRIM_400000_NS6detail17trampoline_kernelINS0_14default_configENS1_29binary_search_config_selectorIsbEEZNS1_14transform_implILb0ES3_S5_N6thrust23THRUST_200600_302600_NS17counting_iteratorIsNS8_11use_defaultESA_SA_EEPbZNS1_13binary_searchIS3_S5_PsSB_SC_NS1_16binary_search_opENS8_6detail16wrapped_functionINS0_4lessIvEEbEEEE10hipError_tPvRmT1_T2_T3_mmT4_T5_P12ihipStream_tbEUlRKsE_EESL_SP_SQ_mSR_SU_bEUlT_E_NS1_11comp_targetILNS1_3genE2ELNS1_11target_archE906ELNS1_3gpuE6ELNS1_3repE0EEENS1_30default_config_static_selectorELNS0_4arch9wavefront6targetE0EEEvSO_
                                        ; -- End function
	.section	.AMDGPU.csdata,"",@progbits
; Kernel info:
; codeLenInByte = 0
; NumSgprs: 0
; NumVgprs: 0
; ScratchSize: 0
; MemoryBound: 0
; FloatMode: 240
; IeeeMode: 1
; LDSByteSize: 0 bytes/workgroup (compile time only)
; SGPRBlocks: 0
; VGPRBlocks: 0
; NumSGPRsForWavesPerEU: 1
; NumVGPRsForWavesPerEU: 1
; Occupancy: 16
; WaveLimiterHint : 0
; COMPUTE_PGM_RSRC2:SCRATCH_EN: 0
; COMPUTE_PGM_RSRC2:USER_SGPR: 15
; COMPUTE_PGM_RSRC2:TRAP_HANDLER: 0
; COMPUTE_PGM_RSRC2:TGID_X_EN: 1
; COMPUTE_PGM_RSRC2:TGID_Y_EN: 0
; COMPUTE_PGM_RSRC2:TGID_Z_EN: 0
; COMPUTE_PGM_RSRC2:TIDIG_COMP_CNT: 0
	.section	.text._ZN7rocprim17ROCPRIM_400000_NS6detail17trampoline_kernelINS0_14default_configENS1_29binary_search_config_selectorIsbEEZNS1_14transform_implILb0ES3_S5_N6thrust23THRUST_200600_302600_NS17counting_iteratorIsNS8_11use_defaultESA_SA_EEPbZNS1_13binary_searchIS3_S5_PsSB_SC_NS1_16binary_search_opENS8_6detail16wrapped_functionINS0_4lessIvEEbEEEE10hipError_tPvRmT1_T2_T3_mmT4_T5_P12ihipStream_tbEUlRKsE_EESL_SP_SQ_mSR_SU_bEUlT_E_NS1_11comp_targetILNS1_3genE10ELNS1_11target_archE1201ELNS1_3gpuE5ELNS1_3repE0EEENS1_30default_config_static_selectorELNS0_4arch9wavefront6targetE0EEEvSO_,"axG",@progbits,_ZN7rocprim17ROCPRIM_400000_NS6detail17trampoline_kernelINS0_14default_configENS1_29binary_search_config_selectorIsbEEZNS1_14transform_implILb0ES3_S5_N6thrust23THRUST_200600_302600_NS17counting_iteratorIsNS8_11use_defaultESA_SA_EEPbZNS1_13binary_searchIS3_S5_PsSB_SC_NS1_16binary_search_opENS8_6detail16wrapped_functionINS0_4lessIvEEbEEEE10hipError_tPvRmT1_T2_T3_mmT4_T5_P12ihipStream_tbEUlRKsE_EESL_SP_SQ_mSR_SU_bEUlT_E_NS1_11comp_targetILNS1_3genE10ELNS1_11target_archE1201ELNS1_3gpuE5ELNS1_3repE0EEENS1_30default_config_static_selectorELNS0_4arch9wavefront6targetE0EEEvSO_,comdat
	.protected	_ZN7rocprim17ROCPRIM_400000_NS6detail17trampoline_kernelINS0_14default_configENS1_29binary_search_config_selectorIsbEEZNS1_14transform_implILb0ES3_S5_N6thrust23THRUST_200600_302600_NS17counting_iteratorIsNS8_11use_defaultESA_SA_EEPbZNS1_13binary_searchIS3_S5_PsSB_SC_NS1_16binary_search_opENS8_6detail16wrapped_functionINS0_4lessIvEEbEEEE10hipError_tPvRmT1_T2_T3_mmT4_T5_P12ihipStream_tbEUlRKsE_EESL_SP_SQ_mSR_SU_bEUlT_E_NS1_11comp_targetILNS1_3genE10ELNS1_11target_archE1201ELNS1_3gpuE5ELNS1_3repE0EEENS1_30default_config_static_selectorELNS0_4arch9wavefront6targetE0EEEvSO_ ; -- Begin function _ZN7rocprim17ROCPRIM_400000_NS6detail17trampoline_kernelINS0_14default_configENS1_29binary_search_config_selectorIsbEEZNS1_14transform_implILb0ES3_S5_N6thrust23THRUST_200600_302600_NS17counting_iteratorIsNS8_11use_defaultESA_SA_EEPbZNS1_13binary_searchIS3_S5_PsSB_SC_NS1_16binary_search_opENS8_6detail16wrapped_functionINS0_4lessIvEEbEEEE10hipError_tPvRmT1_T2_T3_mmT4_T5_P12ihipStream_tbEUlRKsE_EESL_SP_SQ_mSR_SU_bEUlT_E_NS1_11comp_targetILNS1_3genE10ELNS1_11target_archE1201ELNS1_3gpuE5ELNS1_3repE0EEENS1_30default_config_static_selectorELNS0_4arch9wavefront6targetE0EEEvSO_
	.globl	_ZN7rocprim17ROCPRIM_400000_NS6detail17trampoline_kernelINS0_14default_configENS1_29binary_search_config_selectorIsbEEZNS1_14transform_implILb0ES3_S5_N6thrust23THRUST_200600_302600_NS17counting_iteratorIsNS8_11use_defaultESA_SA_EEPbZNS1_13binary_searchIS3_S5_PsSB_SC_NS1_16binary_search_opENS8_6detail16wrapped_functionINS0_4lessIvEEbEEEE10hipError_tPvRmT1_T2_T3_mmT4_T5_P12ihipStream_tbEUlRKsE_EESL_SP_SQ_mSR_SU_bEUlT_E_NS1_11comp_targetILNS1_3genE10ELNS1_11target_archE1201ELNS1_3gpuE5ELNS1_3repE0EEENS1_30default_config_static_selectorELNS0_4arch9wavefront6targetE0EEEvSO_
	.p2align	8
	.type	_ZN7rocprim17ROCPRIM_400000_NS6detail17trampoline_kernelINS0_14default_configENS1_29binary_search_config_selectorIsbEEZNS1_14transform_implILb0ES3_S5_N6thrust23THRUST_200600_302600_NS17counting_iteratorIsNS8_11use_defaultESA_SA_EEPbZNS1_13binary_searchIS3_S5_PsSB_SC_NS1_16binary_search_opENS8_6detail16wrapped_functionINS0_4lessIvEEbEEEE10hipError_tPvRmT1_T2_T3_mmT4_T5_P12ihipStream_tbEUlRKsE_EESL_SP_SQ_mSR_SU_bEUlT_E_NS1_11comp_targetILNS1_3genE10ELNS1_11target_archE1201ELNS1_3gpuE5ELNS1_3repE0EEENS1_30default_config_static_selectorELNS0_4arch9wavefront6targetE0EEEvSO_,@function
_ZN7rocprim17ROCPRIM_400000_NS6detail17trampoline_kernelINS0_14default_configENS1_29binary_search_config_selectorIsbEEZNS1_14transform_implILb0ES3_S5_N6thrust23THRUST_200600_302600_NS17counting_iteratorIsNS8_11use_defaultESA_SA_EEPbZNS1_13binary_searchIS3_S5_PsSB_SC_NS1_16binary_search_opENS8_6detail16wrapped_functionINS0_4lessIvEEbEEEE10hipError_tPvRmT1_T2_T3_mmT4_T5_P12ihipStream_tbEUlRKsE_EESL_SP_SQ_mSR_SU_bEUlT_E_NS1_11comp_targetILNS1_3genE10ELNS1_11target_archE1201ELNS1_3gpuE5ELNS1_3repE0EEENS1_30default_config_static_selectorELNS0_4arch9wavefront6targetE0EEEvSO_: ; @_ZN7rocprim17ROCPRIM_400000_NS6detail17trampoline_kernelINS0_14default_configENS1_29binary_search_config_selectorIsbEEZNS1_14transform_implILb0ES3_S5_N6thrust23THRUST_200600_302600_NS17counting_iteratorIsNS8_11use_defaultESA_SA_EEPbZNS1_13binary_searchIS3_S5_PsSB_SC_NS1_16binary_search_opENS8_6detail16wrapped_functionINS0_4lessIvEEbEEEE10hipError_tPvRmT1_T2_T3_mmT4_T5_P12ihipStream_tbEUlRKsE_EESL_SP_SQ_mSR_SU_bEUlT_E_NS1_11comp_targetILNS1_3genE10ELNS1_11target_archE1201ELNS1_3gpuE5ELNS1_3repE0EEENS1_30default_config_static_selectorELNS0_4arch9wavefront6targetE0EEEvSO_
; %bb.0:
	.section	.rodata,"a",@progbits
	.p2align	6, 0x0
	.amdhsa_kernel _ZN7rocprim17ROCPRIM_400000_NS6detail17trampoline_kernelINS0_14default_configENS1_29binary_search_config_selectorIsbEEZNS1_14transform_implILb0ES3_S5_N6thrust23THRUST_200600_302600_NS17counting_iteratorIsNS8_11use_defaultESA_SA_EEPbZNS1_13binary_searchIS3_S5_PsSB_SC_NS1_16binary_search_opENS8_6detail16wrapped_functionINS0_4lessIvEEbEEEE10hipError_tPvRmT1_T2_T3_mmT4_T5_P12ihipStream_tbEUlRKsE_EESL_SP_SQ_mSR_SU_bEUlT_E_NS1_11comp_targetILNS1_3genE10ELNS1_11target_archE1201ELNS1_3gpuE5ELNS1_3repE0EEENS1_30default_config_static_selectorELNS0_4arch9wavefront6targetE0EEEvSO_
		.amdhsa_group_segment_fixed_size 0
		.amdhsa_private_segment_fixed_size 0
		.amdhsa_kernarg_size 56
		.amdhsa_user_sgpr_count 15
		.amdhsa_user_sgpr_dispatch_ptr 0
		.amdhsa_user_sgpr_queue_ptr 0
		.amdhsa_user_sgpr_kernarg_segment_ptr 1
		.amdhsa_user_sgpr_dispatch_id 0
		.amdhsa_user_sgpr_private_segment_size 0
		.amdhsa_wavefront_size32 1
		.amdhsa_uses_dynamic_stack 0
		.amdhsa_enable_private_segment 0
		.amdhsa_system_sgpr_workgroup_id_x 1
		.amdhsa_system_sgpr_workgroup_id_y 0
		.amdhsa_system_sgpr_workgroup_id_z 0
		.amdhsa_system_sgpr_workgroup_info 0
		.amdhsa_system_vgpr_workitem_id 0
		.amdhsa_next_free_vgpr 1
		.amdhsa_next_free_sgpr 1
		.amdhsa_reserve_vcc 0
		.amdhsa_float_round_mode_32 0
		.amdhsa_float_round_mode_16_64 0
		.amdhsa_float_denorm_mode_32 3
		.amdhsa_float_denorm_mode_16_64 3
		.amdhsa_dx10_clamp 1
		.amdhsa_ieee_mode 1
		.amdhsa_fp16_overflow 0
		.amdhsa_workgroup_processor_mode 1
		.amdhsa_memory_ordered 1
		.amdhsa_forward_progress 0
		.amdhsa_shared_vgpr_count 0
		.amdhsa_exception_fp_ieee_invalid_op 0
		.amdhsa_exception_fp_denorm_src 0
		.amdhsa_exception_fp_ieee_div_zero 0
		.amdhsa_exception_fp_ieee_overflow 0
		.amdhsa_exception_fp_ieee_underflow 0
		.amdhsa_exception_fp_ieee_inexact 0
		.amdhsa_exception_int_div_zero 0
	.end_amdhsa_kernel
	.section	.text._ZN7rocprim17ROCPRIM_400000_NS6detail17trampoline_kernelINS0_14default_configENS1_29binary_search_config_selectorIsbEEZNS1_14transform_implILb0ES3_S5_N6thrust23THRUST_200600_302600_NS17counting_iteratorIsNS8_11use_defaultESA_SA_EEPbZNS1_13binary_searchIS3_S5_PsSB_SC_NS1_16binary_search_opENS8_6detail16wrapped_functionINS0_4lessIvEEbEEEE10hipError_tPvRmT1_T2_T3_mmT4_T5_P12ihipStream_tbEUlRKsE_EESL_SP_SQ_mSR_SU_bEUlT_E_NS1_11comp_targetILNS1_3genE10ELNS1_11target_archE1201ELNS1_3gpuE5ELNS1_3repE0EEENS1_30default_config_static_selectorELNS0_4arch9wavefront6targetE0EEEvSO_,"axG",@progbits,_ZN7rocprim17ROCPRIM_400000_NS6detail17trampoline_kernelINS0_14default_configENS1_29binary_search_config_selectorIsbEEZNS1_14transform_implILb0ES3_S5_N6thrust23THRUST_200600_302600_NS17counting_iteratorIsNS8_11use_defaultESA_SA_EEPbZNS1_13binary_searchIS3_S5_PsSB_SC_NS1_16binary_search_opENS8_6detail16wrapped_functionINS0_4lessIvEEbEEEE10hipError_tPvRmT1_T2_T3_mmT4_T5_P12ihipStream_tbEUlRKsE_EESL_SP_SQ_mSR_SU_bEUlT_E_NS1_11comp_targetILNS1_3genE10ELNS1_11target_archE1201ELNS1_3gpuE5ELNS1_3repE0EEENS1_30default_config_static_selectorELNS0_4arch9wavefront6targetE0EEEvSO_,comdat
.Lfunc_end245:
	.size	_ZN7rocprim17ROCPRIM_400000_NS6detail17trampoline_kernelINS0_14default_configENS1_29binary_search_config_selectorIsbEEZNS1_14transform_implILb0ES3_S5_N6thrust23THRUST_200600_302600_NS17counting_iteratorIsNS8_11use_defaultESA_SA_EEPbZNS1_13binary_searchIS3_S5_PsSB_SC_NS1_16binary_search_opENS8_6detail16wrapped_functionINS0_4lessIvEEbEEEE10hipError_tPvRmT1_T2_T3_mmT4_T5_P12ihipStream_tbEUlRKsE_EESL_SP_SQ_mSR_SU_bEUlT_E_NS1_11comp_targetILNS1_3genE10ELNS1_11target_archE1201ELNS1_3gpuE5ELNS1_3repE0EEENS1_30default_config_static_selectorELNS0_4arch9wavefront6targetE0EEEvSO_, .Lfunc_end245-_ZN7rocprim17ROCPRIM_400000_NS6detail17trampoline_kernelINS0_14default_configENS1_29binary_search_config_selectorIsbEEZNS1_14transform_implILb0ES3_S5_N6thrust23THRUST_200600_302600_NS17counting_iteratorIsNS8_11use_defaultESA_SA_EEPbZNS1_13binary_searchIS3_S5_PsSB_SC_NS1_16binary_search_opENS8_6detail16wrapped_functionINS0_4lessIvEEbEEEE10hipError_tPvRmT1_T2_T3_mmT4_T5_P12ihipStream_tbEUlRKsE_EESL_SP_SQ_mSR_SU_bEUlT_E_NS1_11comp_targetILNS1_3genE10ELNS1_11target_archE1201ELNS1_3gpuE5ELNS1_3repE0EEENS1_30default_config_static_selectorELNS0_4arch9wavefront6targetE0EEEvSO_
                                        ; -- End function
	.section	.AMDGPU.csdata,"",@progbits
; Kernel info:
; codeLenInByte = 0
; NumSgprs: 0
; NumVgprs: 0
; ScratchSize: 0
; MemoryBound: 0
; FloatMode: 240
; IeeeMode: 1
; LDSByteSize: 0 bytes/workgroup (compile time only)
; SGPRBlocks: 0
; VGPRBlocks: 0
; NumSGPRsForWavesPerEU: 1
; NumVGPRsForWavesPerEU: 1
; Occupancy: 16
; WaveLimiterHint : 0
; COMPUTE_PGM_RSRC2:SCRATCH_EN: 0
; COMPUTE_PGM_RSRC2:USER_SGPR: 15
; COMPUTE_PGM_RSRC2:TRAP_HANDLER: 0
; COMPUTE_PGM_RSRC2:TGID_X_EN: 1
; COMPUTE_PGM_RSRC2:TGID_Y_EN: 0
; COMPUTE_PGM_RSRC2:TGID_Z_EN: 0
; COMPUTE_PGM_RSRC2:TIDIG_COMP_CNT: 0
	.section	.text._ZN7rocprim17ROCPRIM_400000_NS6detail17trampoline_kernelINS0_14default_configENS1_29binary_search_config_selectorIsbEEZNS1_14transform_implILb0ES3_S5_N6thrust23THRUST_200600_302600_NS17counting_iteratorIsNS8_11use_defaultESA_SA_EEPbZNS1_13binary_searchIS3_S5_PsSB_SC_NS1_16binary_search_opENS8_6detail16wrapped_functionINS0_4lessIvEEbEEEE10hipError_tPvRmT1_T2_T3_mmT4_T5_P12ihipStream_tbEUlRKsE_EESL_SP_SQ_mSR_SU_bEUlT_E_NS1_11comp_targetILNS1_3genE10ELNS1_11target_archE1200ELNS1_3gpuE4ELNS1_3repE0EEENS1_30default_config_static_selectorELNS0_4arch9wavefront6targetE0EEEvSO_,"axG",@progbits,_ZN7rocprim17ROCPRIM_400000_NS6detail17trampoline_kernelINS0_14default_configENS1_29binary_search_config_selectorIsbEEZNS1_14transform_implILb0ES3_S5_N6thrust23THRUST_200600_302600_NS17counting_iteratorIsNS8_11use_defaultESA_SA_EEPbZNS1_13binary_searchIS3_S5_PsSB_SC_NS1_16binary_search_opENS8_6detail16wrapped_functionINS0_4lessIvEEbEEEE10hipError_tPvRmT1_T2_T3_mmT4_T5_P12ihipStream_tbEUlRKsE_EESL_SP_SQ_mSR_SU_bEUlT_E_NS1_11comp_targetILNS1_3genE10ELNS1_11target_archE1200ELNS1_3gpuE4ELNS1_3repE0EEENS1_30default_config_static_selectorELNS0_4arch9wavefront6targetE0EEEvSO_,comdat
	.protected	_ZN7rocprim17ROCPRIM_400000_NS6detail17trampoline_kernelINS0_14default_configENS1_29binary_search_config_selectorIsbEEZNS1_14transform_implILb0ES3_S5_N6thrust23THRUST_200600_302600_NS17counting_iteratorIsNS8_11use_defaultESA_SA_EEPbZNS1_13binary_searchIS3_S5_PsSB_SC_NS1_16binary_search_opENS8_6detail16wrapped_functionINS0_4lessIvEEbEEEE10hipError_tPvRmT1_T2_T3_mmT4_T5_P12ihipStream_tbEUlRKsE_EESL_SP_SQ_mSR_SU_bEUlT_E_NS1_11comp_targetILNS1_3genE10ELNS1_11target_archE1200ELNS1_3gpuE4ELNS1_3repE0EEENS1_30default_config_static_selectorELNS0_4arch9wavefront6targetE0EEEvSO_ ; -- Begin function _ZN7rocprim17ROCPRIM_400000_NS6detail17trampoline_kernelINS0_14default_configENS1_29binary_search_config_selectorIsbEEZNS1_14transform_implILb0ES3_S5_N6thrust23THRUST_200600_302600_NS17counting_iteratorIsNS8_11use_defaultESA_SA_EEPbZNS1_13binary_searchIS3_S5_PsSB_SC_NS1_16binary_search_opENS8_6detail16wrapped_functionINS0_4lessIvEEbEEEE10hipError_tPvRmT1_T2_T3_mmT4_T5_P12ihipStream_tbEUlRKsE_EESL_SP_SQ_mSR_SU_bEUlT_E_NS1_11comp_targetILNS1_3genE10ELNS1_11target_archE1200ELNS1_3gpuE4ELNS1_3repE0EEENS1_30default_config_static_selectorELNS0_4arch9wavefront6targetE0EEEvSO_
	.globl	_ZN7rocprim17ROCPRIM_400000_NS6detail17trampoline_kernelINS0_14default_configENS1_29binary_search_config_selectorIsbEEZNS1_14transform_implILb0ES3_S5_N6thrust23THRUST_200600_302600_NS17counting_iteratorIsNS8_11use_defaultESA_SA_EEPbZNS1_13binary_searchIS3_S5_PsSB_SC_NS1_16binary_search_opENS8_6detail16wrapped_functionINS0_4lessIvEEbEEEE10hipError_tPvRmT1_T2_T3_mmT4_T5_P12ihipStream_tbEUlRKsE_EESL_SP_SQ_mSR_SU_bEUlT_E_NS1_11comp_targetILNS1_3genE10ELNS1_11target_archE1200ELNS1_3gpuE4ELNS1_3repE0EEENS1_30default_config_static_selectorELNS0_4arch9wavefront6targetE0EEEvSO_
	.p2align	8
	.type	_ZN7rocprim17ROCPRIM_400000_NS6detail17trampoline_kernelINS0_14default_configENS1_29binary_search_config_selectorIsbEEZNS1_14transform_implILb0ES3_S5_N6thrust23THRUST_200600_302600_NS17counting_iteratorIsNS8_11use_defaultESA_SA_EEPbZNS1_13binary_searchIS3_S5_PsSB_SC_NS1_16binary_search_opENS8_6detail16wrapped_functionINS0_4lessIvEEbEEEE10hipError_tPvRmT1_T2_T3_mmT4_T5_P12ihipStream_tbEUlRKsE_EESL_SP_SQ_mSR_SU_bEUlT_E_NS1_11comp_targetILNS1_3genE10ELNS1_11target_archE1200ELNS1_3gpuE4ELNS1_3repE0EEENS1_30default_config_static_selectorELNS0_4arch9wavefront6targetE0EEEvSO_,@function
_ZN7rocprim17ROCPRIM_400000_NS6detail17trampoline_kernelINS0_14default_configENS1_29binary_search_config_selectorIsbEEZNS1_14transform_implILb0ES3_S5_N6thrust23THRUST_200600_302600_NS17counting_iteratorIsNS8_11use_defaultESA_SA_EEPbZNS1_13binary_searchIS3_S5_PsSB_SC_NS1_16binary_search_opENS8_6detail16wrapped_functionINS0_4lessIvEEbEEEE10hipError_tPvRmT1_T2_T3_mmT4_T5_P12ihipStream_tbEUlRKsE_EESL_SP_SQ_mSR_SU_bEUlT_E_NS1_11comp_targetILNS1_3genE10ELNS1_11target_archE1200ELNS1_3gpuE4ELNS1_3repE0EEENS1_30default_config_static_selectorELNS0_4arch9wavefront6targetE0EEEvSO_: ; @_ZN7rocprim17ROCPRIM_400000_NS6detail17trampoline_kernelINS0_14default_configENS1_29binary_search_config_selectorIsbEEZNS1_14transform_implILb0ES3_S5_N6thrust23THRUST_200600_302600_NS17counting_iteratorIsNS8_11use_defaultESA_SA_EEPbZNS1_13binary_searchIS3_S5_PsSB_SC_NS1_16binary_search_opENS8_6detail16wrapped_functionINS0_4lessIvEEbEEEE10hipError_tPvRmT1_T2_T3_mmT4_T5_P12ihipStream_tbEUlRKsE_EESL_SP_SQ_mSR_SU_bEUlT_E_NS1_11comp_targetILNS1_3genE10ELNS1_11target_archE1200ELNS1_3gpuE4ELNS1_3repE0EEENS1_30default_config_static_selectorELNS0_4arch9wavefront6targetE0EEEvSO_
; %bb.0:
	.section	.rodata,"a",@progbits
	.p2align	6, 0x0
	.amdhsa_kernel _ZN7rocprim17ROCPRIM_400000_NS6detail17trampoline_kernelINS0_14default_configENS1_29binary_search_config_selectorIsbEEZNS1_14transform_implILb0ES3_S5_N6thrust23THRUST_200600_302600_NS17counting_iteratorIsNS8_11use_defaultESA_SA_EEPbZNS1_13binary_searchIS3_S5_PsSB_SC_NS1_16binary_search_opENS8_6detail16wrapped_functionINS0_4lessIvEEbEEEE10hipError_tPvRmT1_T2_T3_mmT4_T5_P12ihipStream_tbEUlRKsE_EESL_SP_SQ_mSR_SU_bEUlT_E_NS1_11comp_targetILNS1_3genE10ELNS1_11target_archE1200ELNS1_3gpuE4ELNS1_3repE0EEENS1_30default_config_static_selectorELNS0_4arch9wavefront6targetE0EEEvSO_
		.amdhsa_group_segment_fixed_size 0
		.amdhsa_private_segment_fixed_size 0
		.amdhsa_kernarg_size 56
		.amdhsa_user_sgpr_count 15
		.amdhsa_user_sgpr_dispatch_ptr 0
		.amdhsa_user_sgpr_queue_ptr 0
		.amdhsa_user_sgpr_kernarg_segment_ptr 1
		.amdhsa_user_sgpr_dispatch_id 0
		.amdhsa_user_sgpr_private_segment_size 0
		.amdhsa_wavefront_size32 1
		.amdhsa_uses_dynamic_stack 0
		.amdhsa_enable_private_segment 0
		.amdhsa_system_sgpr_workgroup_id_x 1
		.amdhsa_system_sgpr_workgroup_id_y 0
		.amdhsa_system_sgpr_workgroup_id_z 0
		.amdhsa_system_sgpr_workgroup_info 0
		.amdhsa_system_vgpr_workitem_id 0
		.amdhsa_next_free_vgpr 1
		.amdhsa_next_free_sgpr 1
		.amdhsa_reserve_vcc 0
		.amdhsa_float_round_mode_32 0
		.amdhsa_float_round_mode_16_64 0
		.amdhsa_float_denorm_mode_32 3
		.amdhsa_float_denorm_mode_16_64 3
		.amdhsa_dx10_clamp 1
		.amdhsa_ieee_mode 1
		.amdhsa_fp16_overflow 0
		.amdhsa_workgroup_processor_mode 1
		.amdhsa_memory_ordered 1
		.amdhsa_forward_progress 0
		.amdhsa_shared_vgpr_count 0
		.amdhsa_exception_fp_ieee_invalid_op 0
		.amdhsa_exception_fp_denorm_src 0
		.amdhsa_exception_fp_ieee_div_zero 0
		.amdhsa_exception_fp_ieee_overflow 0
		.amdhsa_exception_fp_ieee_underflow 0
		.amdhsa_exception_fp_ieee_inexact 0
		.amdhsa_exception_int_div_zero 0
	.end_amdhsa_kernel
	.section	.text._ZN7rocprim17ROCPRIM_400000_NS6detail17trampoline_kernelINS0_14default_configENS1_29binary_search_config_selectorIsbEEZNS1_14transform_implILb0ES3_S5_N6thrust23THRUST_200600_302600_NS17counting_iteratorIsNS8_11use_defaultESA_SA_EEPbZNS1_13binary_searchIS3_S5_PsSB_SC_NS1_16binary_search_opENS8_6detail16wrapped_functionINS0_4lessIvEEbEEEE10hipError_tPvRmT1_T2_T3_mmT4_T5_P12ihipStream_tbEUlRKsE_EESL_SP_SQ_mSR_SU_bEUlT_E_NS1_11comp_targetILNS1_3genE10ELNS1_11target_archE1200ELNS1_3gpuE4ELNS1_3repE0EEENS1_30default_config_static_selectorELNS0_4arch9wavefront6targetE0EEEvSO_,"axG",@progbits,_ZN7rocprim17ROCPRIM_400000_NS6detail17trampoline_kernelINS0_14default_configENS1_29binary_search_config_selectorIsbEEZNS1_14transform_implILb0ES3_S5_N6thrust23THRUST_200600_302600_NS17counting_iteratorIsNS8_11use_defaultESA_SA_EEPbZNS1_13binary_searchIS3_S5_PsSB_SC_NS1_16binary_search_opENS8_6detail16wrapped_functionINS0_4lessIvEEbEEEE10hipError_tPvRmT1_T2_T3_mmT4_T5_P12ihipStream_tbEUlRKsE_EESL_SP_SQ_mSR_SU_bEUlT_E_NS1_11comp_targetILNS1_3genE10ELNS1_11target_archE1200ELNS1_3gpuE4ELNS1_3repE0EEENS1_30default_config_static_selectorELNS0_4arch9wavefront6targetE0EEEvSO_,comdat
.Lfunc_end246:
	.size	_ZN7rocprim17ROCPRIM_400000_NS6detail17trampoline_kernelINS0_14default_configENS1_29binary_search_config_selectorIsbEEZNS1_14transform_implILb0ES3_S5_N6thrust23THRUST_200600_302600_NS17counting_iteratorIsNS8_11use_defaultESA_SA_EEPbZNS1_13binary_searchIS3_S5_PsSB_SC_NS1_16binary_search_opENS8_6detail16wrapped_functionINS0_4lessIvEEbEEEE10hipError_tPvRmT1_T2_T3_mmT4_T5_P12ihipStream_tbEUlRKsE_EESL_SP_SQ_mSR_SU_bEUlT_E_NS1_11comp_targetILNS1_3genE10ELNS1_11target_archE1200ELNS1_3gpuE4ELNS1_3repE0EEENS1_30default_config_static_selectorELNS0_4arch9wavefront6targetE0EEEvSO_, .Lfunc_end246-_ZN7rocprim17ROCPRIM_400000_NS6detail17trampoline_kernelINS0_14default_configENS1_29binary_search_config_selectorIsbEEZNS1_14transform_implILb0ES3_S5_N6thrust23THRUST_200600_302600_NS17counting_iteratorIsNS8_11use_defaultESA_SA_EEPbZNS1_13binary_searchIS3_S5_PsSB_SC_NS1_16binary_search_opENS8_6detail16wrapped_functionINS0_4lessIvEEbEEEE10hipError_tPvRmT1_T2_T3_mmT4_T5_P12ihipStream_tbEUlRKsE_EESL_SP_SQ_mSR_SU_bEUlT_E_NS1_11comp_targetILNS1_3genE10ELNS1_11target_archE1200ELNS1_3gpuE4ELNS1_3repE0EEENS1_30default_config_static_selectorELNS0_4arch9wavefront6targetE0EEEvSO_
                                        ; -- End function
	.section	.AMDGPU.csdata,"",@progbits
; Kernel info:
; codeLenInByte = 0
; NumSgprs: 0
; NumVgprs: 0
; ScratchSize: 0
; MemoryBound: 0
; FloatMode: 240
; IeeeMode: 1
; LDSByteSize: 0 bytes/workgroup (compile time only)
; SGPRBlocks: 0
; VGPRBlocks: 0
; NumSGPRsForWavesPerEU: 1
; NumVGPRsForWavesPerEU: 1
; Occupancy: 16
; WaveLimiterHint : 0
; COMPUTE_PGM_RSRC2:SCRATCH_EN: 0
; COMPUTE_PGM_RSRC2:USER_SGPR: 15
; COMPUTE_PGM_RSRC2:TRAP_HANDLER: 0
; COMPUTE_PGM_RSRC2:TGID_X_EN: 1
; COMPUTE_PGM_RSRC2:TGID_Y_EN: 0
; COMPUTE_PGM_RSRC2:TGID_Z_EN: 0
; COMPUTE_PGM_RSRC2:TIDIG_COMP_CNT: 0
	.section	.text._ZN7rocprim17ROCPRIM_400000_NS6detail17trampoline_kernelINS0_14default_configENS1_29binary_search_config_selectorIsbEEZNS1_14transform_implILb0ES3_S5_N6thrust23THRUST_200600_302600_NS17counting_iteratorIsNS8_11use_defaultESA_SA_EEPbZNS1_13binary_searchIS3_S5_PsSB_SC_NS1_16binary_search_opENS8_6detail16wrapped_functionINS0_4lessIvEEbEEEE10hipError_tPvRmT1_T2_T3_mmT4_T5_P12ihipStream_tbEUlRKsE_EESL_SP_SQ_mSR_SU_bEUlT_E_NS1_11comp_targetILNS1_3genE9ELNS1_11target_archE1100ELNS1_3gpuE3ELNS1_3repE0EEENS1_30default_config_static_selectorELNS0_4arch9wavefront6targetE0EEEvSO_,"axG",@progbits,_ZN7rocprim17ROCPRIM_400000_NS6detail17trampoline_kernelINS0_14default_configENS1_29binary_search_config_selectorIsbEEZNS1_14transform_implILb0ES3_S5_N6thrust23THRUST_200600_302600_NS17counting_iteratorIsNS8_11use_defaultESA_SA_EEPbZNS1_13binary_searchIS3_S5_PsSB_SC_NS1_16binary_search_opENS8_6detail16wrapped_functionINS0_4lessIvEEbEEEE10hipError_tPvRmT1_T2_T3_mmT4_T5_P12ihipStream_tbEUlRKsE_EESL_SP_SQ_mSR_SU_bEUlT_E_NS1_11comp_targetILNS1_3genE9ELNS1_11target_archE1100ELNS1_3gpuE3ELNS1_3repE0EEENS1_30default_config_static_selectorELNS0_4arch9wavefront6targetE0EEEvSO_,comdat
	.protected	_ZN7rocprim17ROCPRIM_400000_NS6detail17trampoline_kernelINS0_14default_configENS1_29binary_search_config_selectorIsbEEZNS1_14transform_implILb0ES3_S5_N6thrust23THRUST_200600_302600_NS17counting_iteratorIsNS8_11use_defaultESA_SA_EEPbZNS1_13binary_searchIS3_S5_PsSB_SC_NS1_16binary_search_opENS8_6detail16wrapped_functionINS0_4lessIvEEbEEEE10hipError_tPvRmT1_T2_T3_mmT4_T5_P12ihipStream_tbEUlRKsE_EESL_SP_SQ_mSR_SU_bEUlT_E_NS1_11comp_targetILNS1_3genE9ELNS1_11target_archE1100ELNS1_3gpuE3ELNS1_3repE0EEENS1_30default_config_static_selectorELNS0_4arch9wavefront6targetE0EEEvSO_ ; -- Begin function _ZN7rocprim17ROCPRIM_400000_NS6detail17trampoline_kernelINS0_14default_configENS1_29binary_search_config_selectorIsbEEZNS1_14transform_implILb0ES3_S5_N6thrust23THRUST_200600_302600_NS17counting_iteratorIsNS8_11use_defaultESA_SA_EEPbZNS1_13binary_searchIS3_S5_PsSB_SC_NS1_16binary_search_opENS8_6detail16wrapped_functionINS0_4lessIvEEbEEEE10hipError_tPvRmT1_T2_T3_mmT4_T5_P12ihipStream_tbEUlRKsE_EESL_SP_SQ_mSR_SU_bEUlT_E_NS1_11comp_targetILNS1_3genE9ELNS1_11target_archE1100ELNS1_3gpuE3ELNS1_3repE0EEENS1_30default_config_static_selectorELNS0_4arch9wavefront6targetE0EEEvSO_
	.globl	_ZN7rocprim17ROCPRIM_400000_NS6detail17trampoline_kernelINS0_14default_configENS1_29binary_search_config_selectorIsbEEZNS1_14transform_implILb0ES3_S5_N6thrust23THRUST_200600_302600_NS17counting_iteratorIsNS8_11use_defaultESA_SA_EEPbZNS1_13binary_searchIS3_S5_PsSB_SC_NS1_16binary_search_opENS8_6detail16wrapped_functionINS0_4lessIvEEbEEEE10hipError_tPvRmT1_T2_T3_mmT4_T5_P12ihipStream_tbEUlRKsE_EESL_SP_SQ_mSR_SU_bEUlT_E_NS1_11comp_targetILNS1_3genE9ELNS1_11target_archE1100ELNS1_3gpuE3ELNS1_3repE0EEENS1_30default_config_static_selectorELNS0_4arch9wavefront6targetE0EEEvSO_
	.p2align	8
	.type	_ZN7rocprim17ROCPRIM_400000_NS6detail17trampoline_kernelINS0_14default_configENS1_29binary_search_config_selectorIsbEEZNS1_14transform_implILb0ES3_S5_N6thrust23THRUST_200600_302600_NS17counting_iteratorIsNS8_11use_defaultESA_SA_EEPbZNS1_13binary_searchIS3_S5_PsSB_SC_NS1_16binary_search_opENS8_6detail16wrapped_functionINS0_4lessIvEEbEEEE10hipError_tPvRmT1_T2_T3_mmT4_T5_P12ihipStream_tbEUlRKsE_EESL_SP_SQ_mSR_SU_bEUlT_E_NS1_11comp_targetILNS1_3genE9ELNS1_11target_archE1100ELNS1_3gpuE3ELNS1_3repE0EEENS1_30default_config_static_selectorELNS0_4arch9wavefront6targetE0EEEvSO_,@function
_ZN7rocprim17ROCPRIM_400000_NS6detail17trampoline_kernelINS0_14default_configENS1_29binary_search_config_selectorIsbEEZNS1_14transform_implILb0ES3_S5_N6thrust23THRUST_200600_302600_NS17counting_iteratorIsNS8_11use_defaultESA_SA_EEPbZNS1_13binary_searchIS3_S5_PsSB_SC_NS1_16binary_search_opENS8_6detail16wrapped_functionINS0_4lessIvEEbEEEE10hipError_tPvRmT1_T2_T3_mmT4_T5_P12ihipStream_tbEUlRKsE_EESL_SP_SQ_mSR_SU_bEUlT_E_NS1_11comp_targetILNS1_3genE9ELNS1_11target_archE1100ELNS1_3gpuE3ELNS1_3repE0EEENS1_30default_config_static_selectorELNS0_4arch9wavefront6targetE0EEEvSO_: ; @_ZN7rocprim17ROCPRIM_400000_NS6detail17trampoline_kernelINS0_14default_configENS1_29binary_search_config_selectorIsbEEZNS1_14transform_implILb0ES3_S5_N6thrust23THRUST_200600_302600_NS17counting_iteratorIsNS8_11use_defaultESA_SA_EEPbZNS1_13binary_searchIS3_S5_PsSB_SC_NS1_16binary_search_opENS8_6detail16wrapped_functionINS0_4lessIvEEbEEEE10hipError_tPvRmT1_T2_T3_mmT4_T5_P12ihipStream_tbEUlRKsE_EESL_SP_SQ_mSR_SU_bEUlT_E_NS1_11comp_targetILNS1_3genE9ELNS1_11target_archE1100ELNS1_3gpuE3ELNS1_3repE0EEENS1_30default_config_static_selectorELNS0_4arch9wavefront6targetE0EEEvSO_
; %bb.0:
	s_clause 0x4
	s_load_b32 s2, s[0:1], 0x0
	s_load_b64 s[4:5], s[0:1], 0x8
	s_load_b128 s[8:11], s[0:1], 0x18
	s_load_b32 s3, s[0:1], 0x38
	s_load_b64 s[12:13], s[0:1], 0x28
	s_mov_b32 s16, 0
	s_mov_b32 s17, -1
	s_waitcnt lgkmcnt(0)
	s_add_i32 s2, s2, s4
	s_add_u32 s8, s8, s4
	s_addc_u32 s9, s9, s5
	s_add_i32 s3, s3, -1
	s_lshl_b32 s14, s15, 9
	s_cmp_lg_u32 s15, s3
	s_cbranch_scc0 .LBB247_50
; %bb.1:
	v_add_nc_u16 v3, s14, v0
	v_mov_b32_e32 v1, 0
	v_mov_b32_e32 v2, 0
	s_cmp_lg_u64 s[12:13], 0
	s_cselect_b32 s4, -1, 0
	v_add_nc_u16 v5, v3, s2
	s_cmp_eq_u64 s[12:13], 0
	s_cbranch_scc1 .LBB247_5
; %bb.2:
	v_mov_b32_e32 v1, 0
	v_dual_mov_b32 v2, 0 :: v_dual_mov_b32 v3, s12
	v_mov_b32_e32 v4, s13
	s_mov_b32 s3, 0
	.p2align	6
.LBB247_3:                              ; =>This Inner Loop Header: Depth=1
	s_delay_alu instid0(VALU_DEP_2) | instskip(NEXT) | instid1(VALU_DEP_2)
	v_sub_co_u32 v6, vcc_lo, v3, v1
	v_sub_co_ci_u32_e32 v7, vcc_lo, v4, v2, vcc_lo
	s_delay_alu instid0(VALU_DEP_1) | instskip(SKIP_1) | instid1(VALU_DEP_2)
	v_lshrrev_b64 v[8:9], 1, v[6:7]
	v_lshrrev_b64 v[6:7], 6, v[6:7]
	v_add_co_u32 v8, vcc_lo, v8, v1
	s_delay_alu instid0(VALU_DEP_3) | instskip(NEXT) | instid1(VALU_DEP_2)
	v_add_co_ci_u32_e32 v9, vcc_lo, v9, v2, vcc_lo
	v_add_co_u32 v6, vcc_lo, v8, v6
	s_delay_alu instid0(VALU_DEP_2) | instskip(NEXT) | instid1(VALU_DEP_1)
	v_add_co_ci_u32_e32 v7, vcc_lo, v9, v7, vcc_lo
	v_lshlrev_b64 v[8:9], 1, v[6:7]
	s_delay_alu instid0(VALU_DEP_1) | instskip(NEXT) | instid1(VALU_DEP_2)
	v_add_co_u32 v8, vcc_lo, s10, v8
	v_add_co_ci_u32_e32 v9, vcc_lo, s11, v9, vcc_lo
	global_load_u16 v8, v[8:9], off
	v_add_co_u32 v9, vcc_lo, v6, 1
	v_add_co_ci_u32_e32 v10, vcc_lo, 0, v7, vcc_lo
	s_waitcnt vmcnt(0)
	v_cmp_lt_i16_e32 vcc_lo, v8, v5
	v_dual_cndmask_b32 v4, v7, v4 :: v_dual_cndmask_b32 v3, v6, v3
	s_delay_alu instid0(VALU_DEP_3) | instskip(NEXT) | instid1(VALU_DEP_1)
	v_dual_cndmask_b32 v2, v2, v10 :: v_dual_cndmask_b32 v1, v1, v9
	v_cmp_ge_u64_e32 vcc_lo, v[1:2], v[3:4]
	s_or_b32 s3, vcc_lo, s3
	s_delay_alu instid0(SALU_CYCLE_1)
	s_and_not1_b32 exec_lo, exec_lo, s3
	s_cbranch_execnz .LBB247_3
; %bb.4:
	s_or_b32 exec_lo, exec_lo, s3
.LBB247_5:
	s_mov_b32 s3, 0
	s_mov_b32 s5, exec_lo
	v_cmpx_ne_u64_e64 s[12:13], v[1:2]
	s_cbranch_execz .LBB247_7
; %bb.6:
	v_lshlrev_b64 v[1:2], 1, v[1:2]
	s_delay_alu instid0(VALU_DEP_1) | instskip(NEXT) | instid1(VALU_DEP_2)
	v_add_co_u32 v1, vcc_lo, s10, v1
	v_add_co_ci_u32_e32 v2, vcc_lo, s11, v2, vcc_lo
	global_load_u16 v1, v[1:2], off
	s_waitcnt vmcnt(0)
	v_cmp_le_i16_e32 vcc_lo, v1, v5
	s_and_b32 s3, vcc_lo, exec_lo
.LBB247_7:
	s_or_b32 exec_lo, exec_lo, s5
	v_mov_b32_e32 v1, 0
	v_cndmask_b32_e64 v6, 0, 1, s4
	v_add_nc_u16 v7, v5, 64
	v_mov_b32_e32 v2, 0
	s_and_not1_b32 vcc_lo, exec_lo, s4
	s_cbranch_vccnz .LBB247_11
; %bb.8:
	v_dual_mov_b32 v3, s12 :: v_dual_mov_b32 v4, s13
	s_mov_b32 s4, 0
	.p2align	6
.LBB247_9:                              ; =>This Inner Loop Header: Depth=1
	s_delay_alu instid0(VALU_DEP_1) | instskip(NEXT) | instid1(VALU_DEP_2)
	v_sub_co_u32 v8, vcc_lo, v3, v1
	v_sub_co_ci_u32_e32 v9, vcc_lo, v4, v2, vcc_lo
	s_delay_alu instid0(VALU_DEP_1) | instskip(SKIP_1) | instid1(VALU_DEP_2)
	v_lshrrev_b64 v[10:11], 1, v[8:9]
	v_lshrrev_b64 v[8:9], 6, v[8:9]
	v_add_co_u32 v10, vcc_lo, v10, v1
	s_delay_alu instid0(VALU_DEP_3) | instskip(NEXT) | instid1(VALU_DEP_2)
	v_add_co_ci_u32_e32 v11, vcc_lo, v11, v2, vcc_lo
	v_add_co_u32 v8, vcc_lo, v10, v8
	s_delay_alu instid0(VALU_DEP_2) | instskip(NEXT) | instid1(VALU_DEP_1)
	v_add_co_ci_u32_e32 v9, vcc_lo, v11, v9, vcc_lo
	v_lshlrev_b64 v[10:11], 1, v[8:9]
	s_delay_alu instid0(VALU_DEP_1) | instskip(NEXT) | instid1(VALU_DEP_2)
	v_add_co_u32 v10, vcc_lo, s10, v10
	v_add_co_ci_u32_e32 v11, vcc_lo, s11, v11, vcc_lo
	global_load_u16 v10, v[10:11], off
	v_add_co_u32 v11, vcc_lo, v8, 1
	v_add_co_ci_u32_e32 v12, vcc_lo, 0, v9, vcc_lo
	s_waitcnt vmcnt(0)
	v_cmp_lt_i16_e32 vcc_lo, v10, v7
	v_dual_cndmask_b32 v4, v9, v4 :: v_dual_cndmask_b32 v3, v8, v3
	s_delay_alu instid0(VALU_DEP_3) | instskip(NEXT) | instid1(VALU_DEP_1)
	v_dual_cndmask_b32 v2, v2, v12 :: v_dual_cndmask_b32 v1, v1, v11
	v_cmp_ge_u64_e32 vcc_lo, v[1:2], v[3:4]
	s_or_b32 s4, vcc_lo, s4
	s_delay_alu instid0(SALU_CYCLE_1)
	s_and_not1_b32 exec_lo, exec_lo, s4
	s_cbranch_execnz .LBB247_9
; %bb.10:
	s_or_b32 exec_lo, exec_lo, s4
.LBB247_11:
	s_mov_b32 s4, 0
	s_mov_b32 s5, exec_lo
	v_cmpx_ne_u64_e64 s[12:13], v[1:2]
	s_cbranch_execz .LBB247_13
; %bb.12:
	v_lshlrev_b64 v[1:2], 1, v[1:2]
	s_delay_alu instid0(VALU_DEP_1) | instskip(NEXT) | instid1(VALU_DEP_2)
	v_add_co_u32 v1, vcc_lo, s10, v1
	v_add_co_ci_u32_e32 v2, vcc_lo, s11, v2, vcc_lo
	global_load_u16 v1, v[1:2], off
	s_waitcnt vmcnt(0)
	v_cmp_le_i16_e32 vcc_lo, v1, v7
	s_and_b32 s4, vcc_lo, exec_lo
.LBB247_13:
	s_or_b32 exec_lo, exec_lo, s5
	v_cmp_ne_u32_e32 vcc_lo, 1, v6
	v_mov_b32_e32 v1, 0
	v_add_nc_u16 v7, v5, 0x80
	v_mov_b32_e32 v2, 0
	s_cbranch_vccnz .LBB247_17
; %bb.14:
	v_dual_mov_b32 v3, s12 :: v_dual_mov_b32 v4, s13
	s_mov_b32 s5, 0
	.p2align	6
.LBB247_15:                             ; =>This Inner Loop Header: Depth=1
	s_delay_alu instid0(VALU_DEP_1) | instskip(NEXT) | instid1(VALU_DEP_2)
	v_sub_co_u32 v8, vcc_lo, v3, v1
	v_sub_co_ci_u32_e32 v9, vcc_lo, v4, v2, vcc_lo
	s_delay_alu instid0(VALU_DEP_1) | instskip(SKIP_1) | instid1(VALU_DEP_2)
	v_lshrrev_b64 v[10:11], 1, v[8:9]
	v_lshrrev_b64 v[8:9], 6, v[8:9]
	v_add_co_u32 v10, vcc_lo, v10, v1
	s_delay_alu instid0(VALU_DEP_3) | instskip(NEXT) | instid1(VALU_DEP_2)
	v_add_co_ci_u32_e32 v11, vcc_lo, v11, v2, vcc_lo
	v_add_co_u32 v8, vcc_lo, v10, v8
	s_delay_alu instid0(VALU_DEP_2) | instskip(NEXT) | instid1(VALU_DEP_1)
	v_add_co_ci_u32_e32 v9, vcc_lo, v11, v9, vcc_lo
	v_lshlrev_b64 v[10:11], 1, v[8:9]
	s_delay_alu instid0(VALU_DEP_1) | instskip(NEXT) | instid1(VALU_DEP_2)
	v_add_co_u32 v10, vcc_lo, s10, v10
	v_add_co_ci_u32_e32 v11, vcc_lo, s11, v11, vcc_lo
	global_load_u16 v10, v[10:11], off
	v_add_co_u32 v11, vcc_lo, v8, 1
	v_add_co_ci_u32_e32 v12, vcc_lo, 0, v9, vcc_lo
	s_waitcnt vmcnt(0)
	v_cmp_lt_i16_e32 vcc_lo, v10, v7
	v_dual_cndmask_b32 v4, v9, v4 :: v_dual_cndmask_b32 v3, v8, v3
	s_delay_alu instid0(VALU_DEP_3) | instskip(NEXT) | instid1(VALU_DEP_1)
	v_dual_cndmask_b32 v2, v2, v12 :: v_dual_cndmask_b32 v1, v1, v11
	v_cmp_ge_u64_e32 vcc_lo, v[1:2], v[3:4]
	s_or_b32 s5, vcc_lo, s5
	s_delay_alu instid0(SALU_CYCLE_1)
	s_and_not1_b32 exec_lo, exec_lo, s5
	s_cbranch_execnz .LBB247_15
; %bb.16:
	s_or_b32 exec_lo, exec_lo, s5
.LBB247_17:
	s_mov_b32 s5, 0
	s_mov_b32 s6, exec_lo
	s_delay_alu instid0(VALU_DEP_1)
	v_cmpx_ne_u64_e64 s[12:13], v[1:2]
	s_cbranch_execz .LBB247_19
; %bb.18:
	v_lshlrev_b64 v[1:2], 1, v[1:2]
	s_delay_alu instid0(VALU_DEP_1) | instskip(NEXT) | instid1(VALU_DEP_2)
	v_add_co_u32 v1, vcc_lo, s10, v1
	v_add_co_ci_u32_e32 v2, vcc_lo, s11, v2, vcc_lo
	global_load_u16 v1, v[1:2], off
	s_waitcnt vmcnt(0)
	v_cmp_le_i16_e32 vcc_lo, v1, v7
	s_and_b32 s5, vcc_lo, exec_lo
.LBB247_19:
	s_or_b32 exec_lo, exec_lo, s6
	v_cmp_ne_u32_e32 vcc_lo, 1, v6
	v_mov_b32_e32 v1, 0
	v_add_nc_u16 v7, v5, 0xc0
	v_mov_b32_e32 v2, 0
	s_cbranch_vccnz .LBB247_23
; %bb.20:
	v_dual_mov_b32 v3, s12 :: v_dual_mov_b32 v4, s13
	s_mov_b32 s6, 0
	.p2align	6
.LBB247_21:                             ; =>This Inner Loop Header: Depth=1
	s_delay_alu instid0(VALU_DEP_1) | instskip(NEXT) | instid1(VALU_DEP_2)
	v_sub_co_u32 v8, vcc_lo, v3, v1
	v_sub_co_ci_u32_e32 v9, vcc_lo, v4, v2, vcc_lo
	s_delay_alu instid0(VALU_DEP_1) | instskip(SKIP_1) | instid1(VALU_DEP_2)
	v_lshrrev_b64 v[10:11], 1, v[8:9]
	v_lshrrev_b64 v[8:9], 6, v[8:9]
	v_add_co_u32 v10, vcc_lo, v10, v1
	s_delay_alu instid0(VALU_DEP_3) | instskip(NEXT) | instid1(VALU_DEP_2)
	v_add_co_ci_u32_e32 v11, vcc_lo, v11, v2, vcc_lo
	v_add_co_u32 v8, vcc_lo, v10, v8
	s_delay_alu instid0(VALU_DEP_2) | instskip(NEXT) | instid1(VALU_DEP_1)
	v_add_co_ci_u32_e32 v9, vcc_lo, v11, v9, vcc_lo
	v_lshlrev_b64 v[10:11], 1, v[8:9]
	s_delay_alu instid0(VALU_DEP_1) | instskip(NEXT) | instid1(VALU_DEP_2)
	v_add_co_u32 v10, vcc_lo, s10, v10
	v_add_co_ci_u32_e32 v11, vcc_lo, s11, v11, vcc_lo
	global_load_u16 v10, v[10:11], off
	v_add_co_u32 v11, vcc_lo, v8, 1
	v_add_co_ci_u32_e32 v12, vcc_lo, 0, v9, vcc_lo
	s_waitcnt vmcnt(0)
	v_cmp_lt_i16_e32 vcc_lo, v10, v7
	v_dual_cndmask_b32 v4, v9, v4 :: v_dual_cndmask_b32 v3, v8, v3
	s_delay_alu instid0(VALU_DEP_3) | instskip(NEXT) | instid1(VALU_DEP_1)
	v_dual_cndmask_b32 v2, v2, v12 :: v_dual_cndmask_b32 v1, v1, v11
	v_cmp_ge_u64_e32 vcc_lo, v[1:2], v[3:4]
	s_or_b32 s6, vcc_lo, s6
	s_delay_alu instid0(SALU_CYCLE_1)
	s_and_not1_b32 exec_lo, exec_lo, s6
	s_cbranch_execnz .LBB247_21
; %bb.22:
	s_or_b32 exec_lo, exec_lo, s6
.LBB247_23:
	s_mov_b32 s6, 0
	s_mov_b32 s7, exec_lo
	s_delay_alu instid0(VALU_DEP_1)
	v_cmpx_ne_u64_e64 s[12:13], v[1:2]
	s_cbranch_execz .LBB247_25
; %bb.24:
	v_lshlrev_b64 v[1:2], 1, v[1:2]
	s_delay_alu instid0(VALU_DEP_1) | instskip(NEXT) | instid1(VALU_DEP_2)
	v_add_co_u32 v1, vcc_lo, s10, v1
	v_add_co_ci_u32_e32 v2, vcc_lo, s11, v2, vcc_lo
	global_load_u16 v1, v[1:2], off
	s_waitcnt vmcnt(0)
	v_cmp_le_i16_e32 vcc_lo, v1, v7
	s_and_b32 s6, vcc_lo, exec_lo
.LBB247_25:
	s_or_b32 exec_lo, exec_lo, s7
	v_cmp_ne_u32_e32 vcc_lo, 1, v6
	v_mov_b32_e32 v1, 0
	v_add_nc_u16 v7, v5, 0x100
	v_mov_b32_e32 v2, 0
	s_cbranch_vccnz .LBB247_29
; %bb.26:
	v_dual_mov_b32 v3, s12 :: v_dual_mov_b32 v4, s13
	s_mov_b32 s7, 0
	.p2align	6
.LBB247_27:                             ; =>This Inner Loop Header: Depth=1
	s_delay_alu instid0(VALU_DEP_1) | instskip(NEXT) | instid1(VALU_DEP_2)
	v_sub_co_u32 v8, vcc_lo, v3, v1
	v_sub_co_ci_u32_e32 v9, vcc_lo, v4, v2, vcc_lo
	s_delay_alu instid0(VALU_DEP_1) | instskip(SKIP_1) | instid1(VALU_DEP_2)
	v_lshrrev_b64 v[10:11], 1, v[8:9]
	v_lshrrev_b64 v[8:9], 6, v[8:9]
	v_add_co_u32 v10, vcc_lo, v10, v1
	s_delay_alu instid0(VALU_DEP_3) | instskip(NEXT) | instid1(VALU_DEP_2)
	v_add_co_ci_u32_e32 v11, vcc_lo, v11, v2, vcc_lo
	v_add_co_u32 v8, vcc_lo, v10, v8
	s_delay_alu instid0(VALU_DEP_2) | instskip(NEXT) | instid1(VALU_DEP_1)
	v_add_co_ci_u32_e32 v9, vcc_lo, v11, v9, vcc_lo
	v_lshlrev_b64 v[10:11], 1, v[8:9]
	s_delay_alu instid0(VALU_DEP_1) | instskip(NEXT) | instid1(VALU_DEP_2)
	v_add_co_u32 v10, vcc_lo, s10, v10
	v_add_co_ci_u32_e32 v11, vcc_lo, s11, v11, vcc_lo
	global_load_u16 v10, v[10:11], off
	v_add_co_u32 v11, vcc_lo, v8, 1
	v_add_co_ci_u32_e32 v12, vcc_lo, 0, v9, vcc_lo
	s_waitcnt vmcnt(0)
	v_cmp_lt_i16_e32 vcc_lo, v10, v7
	v_dual_cndmask_b32 v4, v9, v4 :: v_dual_cndmask_b32 v3, v8, v3
	s_delay_alu instid0(VALU_DEP_3) | instskip(NEXT) | instid1(VALU_DEP_1)
	v_dual_cndmask_b32 v2, v2, v12 :: v_dual_cndmask_b32 v1, v1, v11
	v_cmp_ge_u64_e32 vcc_lo, v[1:2], v[3:4]
	s_or_b32 s7, vcc_lo, s7
	s_delay_alu instid0(SALU_CYCLE_1)
	s_and_not1_b32 exec_lo, exec_lo, s7
	s_cbranch_execnz .LBB247_27
; %bb.28:
	s_or_b32 exec_lo, exec_lo, s7
.LBB247_29:
	s_mov_b32 s7, 0
	s_mov_b32 s15, exec_lo
	s_delay_alu instid0(VALU_DEP_1)
	v_cmpx_ne_u64_e64 s[12:13], v[1:2]
	s_cbranch_execz .LBB247_31
; %bb.30:
	v_lshlrev_b64 v[1:2], 1, v[1:2]
	s_delay_alu instid0(VALU_DEP_1) | instskip(NEXT) | instid1(VALU_DEP_2)
	v_add_co_u32 v1, vcc_lo, s10, v1
	v_add_co_ci_u32_e32 v2, vcc_lo, s11, v2, vcc_lo
	global_load_u16 v1, v[1:2], off
	s_waitcnt vmcnt(0)
	v_cmp_le_i16_e32 vcc_lo, v1, v7
	s_and_b32 s7, vcc_lo, exec_lo
.LBB247_31:
	s_or_b32 exec_lo, exec_lo, s15
	v_cmp_ne_u32_e32 vcc_lo, 1, v6
	v_mov_b32_e32 v1, 0
	v_add_nc_u16 v7, v5, 0x140
	v_mov_b32_e32 v2, 0
	s_cbranch_vccnz .LBB247_35
; %bb.32:
	v_dual_mov_b32 v3, s12 :: v_dual_mov_b32 v4, s13
	s_mov_b32 s15, 0
	.p2align	6
.LBB247_33:                             ; =>This Inner Loop Header: Depth=1
	s_delay_alu instid0(VALU_DEP_1) | instskip(NEXT) | instid1(VALU_DEP_2)
	v_sub_co_u32 v8, vcc_lo, v3, v1
	v_sub_co_ci_u32_e32 v9, vcc_lo, v4, v2, vcc_lo
	s_delay_alu instid0(VALU_DEP_1) | instskip(SKIP_1) | instid1(VALU_DEP_2)
	v_lshrrev_b64 v[10:11], 1, v[8:9]
	v_lshrrev_b64 v[8:9], 6, v[8:9]
	v_add_co_u32 v10, vcc_lo, v10, v1
	s_delay_alu instid0(VALU_DEP_3) | instskip(NEXT) | instid1(VALU_DEP_2)
	v_add_co_ci_u32_e32 v11, vcc_lo, v11, v2, vcc_lo
	v_add_co_u32 v8, vcc_lo, v10, v8
	s_delay_alu instid0(VALU_DEP_2) | instskip(NEXT) | instid1(VALU_DEP_1)
	v_add_co_ci_u32_e32 v9, vcc_lo, v11, v9, vcc_lo
	v_lshlrev_b64 v[10:11], 1, v[8:9]
	s_delay_alu instid0(VALU_DEP_1) | instskip(NEXT) | instid1(VALU_DEP_2)
	v_add_co_u32 v10, vcc_lo, s10, v10
	v_add_co_ci_u32_e32 v11, vcc_lo, s11, v11, vcc_lo
	global_load_u16 v10, v[10:11], off
	v_add_co_u32 v11, vcc_lo, v8, 1
	v_add_co_ci_u32_e32 v12, vcc_lo, 0, v9, vcc_lo
	s_waitcnt vmcnt(0)
	v_cmp_lt_i16_e32 vcc_lo, v10, v7
	v_dual_cndmask_b32 v4, v9, v4 :: v_dual_cndmask_b32 v3, v8, v3
	s_delay_alu instid0(VALU_DEP_3) | instskip(NEXT) | instid1(VALU_DEP_1)
	v_dual_cndmask_b32 v2, v2, v12 :: v_dual_cndmask_b32 v1, v1, v11
	v_cmp_ge_u64_e32 vcc_lo, v[1:2], v[3:4]
	s_or_b32 s15, vcc_lo, s15
	s_delay_alu instid0(SALU_CYCLE_1)
	s_and_not1_b32 exec_lo, exec_lo, s15
	s_cbranch_execnz .LBB247_33
; %bb.34:
	s_or_b32 exec_lo, exec_lo, s15
.LBB247_35:
	s_mov_b32 s15, 0
	s_mov_b32 s16, exec_lo
	s_delay_alu instid0(VALU_DEP_1)
	v_cmpx_ne_u64_e64 s[12:13], v[1:2]
	s_cbranch_execz .LBB247_37
; %bb.36:
	v_lshlrev_b64 v[1:2], 1, v[1:2]
	s_delay_alu instid0(VALU_DEP_1) | instskip(NEXT) | instid1(VALU_DEP_2)
	v_add_co_u32 v1, vcc_lo, s10, v1
	v_add_co_ci_u32_e32 v2, vcc_lo, s11, v2, vcc_lo
	global_load_u16 v1, v[1:2], off
	s_waitcnt vmcnt(0)
	v_cmp_le_i16_e32 vcc_lo, v1, v7
	s_and_b32 s15, vcc_lo, exec_lo
.LBB247_37:
	s_or_b32 exec_lo, exec_lo, s16
	v_cmp_ne_u32_e32 vcc_lo, 1, v6
	v_mov_b32_e32 v1, 0
	v_add_nc_u16 v7, v5, 0x180
	v_mov_b32_e32 v2, 0
	s_cbranch_vccnz .LBB247_41
; %bb.38:
	v_dual_mov_b32 v3, s12 :: v_dual_mov_b32 v4, s13
	s_mov_b32 s16, 0
	.p2align	6
.LBB247_39:                             ; =>This Inner Loop Header: Depth=1
	s_delay_alu instid0(VALU_DEP_1) | instskip(NEXT) | instid1(VALU_DEP_2)
	v_sub_co_u32 v8, vcc_lo, v3, v1
	v_sub_co_ci_u32_e32 v9, vcc_lo, v4, v2, vcc_lo
	s_delay_alu instid0(VALU_DEP_1) | instskip(SKIP_1) | instid1(VALU_DEP_2)
	v_lshrrev_b64 v[10:11], 1, v[8:9]
	v_lshrrev_b64 v[8:9], 6, v[8:9]
	v_add_co_u32 v10, vcc_lo, v10, v1
	s_delay_alu instid0(VALU_DEP_3) | instskip(NEXT) | instid1(VALU_DEP_2)
	v_add_co_ci_u32_e32 v11, vcc_lo, v11, v2, vcc_lo
	v_add_co_u32 v8, vcc_lo, v10, v8
	s_delay_alu instid0(VALU_DEP_2) | instskip(NEXT) | instid1(VALU_DEP_1)
	v_add_co_ci_u32_e32 v9, vcc_lo, v11, v9, vcc_lo
	v_lshlrev_b64 v[10:11], 1, v[8:9]
	s_delay_alu instid0(VALU_DEP_1) | instskip(NEXT) | instid1(VALU_DEP_2)
	v_add_co_u32 v10, vcc_lo, s10, v10
	v_add_co_ci_u32_e32 v11, vcc_lo, s11, v11, vcc_lo
	global_load_u16 v10, v[10:11], off
	v_add_co_u32 v11, vcc_lo, v8, 1
	v_add_co_ci_u32_e32 v12, vcc_lo, 0, v9, vcc_lo
	s_waitcnt vmcnt(0)
	v_cmp_lt_i16_e32 vcc_lo, v10, v7
	v_dual_cndmask_b32 v4, v9, v4 :: v_dual_cndmask_b32 v3, v8, v3
	s_delay_alu instid0(VALU_DEP_3) | instskip(NEXT) | instid1(VALU_DEP_1)
	v_dual_cndmask_b32 v2, v2, v12 :: v_dual_cndmask_b32 v1, v1, v11
	v_cmp_ge_u64_e32 vcc_lo, v[1:2], v[3:4]
	s_or_b32 s16, vcc_lo, s16
	s_delay_alu instid0(SALU_CYCLE_1)
	s_and_not1_b32 exec_lo, exec_lo, s16
	s_cbranch_execnz .LBB247_39
; %bb.40:
	s_or_b32 exec_lo, exec_lo, s16
.LBB247_41:
	s_mov_b32 s16, 0
	s_mov_b32 s17, exec_lo
	s_delay_alu instid0(VALU_DEP_1)
	v_cmpx_ne_u64_e64 s[12:13], v[1:2]
	s_cbranch_execz .LBB247_43
; %bb.42:
	v_lshlrev_b64 v[1:2], 1, v[1:2]
	s_delay_alu instid0(VALU_DEP_1) | instskip(NEXT) | instid1(VALU_DEP_2)
	v_add_co_u32 v1, vcc_lo, s10, v1
	v_add_co_ci_u32_e32 v2, vcc_lo, s11, v2, vcc_lo
	global_load_u16 v1, v[1:2], off
	s_waitcnt vmcnt(0)
	v_cmp_le_i16_e32 vcc_lo, v1, v7
	s_and_b32 s16, vcc_lo, exec_lo
.LBB247_43:
	s_or_b32 exec_lo, exec_lo, s17
	v_cmp_ne_u32_e32 vcc_lo, 1, v6
	v_mov_b32_e32 v1, 0
	v_add_nc_u16 v5, v5, 0x1c0
	v_mov_b32_e32 v2, 0
	s_cbranch_vccnz .LBB247_47
; %bb.44:
	v_dual_mov_b32 v3, s12 :: v_dual_mov_b32 v4, s13
	s_mov_b32 s17, 0
	.p2align	6
.LBB247_45:                             ; =>This Inner Loop Header: Depth=1
	s_delay_alu instid0(VALU_DEP_1) | instskip(NEXT) | instid1(VALU_DEP_2)
	v_sub_co_u32 v6, vcc_lo, v3, v1
	v_sub_co_ci_u32_e32 v7, vcc_lo, v4, v2, vcc_lo
	s_delay_alu instid0(VALU_DEP_1) | instskip(SKIP_1) | instid1(VALU_DEP_2)
	v_lshrrev_b64 v[8:9], 1, v[6:7]
	v_lshrrev_b64 v[6:7], 6, v[6:7]
	v_add_co_u32 v8, vcc_lo, v8, v1
	s_delay_alu instid0(VALU_DEP_3) | instskip(NEXT) | instid1(VALU_DEP_2)
	v_add_co_ci_u32_e32 v9, vcc_lo, v9, v2, vcc_lo
	v_add_co_u32 v6, vcc_lo, v8, v6
	s_delay_alu instid0(VALU_DEP_2) | instskip(NEXT) | instid1(VALU_DEP_1)
	v_add_co_ci_u32_e32 v7, vcc_lo, v9, v7, vcc_lo
	v_lshlrev_b64 v[8:9], 1, v[6:7]
	s_delay_alu instid0(VALU_DEP_1) | instskip(NEXT) | instid1(VALU_DEP_2)
	v_add_co_u32 v8, vcc_lo, s10, v8
	v_add_co_ci_u32_e32 v9, vcc_lo, s11, v9, vcc_lo
	global_load_u16 v8, v[8:9], off
	v_add_co_u32 v9, vcc_lo, v6, 1
	v_add_co_ci_u32_e32 v10, vcc_lo, 0, v7, vcc_lo
	s_waitcnt vmcnt(0)
	v_cmp_lt_i16_e32 vcc_lo, v8, v5
	v_dual_cndmask_b32 v4, v7, v4 :: v_dual_cndmask_b32 v3, v6, v3
	s_delay_alu instid0(VALU_DEP_3) | instskip(NEXT) | instid1(VALU_DEP_1)
	v_dual_cndmask_b32 v2, v2, v10 :: v_dual_cndmask_b32 v1, v1, v9
	v_cmp_ge_u64_e32 vcc_lo, v[1:2], v[3:4]
	s_or_b32 s17, vcc_lo, s17
	s_delay_alu instid0(SALU_CYCLE_1)
	s_and_not1_b32 exec_lo, exec_lo, s17
	s_cbranch_execnz .LBB247_45
; %bb.46:
	s_or_b32 exec_lo, exec_lo, s17
.LBB247_47:
	s_mov_b32 s17, 0
	s_mov_b32 s18, 0
	s_mov_b32 s19, exec_lo
	v_cmpx_ne_u64_e64 s[12:13], v[1:2]
	s_cbranch_execz .LBB247_49
; %bb.48:
	v_lshlrev_b64 v[1:2], 1, v[1:2]
	s_delay_alu instid0(VALU_DEP_1) | instskip(NEXT) | instid1(VALU_DEP_2)
	v_add_co_u32 v1, vcc_lo, s10, v1
	v_add_co_ci_u32_e32 v2, vcc_lo, s11, v2, vcc_lo
	global_load_u16 v1, v[1:2], off
	s_waitcnt vmcnt(0)
	v_cmp_le_i16_e32 vcc_lo, v1, v5
	s_and_b32 s18, vcc_lo, exec_lo
.LBB247_49:
	s_or_b32 exec_lo, exec_lo, s19
	v_cndmask_b32_e64 v10, 0, 1, s3
	v_cndmask_b32_e64 v9, 0, 1, s4
	s_add_u32 s4, s8, s14
	v_cndmask_b32_e64 v8, 0, 1, s5
	v_cndmask_b32_e64 v7, 0, 1, s6
	s_addc_u32 s5, s9, 0
	v_add_co_u32 v1, s3, s4, v0
	v_cndmask_b32_e64 v6, 0, 1, s7
	v_cndmask_b32_e64 v4, 0, 1, s16
	;; [unrolled: 1-line block ×4, first 2 shown]
	v_add_co_ci_u32_e64 v2, null, s5, 0, s3
	s_mov_b32 s16, -1
	s_clause 0x6
	global_store_b8 v0, v10, s[4:5]
	global_store_b8 v0, v9, s[4:5] offset:64
	global_store_b8 v0, v8, s[4:5] offset:128
	;; [unrolled: 1-line block ×6, first 2 shown]
	s_and_b32 vcc_lo, exec_lo, s17
	s_cbranch_vccnz .LBB247_51
	s_branch .LBB247_125
.LBB247_50:
                                        ; implicit-def: $vgpr3
                                        ; implicit-def: $vgpr1_vgpr2
	s_and_b32 vcc_lo, exec_lo, s17
	s_cbranch_vccz .LBB247_125
.LBB247_51:
	s_load_b32 s0, s[0:1], 0x10
	v_or_b32_e32 v1, 64, v0
	v_or_b32_e32 v2, 0x80, v0
	;; [unrolled: 1-line block ×7, first 2 shown]
	s_add_i32 s2, s2, s14
	s_delay_alu instid0(SALU_CYCLE_1)
	v_add_nc_u16 v8, s2, v0
	v_add_nc_u16 v9, s2, v1
	;; [unrolled: 1-line block ×7, first 2 shown]
	v_perm_b32 v9, v9, v8, 0x5040100
	v_and_b32_e32 v15, 0xffff, v10
	v_perm_b32 v10, v11, v10, 0x5040100
	s_waitcnt lgkmcnt(0)
	s_sub_i32 s7, s0, s14
	s_cmp_lg_u64 s[12:13], 0
	v_cmp_gt_u32_e64 s6, s7, v1
	v_add_nc_u16 v1, s2, v7
	v_cmp_gt_u32_e64 s5, s7, v2
	v_cmp_gt_u32_e64 s4, s7, v3
	v_perm_b32 v2, v13, v12, 0x5040100
	v_and_b32_e32 v3, 0xffff, v14
	v_perm_b32 v1, v1, v14, 0x5040100
	v_cmp_gt_u32_e64 s2, s7, v5
	v_cmp_gt_u32_e64 s0, s7, v7
	v_cndmask_b32_e64 v8, v8, v9, s6
	v_cndmask_b32_e64 v11, v15, v10, s4
	v_cmp_gt_u32_e64 s3, s7, v4
	v_cndmask_b32_e64 v9, v12, v2, s2
	v_cmp_gt_u32_e64 s1, s7, v6
	;; [unrolled: 2-line block ×3, first 2 shown]
	s_cselect_b32 s15, -1, 0
                                        ; implicit-def: $vgpr5
	s_delay_alu instid0(VALU_DEP_1)
	s_and_saveexec_b32 s17, s7
	s_cbranch_execnz .LBB247_59
; %bb.52:
	s_or_b32 exec_lo, exec_lo, s17
                                        ; implicit-def: $vgpr7
	s_and_saveexec_b32 s17, s6
	s_cbranch_execnz .LBB247_66
.LBB247_53:
	s_or_b32 exec_lo, exec_lo, s17
                                        ; implicit-def: $vgpr8
	s_and_saveexec_b32 s17, s5
	s_cbranch_execnz .LBB247_73
.LBB247_54:
	s_or_b32 exec_lo, exec_lo, s17
                                        ; implicit-def: $vgpr10
	s_and_saveexec_b32 s17, s4
	s_cbranch_execnz .LBB247_80
.LBB247_55:
	s_or_b32 exec_lo, exec_lo, s17
                                        ; implicit-def: $vgpr11
	s_and_saveexec_b32 s17, s3
	s_cbranch_execnz .LBB247_87
.LBB247_56:
	s_or_b32 exec_lo, exec_lo, s17
                                        ; implicit-def: $vgpr12
	s_and_saveexec_b32 s17, s2
	s_cbranch_execnz .LBB247_94
.LBB247_57:
	s_or_b32 exec_lo, exec_lo, s17
                                        ; implicit-def: $vgpr9
	s_and_saveexec_b32 s17, s1
	s_cbranch_execnz .LBB247_101
.LBB247_58:
	s_or_b32 exec_lo, exec_lo, s17
                                        ; implicit-def: $vgpr3
	s_and_saveexec_b32 s17, s0
	s_cbranch_execnz .LBB247_108
	s_branch .LBB247_115
.LBB247_59:
	v_mov_b32_e32 v1, 0
	v_mov_b32_e32 v2, 0
	s_and_not1_b32 vcc_lo, exec_lo, s15
	s_cbranch_vccnz .LBB247_63
; %bb.60:
	v_dual_mov_b32 v3, s12 :: v_dual_mov_b32 v4, s13
	s_mov_b32 s18, 0
	.p2align	6
.LBB247_61:                             ; =>This Inner Loop Header: Depth=1
	s_delay_alu instid0(VALU_DEP_1) | instskip(NEXT) | instid1(VALU_DEP_2)
	v_sub_co_u32 v12, vcc_lo, v3, v1
	v_sub_co_ci_u32_e32 v13, vcc_lo, v4, v2, vcc_lo
	s_delay_alu instid0(VALU_DEP_1) | instskip(SKIP_1) | instid1(VALU_DEP_2)
	v_lshrrev_b64 v[14:15], 1, v[12:13]
	v_lshrrev_b64 v[12:13], 6, v[12:13]
	v_add_co_u32 v5, vcc_lo, v14, v1
	s_delay_alu instid0(VALU_DEP_3) | instskip(NEXT) | instid1(VALU_DEP_2)
	v_add_co_ci_u32_e32 v7, vcc_lo, v15, v2, vcc_lo
	v_add_co_u32 v12, vcc_lo, v5, v12
	s_delay_alu instid0(VALU_DEP_2) | instskip(NEXT) | instid1(VALU_DEP_1)
	v_add_co_ci_u32_e32 v13, vcc_lo, v7, v13, vcc_lo
	v_lshlrev_b64 v[14:15], 1, v[12:13]
	s_delay_alu instid0(VALU_DEP_1) | instskip(NEXT) | instid1(VALU_DEP_2)
	v_add_co_u32 v14, vcc_lo, s10, v14
	v_add_co_ci_u32_e32 v15, vcc_lo, s11, v15, vcc_lo
	v_add_co_u32 v7, vcc_lo, v12, 1
	v_add_co_ci_u32_e32 v10, vcc_lo, 0, v13, vcc_lo
	global_load_u16 v5, v[14:15], off
	s_waitcnt vmcnt(0)
	v_cmp_lt_i16_e32 vcc_lo, v5, v8
	v_dual_cndmask_b32 v4, v13, v4 :: v_dual_cndmask_b32 v3, v12, v3
	v_dual_cndmask_b32 v2, v2, v10 :: v_dual_cndmask_b32 v1, v1, v7
	s_delay_alu instid0(VALU_DEP_1) | instskip(SKIP_1) | instid1(SALU_CYCLE_1)
	v_cmp_ge_u64_e32 vcc_lo, v[1:2], v[3:4]
	s_or_b32 s18, vcc_lo, s18
	s_and_not1_b32 exec_lo, exec_lo, s18
	s_cbranch_execnz .LBB247_61
; %bb.62:
	s_or_b32 exec_lo, exec_lo, s18
.LBB247_63:
	s_mov_b32 s19, 0
	s_mov_b32 s18, exec_lo
	v_cmpx_ne_u64_e64 s[12:13], v[1:2]
	s_cbranch_execz .LBB247_65
; %bb.64:
	v_lshlrev_b64 v[1:2], 1, v[1:2]
	s_delay_alu instid0(VALU_DEP_1) | instskip(NEXT) | instid1(VALU_DEP_2)
	v_add_co_u32 v1, vcc_lo, s10, v1
	v_add_co_ci_u32_e32 v2, vcc_lo, s11, v2, vcc_lo
	global_load_u16 v1, v[1:2], off
	s_waitcnt vmcnt(0)
	v_cmp_le_i16_e32 vcc_lo, v1, v8
	s_and_b32 s19, vcc_lo, exec_lo
.LBB247_65:
	s_or_b32 exec_lo, exec_lo, s18
	v_cndmask_b32_e64 v5, 0, 1, s19
	s_or_b32 exec_lo, exec_lo, s17
                                        ; implicit-def: $vgpr7
	s_and_saveexec_b32 s17, s6
	s_cbranch_execz .LBB247_53
.LBB247_66:
	v_mov_b32_e32 v1, 0
	v_lshrrev_b32_e32 v7, 16, v8
	v_mov_b32_e32 v2, 0
	s_and_not1_b32 vcc_lo, exec_lo, s15
	s_cbranch_vccnz .LBB247_70
; %bb.67:
	v_dual_mov_b32 v3, s12 :: v_dual_mov_b32 v4, s13
	s_mov_b32 s18, 0
	.p2align	6
.LBB247_68:                             ; =>This Inner Loop Header: Depth=1
	s_delay_alu instid0(VALU_DEP_1) | instskip(NEXT) | instid1(VALU_DEP_2)
	v_sub_co_u32 v12, vcc_lo, v3, v1
	v_sub_co_ci_u32_e32 v13, vcc_lo, v4, v2, vcc_lo
	s_delay_alu instid0(VALU_DEP_1) | instskip(SKIP_1) | instid1(VALU_DEP_2)
	v_lshrrev_b64 v[14:15], 1, v[12:13]
	v_lshrrev_b64 v[12:13], 6, v[12:13]
	v_add_co_u32 v8, vcc_lo, v14, v1
	s_delay_alu instid0(VALU_DEP_3) | instskip(NEXT) | instid1(VALU_DEP_2)
	v_add_co_ci_u32_e32 v10, vcc_lo, v15, v2, vcc_lo
	v_add_co_u32 v12, vcc_lo, v8, v12
	s_delay_alu instid0(VALU_DEP_2) | instskip(NEXT) | instid1(VALU_DEP_1)
	v_add_co_ci_u32_e32 v13, vcc_lo, v10, v13, vcc_lo
	v_lshlrev_b64 v[14:15], 1, v[12:13]
	s_delay_alu instid0(VALU_DEP_1) | instskip(NEXT) | instid1(VALU_DEP_2)
	v_add_co_u32 v14, vcc_lo, s10, v14
	v_add_co_ci_u32_e32 v15, vcc_lo, s11, v15, vcc_lo
	v_add_co_u32 v10, vcc_lo, v12, 1
	global_load_u16 v8, v[14:15], off
	v_add_co_ci_u32_e32 v14, vcc_lo, 0, v13, vcc_lo
	s_waitcnt vmcnt(0)
	v_cmp_lt_i16_e32 vcc_lo, v8, v7
	v_dual_cndmask_b32 v4, v13, v4 :: v_dual_cndmask_b32 v3, v12, v3
	s_delay_alu instid0(VALU_DEP_3) | instskip(SKIP_1) | instid1(VALU_DEP_1)
	v_cndmask_b32_e32 v2, v2, v14, vcc_lo
	v_cndmask_b32_e32 v1, v1, v10, vcc_lo
	v_cmp_ge_u64_e32 vcc_lo, v[1:2], v[3:4]
	s_or_b32 s18, vcc_lo, s18
	s_delay_alu instid0(SALU_CYCLE_1)
	s_and_not1_b32 exec_lo, exec_lo, s18
	s_cbranch_execnz .LBB247_68
; %bb.69:
	s_or_b32 exec_lo, exec_lo, s18
.LBB247_70:
	s_mov_b32 s19, 0
	s_mov_b32 s18, exec_lo
	v_cmpx_ne_u64_e64 s[12:13], v[1:2]
	s_cbranch_execz .LBB247_72
; %bb.71:
	v_lshlrev_b64 v[1:2], 1, v[1:2]
	s_delay_alu instid0(VALU_DEP_1) | instskip(NEXT) | instid1(VALU_DEP_2)
	v_add_co_u32 v1, vcc_lo, s10, v1
	v_add_co_ci_u32_e32 v2, vcc_lo, s11, v2, vcc_lo
	global_load_u16 v1, v[1:2], off
	s_waitcnt vmcnt(0)
	v_cmp_le_i16_e32 vcc_lo, v1, v7
	s_and_b32 s19, vcc_lo, exec_lo
.LBB247_72:
	s_or_b32 exec_lo, exec_lo, s18
	v_cndmask_b32_e64 v7, 0, 1, s19
	s_or_b32 exec_lo, exec_lo, s17
                                        ; implicit-def: $vgpr8
	s_and_saveexec_b32 s17, s5
	s_cbranch_execz .LBB247_54
.LBB247_73:
	v_mov_b32_e32 v1, 0
	v_mov_b32_e32 v2, 0
	s_and_not1_b32 vcc_lo, exec_lo, s15
	s_cbranch_vccnz .LBB247_77
; %bb.74:
	v_dual_mov_b32 v3, s12 :: v_dual_mov_b32 v4, s13
	s_mov_b32 s18, 0
	.p2align	6
.LBB247_75:                             ; =>This Inner Loop Header: Depth=1
	s_delay_alu instid0(VALU_DEP_1) | instskip(NEXT) | instid1(VALU_DEP_2)
	v_sub_co_u32 v12, vcc_lo, v3, v1
	v_sub_co_ci_u32_e32 v13, vcc_lo, v4, v2, vcc_lo
	s_delay_alu instid0(VALU_DEP_1) | instskip(SKIP_1) | instid1(VALU_DEP_2)
	v_lshrrev_b64 v[14:15], 1, v[12:13]
	v_lshrrev_b64 v[12:13], 6, v[12:13]
	v_add_co_u32 v8, vcc_lo, v14, v1
	s_delay_alu instid0(VALU_DEP_3) | instskip(NEXT) | instid1(VALU_DEP_2)
	v_add_co_ci_u32_e32 v10, vcc_lo, v15, v2, vcc_lo
	v_add_co_u32 v12, vcc_lo, v8, v12
	s_delay_alu instid0(VALU_DEP_2) | instskip(NEXT) | instid1(VALU_DEP_1)
	v_add_co_ci_u32_e32 v13, vcc_lo, v10, v13, vcc_lo
	v_lshlrev_b64 v[14:15], 1, v[12:13]
	s_delay_alu instid0(VALU_DEP_1) | instskip(NEXT) | instid1(VALU_DEP_2)
	v_add_co_u32 v14, vcc_lo, s10, v14
	v_add_co_ci_u32_e32 v15, vcc_lo, s11, v15, vcc_lo
	v_add_co_u32 v10, vcc_lo, v12, 1
	global_load_u16 v8, v[14:15], off
	v_add_co_ci_u32_e32 v14, vcc_lo, 0, v13, vcc_lo
	s_waitcnt vmcnt(0)
	v_cmp_lt_i16_e32 vcc_lo, v8, v11
	v_dual_cndmask_b32 v4, v13, v4 :: v_dual_cndmask_b32 v3, v12, v3
	s_delay_alu instid0(VALU_DEP_3) | instskip(SKIP_1) | instid1(VALU_DEP_1)
	v_cndmask_b32_e32 v2, v2, v14, vcc_lo
	v_cndmask_b32_e32 v1, v1, v10, vcc_lo
	v_cmp_ge_u64_e32 vcc_lo, v[1:2], v[3:4]
	s_or_b32 s18, vcc_lo, s18
	s_delay_alu instid0(SALU_CYCLE_1)
	s_and_not1_b32 exec_lo, exec_lo, s18
	s_cbranch_execnz .LBB247_75
; %bb.76:
	s_or_b32 exec_lo, exec_lo, s18
.LBB247_77:
	s_mov_b32 s19, 0
	s_mov_b32 s18, exec_lo
	v_cmpx_ne_u64_e64 s[12:13], v[1:2]
	s_cbranch_execz .LBB247_79
; %bb.78:
	v_lshlrev_b64 v[1:2], 1, v[1:2]
	s_delay_alu instid0(VALU_DEP_1) | instskip(NEXT) | instid1(VALU_DEP_2)
	v_add_co_u32 v1, vcc_lo, s10, v1
	v_add_co_ci_u32_e32 v2, vcc_lo, s11, v2, vcc_lo
	global_load_u16 v1, v[1:2], off
	s_waitcnt vmcnt(0)
	v_cmp_le_i16_e32 vcc_lo, v1, v11
	s_and_b32 s19, vcc_lo, exec_lo
.LBB247_79:
	s_or_b32 exec_lo, exec_lo, s18
	v_cndmask_b32_e64 v8, 0, 1, s19
	s_or_b32 exec_lo, exec_lo, s17
                                        ; implicit-def: $vgpr10
	s_and_saveexec_b32 s17, s4
	s_cbranch_execz .LBB247_55
.LBB247_80:
	v_mov_b32_e32 v1, 0
	v_lshrrev_b32_e32 v10, 16, v11
	v_mov_b32_e32 v2, 0
	s_and_not1_b32 vcc_lo, exec_lo, s15
	s_cbranch_vccnz .LBB247_84
; %bb.81:
	v_dual_mov_b32 v3, s12 :: v_dual_mov_b32 v4, s13
	s_mov_b32 s18, 0
	.p2align	6
.LBB247_82:                             ; =>This Inner Loop Header: Depth=1
	s_delay_alu instid0(VALU_DEP_1) | instskip(NEXT) | instid1(VALU_DEP_2)
	v_sub_co_u32 v11, vcc_lo, v3, v1
	v_sub_co_ci_u32_e32 v12, vcc_lo, v4, v2, vcc_lo
	s_delay_alu instid0(VALU_DEP_1) | instskip(SKIP_1) | instid1(VALU_DEP_2)
	v_lshrrev_b64 v[13:14], 1, v[11:12]
	v_lshrrev_b64 v[11:12], 6, v[11:12]
	v_add_co_u32 v13, vcc_lo, v13, v1
	s_delay_alu instid0(VALU_DEP_3) | instskip(NEXT) | instid1(VALU_DEP_2)
	v_add_co_ci_u32_e32 v14, vcc_lo, v14, v2, vcc_lo
	v_add_co_u32 v11, vcc_lo, v13, v11
	s_delay_alu instid0(VALU_DEP_2) | instskip(NEXT) | instid1(VALU_DEP_1)
	v_add_co_ci_u32_e32 v12, vcc_lo, v14, v12, vcc_lo
	v_lshlrev_b64 v[13:14], 1, v[11:12]
	s_delay_alu instid0(VALU_DEP_1) | instskip(NEXT) | instid1(VALU_DEP_2)
	v_add_co_u32 v13, vcc_lo, s10, v13
	v_add_co_ci_u32_e32 v14, vcc_lo, s11, v14, vcc_lo
	global_load_u16 v13, v[13:14], off
	v_add_co_u32 v14, vcc_lo, v11, 1
	v_add_co_ci_u32_e32 v15, vcc_lo, 0, v12, vcc_lo
	s_waitcnt vmcnt(0)
	v_cmp_lt_i16_e32 vcc_lo, v13, v10
	v_dual_cndmask_b32 v4, v12, v4 :: v_dual_cndmask_b32 v3, v11, v3
	s_delay_alu instid0(VALU_DEP_3) | instskip(NEXT) | instid1(VALU_DEP_1)
	v_dual_cndmask_b32 v2, v2, v15 :: v_dual_cndmask_b32 v1, v1, v14
	v_cmp_ge_u64_e32 vcc_lo, v[1:2], v[3:4]
	s_or_b32 s18, vcc_lo, s18
	s_delay_alu instid0(SALU_CYCLE_1)
	s_and_not1_b32 exec_lo, exec_lo, s18
	s_cbranch_execnz .LBB247_82
; %bb.83:
	s_or_b32 exec_lo, exec_lo, s18
.LBB247_84:
	s_mov_b32 s19, 0
	s_mov_b32 s18, exec_lo
	v_cmpx_ne_u64_e64 s[12:13], v[1:2]
	s_cbranch_execz .LBB247_86
; %bb.85:
	v_lshlrev_b64 v[1:2], 1, v[1:2]
	s_delay_alu instid0(VALU_DEP_1) | instskip(NEXT) | instid1(VALU_DEP_2)
	v_add_co_u32 v1, vcc_lo, s10, v1
	v_add_co_ci_u32_e32 v2, vcc_lo, s11, v2, vcc_lo
	global_load_u16 v1, v[1:2], off
	s_waitcnt vmcnt(0)
	v_cmp_le_i16_e32 vcc_lo, v1, v10
	s_and_b32 s19, vcc_lo, exec_lo
.LBB247_86:
	s_or_b32 exec_lo, exec_lo, s18
	v_cndmask_b32_e64 v10, 0, 1, s19
	s_or_b32 exec_lo, exec_lo, s17
                                        ; implicit-def: $vgpr11
	s_and_saveexec_b32 s17, s3
	s_cbranch_execz .LBB247_56
.LBB247_87:
	v_mov_b32_e32 v1, 0
	v_mov_b32_e32 v2, 0
	s_and_not1_b32 vcc_lo, exec_lo, s15
	s_cbranch_vccnz .LBB247_91
; %bb.88:
	v_dual_mov_b32 v3, s12 :: v_dual_mov_b32 v4, s13
	s_mov_b32 s18, 0
	.p2align	6
.LBB247_89:                             ; =>This Inner Loop Header: Depth=1
	s_delay_alu instid0(VALU_DEP_1) | instskip(NEXT) | instid1(VALU_DEP_2)
	v_sub_co_u32 v11, vcc_lo, v3, v1
	v_sub_co_ci_u32_e32 v12, vcc_lo, v4, v2, vcc_lo
	s_delay_alu instid0(VALU_DEP_1) | instskip(SKIP_1) | instid1(VALU_DEP_2)
	v_lshrrev_b64 v[13:14], 1, v[11:12]
	v_lshrrev_b64 v[11:12], 6, v[11:12]
	v_add_co_u32 v13, vcc_lo, v13, v1
	s_delay_alu instid0(VALU_DEP_3) | instskip(NEXT) | instid1(VALU_DEP_2)
	v_add_co_ci_u32_e32 v14, vcc_lo, v14, v2, vcc_lo
	v_add_co_u32 v11, vcc_lo, v13, v11
	s_delay_alu instid0(VALU_DEP_2) | instskip(NEXT) | instid1(VALU_DEP_1)
	v_add_co_ci_u32_e32 v12, vcc_lo, v14, v12, vcc_lo
	v_lshlrev_b64 v[13:14], 1, v[11:12]
	s_delay_alu instid0(VALU_DEP_1) | instskip(NEXT) | instid1(VALU_DEP_2)
	v_add_co_u32 v13, vcc_lo, s10, v13
	v_add_co_ci_u32_e32 v14, vcc_lo, s11, v14, vcc_lo
	global_load_u16 v13, v[13:14], off
	v_add_co_u32 v14, vcc_lo, v11, 1
	v_add_co_ci_u32_e32 v15, vcc_lo, 0, v12, vcc_lo
	s_waitcnt vmcnt(0)
	v_cmp_lt_i16_e32 vcc_lo, v13, v9
	v_dual_cndmask_b32 v4, v12, v4 :: v_dual_cndmask_b32 v3, v11, v3
	s_delay_alu instid0(VALU_DEP_3) | instskip(NEXT) | instid1(VALU_DEP_1)
	v_dual_cndmask_b32 v2, v2, v15 :: v_dual_cndmask_b32 v1, v1, v14
	v_cmp_ge_u64_e32 vcc_lo, v[1:2], v[3:4]
	s_or_b32 s18, vcc_lo, s18
	s_delay_alu instid0(SALU_CYCLE_1)
	s_and_not1_b32 exec_lo, exec_lo, s18
	s_cbranch_execnz .LBB247_89
; %bb.90:
	s_or_b32 exec_lo, exec_lo, s18
.LBB247_91:
	s_mov_b32 s19, 0
	s_mov_b32 s18, exec_lo
	v_cmpx_ne_u64_e64 s[12:13], v[1:2]
	s_cbranch_execz .LBB247_93
; %bb.92:
	v_lshlrev_b64 v[1:2], 1, v[1:2]
	s_delay_alu instid0(VALU_DEP_1) | instskip(NEXT) | instid1(VALU_DEP_2)
	v_add_co_u32 v1, vcc_lo, s10, v1
	v_add_co_ci_u32_e32 v2, vcc_lo, s11, v2, vcc_lo
	global_load_u16 v1, v[1:2], off
	s_waitcnt vmcnt(0)
	v_cmp_le_i16_e32 vcc_lo, v1, v9
	s_and_b32 s19, vcc_lo, exec_lo
.LBB247_93:
	s_or_b32 exec_lo, exec_lo, s18
	v_cndmask_b32_e64 v11, 0, 1, s19
	s_or_b32 exec_lo, exec_lo, s17
                                        ; implicit-def: $vgpr12
	s_and_saveexec_b32 s17, s2
	s_cbranch_execz .LBB247_57
.LBB247_94:
	v_mov_b32_e32 v1, 0
	v_lshrrev_b32_e32 v9, 16, v9
	v_mov_b32_e32 v2, 0
	s_and_not1_b32 vcc_lo, exec_lo, s15
	s_cbranch_vccnz .LBB247_98
; %bb.95:
	v_dual_mov_b32 v3, s12 :: v_dual_mov_b32 v4, s13
	s_mov_b32 s18, 0
	.p2align	6
.LBB247_96:                             ; =>This Inner Loop Header: Depth=1
	s_delay_alu instid0(VALU_DEP_1) | instskip(NEXT) | instid1(VALU_DEP_2)
	v_sub_co_u32 v12, vcc_lo, v3, v1
	v_sub_co_ci_u32_e32 v13, vcc_lo, v4, v2, vcc_lo
	s_delay_alu instid0(VALU_DEP_1) | instskip(SKIP_1) | instid1(VALU_DEP_2)
	v_lshrrev_b64 v[14:15], 1, v[12:13]
	v_lshrrev_b64 v[12:13], 6, v[12:13]
	v_add_co_u32 v14, vcc_lo, v14, v1
	s_delay_alu instid0(VALU_DEP_3) | instskip(NEXT) | instid1(VALU_DEP_2)
	v_add_co_ci_u32_e32 v15, vcc_lo, v15, v2, vcc_lo
	v_add_co_u32 v12, vcc_lo, v14, v12
	s_delay_alu instid0(VALU_DEP_2) | instskip(NEXT) | instid1(VALU_DEP_1)
	v_add_co_ci_u32_e32 v13, vcc_lo, v15, v13, vcc_lo
	v_lshlrev_b64 v[14:15], 1, v[12:13]
	s_delay_alu instid0(VALU_DEP_1) | instskip(NEXT) | instid1(VALU_DEP_2)
	v_add_co_u32 v14, vcc_lo, s10, v14
	v_add_co_ci_u32_e32 v15, vcc_lo, s11, v15, vcc_lo
	global_load_u16 v14, v[14:15], off
	v_add_co_u32 v15, vcc_lo, v12, 1
	v_add_co_ci_u32_e32 v16, vcc_lo, 0, v13, vcc_lo
	s_waitcnt vmcnt(0)
	v_cmp_lt_i16_e32 vcc_lo, v14, v9
	v_dual_cndmask_b32 v4, v13, v4 :: v_dual_cndmask_b32 v3, v12, v3
	s_delay_alu instid0(VALU_DEP_3) | instskip(NEXT) | instid1(VALU_DEP_1)
	v_dual_cndmask_b32 v2, v2, v16 :: v_dual_cndmask_b32 v1, v1, v15
	v_cmp_ge_u64_e32 vcc_lo, v[1:2], v[3:4]
	s_or_b32 s18, vcc_lo, s18
	s_delay_alu instid0(SALU_CYCLE_1)
	s_and_not1_b32 exec_lo, exec_lo, s18
	s_cbranch_execnz .LBB247_96
; %bb.97:
	s_or_b32 exec_lo, exec_lo, s18
.LBB247_98:
	s_mov_b32 s19, 0
	s_mov_b32 s18, exec_lo
	v_cmpx_ne_u64_e64 s[12:13], v[1:2]
	s_cbranch_execz .LBB247_100
; %bb.99:
	v_lshlrev_b64 v[1:2], 1, v[1:2]
	s_delay_alu instid0(VALU_DEP_1) | instskip(NEXT) | instid1(VALU_DEP_2)
	v_add_co_u32 v1, vcc_lo, s10, v1
	v_add_co_ci_u32_e32 v2, vcc_lo, s11, v2, vcc_lo
	global_load_u16 v1, v[1:2], off
	s_waitcnt vmcnt(0)
	v_cmp_le_i16_e32 vcc_lo, v1, v9
	s_and_b32 s19, vcc_lo, exec_lo
.LBB247_100:
	s_or_b32 exec_lo, exec_lo, s18
	v_cndmask_b32_e64 v12, 0, 1, s19
	s_or_b32 exec_lo, exec_lo, s17
                                        ; implicit-def: $vgpr9
	s_and_saveexec_b32 s17, s1
	s_cbranch_execz .LBB247_58
.LBB247_101:
	v_mov_b32_e32 v1, 0
	v_mov_b32_e32 v2, 0
	s_and_not1_b32 vcc_lo, exec_lo, s15
	s_cbranch_vccnz .LBB247_105
; %bb.102:
	v_dual_mov_b32 v3, s12 :: v_dual_mov_b32 v4, s13
	s_mov_b32 s18, 0
	.p2align	6
.LBB247_103:                            ; =>This Inner Loop Header: Depth=1
	s_delay_alu instid0(VALU_DEP_1) | instskip(NEXT) | instid1(VALU_DEP_2)
	v_sub_co_u32 v13, vcc_lo, v3, v1
	v_sub_co_ci_u32_e32 v14, vcc_lo, v4, v2, vcc_lo
	s_delay_alu instid0(VALU_DEP_1) | instskip(SKIP_1) | instid1(VALU_DEP_2)
	v_lshrrev_b64 v[15:16], 1, v[13:14]
	v_lshrrev_b64 v[13:14], 6, v[13:14]
	v_add_co_u32 v9, vcc_lo, v15, v1
	s_delay_alu instid0(VALU_DEP_3) | instskip(NEXT) | instid1(VALU_DEP_2)
	v_add_co_ci_u32_e32 v15, vcc_lo, v16, v2, vcc_lo
	v_add_co_u32 v13, vcc_lo, v9, v13
	s_delay_alu instid0(VALU_DEP_2) | instskip(NEXT) | instid1(VALU_DEP_1)
	v_add_co_ci_u32_e32 v14, vcc_lo, v15, v14, vcc_lo
	v_lshlrev_b64 v[15:16], 1, v[13:14]
	s_delay_alu instid0(VALU_DEP_1) | instskip(NEXT) | instid1(VALU_DEP_2)
	v_add_co_u32 v15, vcc_lo, s10, v15
	v_add_co_ci_u32_e32 v16, vcc_lo, s11, v16, vcc_lo
	global_load_u16 v9, v[15:16], off
	v_add_co_u32 v15, vcc_lo, v13, 1
	v_add_co_ci_u32_e32 v16, vcc_lo, 0, v14, vcc_lo
	s_waitcnt vmcnt(0)
	v_cmp_lt_i16_e32 vcc_lo, v9, v6
	v_dual_cndmask_b32 v4, v14, v4 :: v_dual_cndmask_b32 v3, v13, v3
	s_delay_alu instid0(VALU_DEP_3) | instskip(NEXT) | instid1(VALU_DEP_1)
	v_dual_cndmask_b32 v2, v2, v16 :: v_dual_cndmask_b32 v1, v1, v15
	v_cmp_ge_u64_e32 vcc_lo, v[1:2], v[3:4]
	s_or_b32 s18, vcc_lo, s18
	s_delay_alu instid0(SALU_CYCLE_1)
	s_and_not1_b32 exec_lo, exec_lo, s18
	s_cbranch_execnz .LBB247_103
; %bb.104:
	s_or_b32 exec_lo, exec_lo, s18
.LBB247_105:
	s_mov_b32 s19, 0
	s_mov_b32 s18, exec_lo
	v_cmpx_ne_u64_e64 s[12:13], v[1:2]
	s_cbranch_execz .LBB247_107
; %bb.106:
	v_lshlrev_b64 v[1:2], 1, v[1:2]
	s_delay_alu instid0(VALU_DEP_1) | instskip(NEXT) | instid1(VALU_DEP_2)
	v_add_co_u32 v1, vcc_lo, s10, v1
	v_add_co_ci_u32_e32 v2, vcc_lo, s11, v2, vcc_lo
	global_load_u16 v1, v[1:2], off
	s_waitcnt vmcnt(0)
	v_cmp_le_i16_e32 vcc_lo, v1, v6
	s_and_b32 s19, vcc_lo, exec_lo
.LBB247_107:
	s_or_b32 exec_lo, exec_lo, s18
	v_cndmask_b32_e64 v9, 0, 1, s19
	s_or_b32 exec_lo, exec_lo, s17
                                        ; implicit-def: $vgpr3
	s_and_saveexec_b32 s17, s0
	s_cbranch_execz .LBB247_115
.LBB247_108:
	v_mov_b32_e32 v1, 0
	v_lshrrev_b32_e32 v6, 16, v6
	v_mov_b32_e32 v2, 0
	s_and_not1_b32 vcc_lo, exec_lo, s15
	s_cbranch_vccnz .LBB247_112
; %bb.109:
	v_dual_mov_b32 v3, s12 :: v_dual_mov_b32 v4, s13
	s_mov_b32 s15, 0
	.p2align	6
.LBB247_110:                            ; =>This Inner Loop Header: Depth=1
	s_delay_alu instid0(VALU_DEP_1) | instskip(NEXT) | instid1(VALU_DEP_2)
	v_sub_co_u32 v13, vcc_lo, v3, v1
	v_sub_co_ci_u32_e32 v14, vcc_lo, v4, v2, vcc_lo
	s_delay_alu instid0(VALU_DEP_1) | instskip(SKIP_1) | instid1(VALU_DEP_2)
	v_lshrrev_b64 v[15:16], 1, v[13:14]
	v_lshrrev_b64 v[13:14], 6, v[13:14]
	v_add_co_u32 v15, vcc_lo, v15, v1
	s_delay_alu instid0(VALU_DEP_3) | instskip(NEXT) | instid1(VALU_DEP_2)
	v_add_co_ci_u32_e32 v16, vcc_lo, v16, v2, vcc_lo
	v_add_co_u32 v13, vcc_lo, v15, v13
	s_delay_alu instid0(VALU_DEP_2) | instskip(NEXT) | instid1(VALU_DEP_1)
	v_add_co_ci_u32_e32 v14, vcc_lo, v16, v14, vcc_lo
	v_lshlrev_b64 v[15:16], 1, v[13:14]
	s_delay_alu instid0(VALU_DEP_1) | instskip(NEXT) | instid1(VALU_DEP_2)
	v_add_co_u32 v15, vcc_lo, s10, v15
	v_add_co_ci_u32_e32 v16, vcc_lo, s11, v16, vcc_lo
	global_load_u16 v15, v[15:16], off
	v_add_co_u32 v16, vcc_lo, v13, 1
	v_add_co_ci_u32_e32 v17, vcc_lo, 0, v14, vcc_lo
	s_waitcnt vmcnt(0)
	v_cmp_lt_i16_e32 vcc_lo, v15, v6
	v_dual_cndmask_b32 v4, v14, v4 :: v_dual_cndmask_b32 v3, v13, v3
	s_delay_alu instid0(VALU_DEP_3) | instskip(NEXT) | instid1(VALU_DEP_1)
	v_dual_cndmask_b32 v2, v2, v17 :: v_dual_cndmask_b32 v1, v1, v16
	v_cmp_ge_u64_e32 vcc_lo, v[1:2], v[3:4]
	s_or_b32 s15, vcc_lo, s15
	s_delay_alu instid0(SALU_CYCLE_1)
	s_and_not1_b32 exec_lo, exec_lo, s15
	s_cbranch_execnz .LBB247_110
; %bb.111:
	s_or_b32 exec_lo, exec_lo, s15
.LBB247_112:
	s_delay_alu instid0(VALU_DEP_1)
	v_cmp_ne_u64_e32 vcc_lo, s[12:13], v[1:2]
	s_mov_b32 s13, 0
	s_and_saveexec_b32 s12, vcc_lo
	s_cbranch_execz .LBB247_114
; %bb.113:
	v_lshlrev_b64 v[1:2], 1, v[1:2]
	s_delay_alu instid0(VALU_DEP_1) | instskip(NEXT) | instid1(VALU_DEP_2)
	v_add_co_u32 v1, vcc_lo, s10, v1
	v_add_co_ci_u32_e32 v2, vcc_lo, s11, v2, vcc_lo
	global_load_u16 v1, v[1:2], off
	s_waitcnt vmcnt(0)
	v_cmp_le_i16_e32 vcc_lo, v1, v6
	s_and_b32 s13, vcc_lo, exec_lo
.LBB247_114:
	s_or_b32 exec_lo, exec_lo, s12
	v_cndmask_b32_e64 v3, 0, 1, s13
.LBB247_115:
	s_or_b32 exec_lo, exec_lo, s17
	s_add_u32 s8, s8, s14
	s_addc_u32 s9, s9, 0
	v_add_co_u32 v1, s8, s8, v0
	s_delay_alu instid0(VALU_DEP_1) | instskip(SKIP_1) | instid1(SALU_CYCLE_1)
	v_add_co_ci_u32_e64 v2, null, s9, 0, s8
	s_and_saveexec_b32 s8, s7
	s_xor_b32 s7, exec_lo, s8
	s_cbranch_execnz .LBB247_128
; %bb.116:
	s_or_b32 exec_lo, exec_lo, s7
	s_and_saveexec_b32 s7, s6
	s_cbranch_execnz .LBB247_129
.LBB247_117:
	s_or_b32 exec_lo, exec_lo, s7
	s_and_saveexec_b32 s6, s5
	s_cbranch_execnz .LBB247_130
.LBB247_118:
	s_or_b32 exec_lo, exec_lo, s6
	s_and_saveexec_b32 s5, s4
	s_cbranch_execnz .LBB247_131
.LBB247_119:
	s_or_b32 exec_lo, exec_lo, s5
	s_and_saveexec_b32 s4, s3
	s_cbranch_execnz .LBB247_132
.LBB247_120:
	s_or_b32 exec_lo, exec_lo, s4
	s_and_saveexec_b32 s3, s2
	s_cbranch_execnz .LBB247_133
.LBB247_121:
	s_or_b32 exec_lo, exec_lo, s3
	s_and_saveexec_b32 s2, s1
	s_cbranch_execnz .LBB247_134
.LBB247_122:
	s_or_b32 exec_lo, exec_lo, s2
	s_and_saveexec_b32 s1, s0
.LBB247_123:
	s_or_b32 s16, s16, exec_lo
.LBB247_124:
	s_or_b32 exec_lo, exec_lo, s1
.LBB247_125:
	s_and_saveexec_b32 s0, s16
	s_cbranch_execnz .LBB247_127
; %bb.126:
	s_nop 0
	s_sendmsg sendmsg(MSG_DEALLOC_VGPRS)
	s_endpgm
.LBB247_127:
	global_store_b8 v[1:2], v3, off offset:448
	s_nop 0
	s_sendmsg sendmsg(MSG_DEALLOC_VGPRS)
	s_endpgm
.LBB247_128:
	global_store_b8 v[1:2], v5, off
	s_or_b32 exec_lo, exec_lo, s7
	s_and_saveexec_b32 s7, s6
	s_cbranch_execz .LBB247_117
.LBB247_129:
	global_store_b8 v[1:2], v7, off offset:64
	s_or_b32 exec_lo, exec_lo, s7
	s_and_saveexec_b32 s6, s5
	s_cbranch_execz .LBB247_118
.LBB247_130:
	global_store_b8 v[1:2], v8, off offset:128
	s_or_b32 exec_lo, exec_lo, s6
	s_and_saveexec_b32 s5, s4
	s_cbranch_execz .LBB247_119
.LBB247_131:
	global_store_b8 v[1:2], v10, off offset:192
	s_or_b32 exec_lo, exec_lo, s5
	s_and_saveexec_b32 s4, s3
	s_cbranch_execz .LBB247_120
.LBB247_132:
	global_store_b8 v[1:2], v11, off offset:256
	s_or_b32 exec_lo, exec_lo, s4
	s_and_saveexec_b32 s3, s2
	s_cbranch_execz .LBB247_121
.LBB247_133:
	global_store_b8 v[1:2], v12, off offset:320
	s_or_b32 exec_lo, exec_lo, s3
	s_and_saveexec_b32 s2, s1
	s_cbranch_execz .LBB247_122
.LBB247_134:
	global_store_b8 v[1:2], v9, off offset:384
	s_or_b32 exec_lo, exec_lo, s2
	s_and_saveexec_b32 s1, s0
	s_cbranch_execnz .LBB247_123
	s_branch .LBB247_124
	.section	.rodata,"a",@progbits
	.p2align	6, 0x0
	.amdhsa_kernel _ZN7rocprim17ROCPRIM_400000_NS6detail17trampoline_kernelINS0_14default_configENS1_29binary_search_config_selectorIsbEEZNS1_14transform_implILb0ES3_S5_N6thrust23THRUST_200600_302600_NS17counting_iteratorIsNS8_11use_defaultESA_SA_EEPbZNS1_13binary_searchIS3_S5_PsSB_SC_NS1_16binary_search_opENS8_6detail16wrapped_functionINS0_4lessIvEEbEEEE10hipError_tPvRmT1_T2_T3_mmT4_T5_P12ihipStream_tbEUlRKsE_EESL_SP_SQ_mSR_SU_bEUlT_E_NS1_11comp_targetILNS1_3genE9ELNS1_11target_archE1100ELNS1_3gpuE3ELNS1_3repE0EEENS1_30default_config_static_selectorELNS0_4arch9wavefront6targetE0EEEvSO_
		.amdhsa_group_segment_fixed_size 0
		.amdhsa_private_segment_fixed_size 0
		.amdhsa_kernarg_size 312
		.amdhsa_user_sgpr_count 15
		.amdhsa_user_sgpr_dispatch_ptr 0
		.amdhsa_user_sgpr_queue_ptr 0
		.amdhsa_user_sgpr_kernarg_segment_ptr 1
		.amdhsa_user_sgpr_dispatch_id 0
		.amdhsa_user_sgpr_private_segment_size 0
		.amdhsa_wavefront_size32 1
		.amdhsa_uses_dynamic_stack 0
		.amdhsa_enable_private_segment 0
		.amdhsa_system_sgpr_workgroup_id_x 1
		.amdhsa_system_sgpr_workgroup_id_y 0
		.amdhsa_system_sgpr_workgroup_id_z 0
		.amdhsa_system_sgpr_workgroup_info 0
		.amdhsa_system_vgpr_workitem_id 0
		.amdhsa_next_free_vgpr 18
		.amdhsa_next_free_sgpr 20
		.amdhsa_reserve_vcc 1
		.amdhsa_float_round_mode_32 0
		.amdhsa_float_round_mode_16_64 0
		.amdhsa_float_denorm_mode_32 3
		.amdhsa_float_denorm_mode_16_64 3
		.amdhsa_dx10_clamp 1
		.amdhsa_ieee_mode 1
		.amdhsa_fp16_overflow 0
		.amdhsa_workgroup_processor_mode 1
		.amdhsa_memory_ordered 1
		.amdhsa_forward_progress 0
		.amdhsa_shared_vgpr_count 0
		.amdhsa_exception_fp_ieee_invalid_op 0
		.amdhsa_exception_fp_denorm_src 0
		.amdhsa_exception_fp_ieee_div_zero 0
		.amdhsa_exception_fp_ieee_overflow 0
		.amdhsa_exception_fp_ieee_underflow 0
		.amdhsa_exception_fp_ieee_inexact 0
		.amdhsa_exception_int_div_zero 0
	.end_amdhsa_kernel
	.section	.text._ZN7rocprim17ROCPRIM_400000_NS6detail17trampoline_kernelINS0_14default_configENS1_29binary_search_config_selectorIsbEEZNS1_14transform_implILb0ES3_S5_N6thrust23THRUST_200600_302600_NS17counting_iteratorIsNS8_11use_defaultESA_SA_EEPbZNS1_13binary_searchIS3_S5_PsSB_SC_NS1_16binary_search_opENS8_6detail16wrapped_functionINS0_4lessIvEEbEEEE10hipError_tPvRmT1_T2_T3_mmT4_T5_P12ihipStream_tbEUlRKsE_EESL_SP_SQ_mSR_SU_bEUlT_E_NS1_11comp_targetILNS1_3genE9ELNS1_11target_archE1100ELNS1_3gpuE3ELNS1_3repE0EEENS1_30default_config_static_selectorELNS0_4arch9wavefront6targetE0EEEvSO_,"axG",@progbits,_ZN7rocprim17ROCPRIM_400000_NS6detail17trampoline_kernelINS0_14default_configENS1_29binary_search_config_selectorIsbEEZNS1_14transform_implILb0ES3_S5_N6thrust23THRUST_200600_302600_NS17counting_iteratorIsNS8_11use_defaultESA_SA_EEPbZNS1_13binary_searchIS3_S5_PsSB_SC_NS1_16binary_search_opENS8_6detail16wrapped_functionINS0_4lessIvEEbEEEE10hipError_tPvRmT1_T2_T3_mmT4_T5_P12ihipStream_tbEUlRKsE_EESL_SP_SQ_mSR_SU_bEUlT_E_NS1_11comp_targetILNS1_3genE9ELNS1_11target_archE1100ELNS1_3gpuE3ELNS1_3repE0EEENS1_30default_config_static_selectorELNS0_4arch9wavefront6targetE0EEEvSO_,comdat
.Lfunc_end247:
	.size	_ZN7rocprim17ROCPRIM_400000_NS6detail17trampoline_kernelINS0_14default_configENS1_29binary_search_config_selectorIsbEEZNS1_14transform_implILb0ES3_S5_N6thrust23THRUST_200600_302600_NS17counting_iteratorIsNS8_11use_defaultESA_SA_EEPbZNS1_13binary_searchIS3_S5_PsSB_SC_NS1_16binary_search_opENS8_6detail16wrapped_functionINS0_4lessIvEEbEEEE10hipError_tPvRmT1_T2_T3_mmT4_T5_P12ihipStream_tbEUlRKsE_EESL_SP_SQ_mSR_SU_bEUlT_E_NS1_11comp_targetILNS1_3genE9ELNS1_11target_archE1100ELNS1_3gpuE3ELNS1_3repE0EEENS1_30default_config_static_selectorELNS0_4arch9wavefront6targetE0EEEvSO_, .Lfunc_end247-_ZN7rocprim17ROCPRIM_400000_NS6detail17trampoline_kernelINS0_14default_configENS1_29binary_search_config_selectorIsbEEZNS1_14transform_implILb0ES3_S5_N6thrust23THRUST_200600_302600_NS17counting_iteratorIsNS8_11use_defaultESA_SA_EEPbZNS1_13binary_searchIS3_S5_PsSB_SC_NS1_16binary_search_opENS8_6detail16wrapped_functionINS0_4lessIvEEbEEEE10hipError_tPvRmT1_T2_T3_mmT4_T5_P12ihipStream_tbEUlRKsE_EESL_SP_SQ_mSR_SU_bEUlT_E_NS1_11comp_targetILNS1_3genE9ELNS1_11target_archE1100ELNS1_3gpuE3ELNS1_3repE0EEENS1_30default_config_static_selectorELNS0_4arch9wavefront6targetE0EEEvSO_
                                        ; -- End function
	.section	.AMDGPU.csdata,"",@progbits
; Kernel info:
; codeLenInByte = 5444
; NumSgprs: 22
; NumVgprs: 18
; ScratchSize: 0
; MemoryBound: 0
; FloatMode: 240
; IeeeMode: 1
; LDSByteSize: 0 bytes/workgroup (compile time only)
; SGPRBlocks: 2
; VGPRBlocks: 2
; NumSGPRsForWavesPerEU: 22
; NumVGPRsForWavesPerEU: 18
; Occupancy: 16
; WaveLimiterHint : 0
; COMPUTE_PGM_RSRC2:SCRATCH_EN: 0
; COMPUTE_PGM_RSRC2:USER_SGPR: 15
; COMPUTE_PGM_RSRC2:TRAP_HANDLER: 0
; COMPUTE_PGM_RSRC2:TGID_X_EN: 1
; COMPUTE_PGM_RSRC2:TGID_Y_EN: 0
; COMPUTE_PGM_RSRC2:TGID_Z_EN: 0
; COMPUTE_PGM_RSRC2:TIDIG_COMP_CNT: 0
	.section	.text._ZN7rocprim17ROCPRIM_400000_NS6detail17trampoline_kernelINS0_14default_configENS1_29binary_search_config_selectorIsbEEZNS1_14transform_implILb0ES3_S5_N6thrust23THRUST_200600_302600_NS17counting_iteratorIsNS8_11use_defaultESA_SA_EEPbZNS1_13binary_searchIS3_S5_PsSB_SC_NS1_16binary_search_opENS8_6detail16wrapped_functionINS0_4lessIvEEbEEEE10hipError_tPvRmT1_T2_T3_mmT4_T5_P12ihipStream_tbEUlRKsE_EESL_SP_SQ_mSR_SU_bEUlT_E_NS1_11comp_targetILNS1_3genE8ELNS1_11target_archE1030ELNS1_3gpuE2ELNS1_3repE0EEENS1_30default_config_static_selectorELNS0_4arch9wavefront6targetE0EEEvSO_,"axG",@progbits,_ZN7rocprim17ROCPRIM_400000_NS6detail17trampoline_kernelINS0_14default_configENS1_29binary_search_config_selectorIsbEEZNS1_14transform_implILb0ES3_S5_N6thrust23THRUST_200600_302600_NS17counting_iteratorIsNS8_11use_defaultESA_SA_EEPbZNS1_13binary_searchIS3_S5_PsSB_SC_NS1_16binary_search_opENS8_6detail16wrapped_functionINS0_4lessIvEEbEEEE10hipError_tPvRmT1_T2_T3_mmT4_T5_P12ihipStream_tbEUlRKsE_EESL_SP_SQ_mSR_SU_bEUlT_E_NS1_11comp_targetILNS1_3genE8ELNS1_11target_archE1030ELNS1_3gpuE2ELNS1_3repE0EEENS1_30default_config_static_selectorELNS0_4arch9wavefront6targetE0EEEvSO_,comdat
	.protected	_ZN7rocprim17ROCPRIM_400000_NS6detail17trampoline_kernelINS0_14default_configENS1_29binary_search_config_selectorIsbEEZNS1_14transform_implILb0ES3_S5_N6thrust23THRUST_200600_302600_NS17counting_iteratorIsNS8_11use_defaultESA_SA_EEPbZNS1_13binary_searchIS3_S5_PsSB_SC_NS1_16binary_search_opENS8_6detail16wrapped_functionINS0_4lessIvEEbEEEE10hipError_tPvRmT1_T2_T3_mmT4_T5_P12ihipStream_tbEUlRKsE_EESL_SP_SQ_mSR_SU_bEUlT_E_NS1_11comp_targetILNS1_3genE8ELNS1_11target_archE1030ELNS1_3gpuE2ELNS1_3repE0EEENS1_30default_config_static_selectorELNS0_4arch9wavefront6targetE0EEEvSO_ ; -- Begin function _ZN7rocprim17ROCPRIM_400000_NS6detail17trampoline_kernelINS0_14default_configENS1_29binary_search_config_selectorIsbEEZNS1_14transform_implILb0ES3_S5_N6thrust23THRUST_200600_302600_NS17counting_iteratorIsNS8_11use_defaultESA_SA_EEPbZNS1_13binary_searchIS3_S5_PsSB_SC_NS1_16binary_search_opENS8_6detail16wrapped_functionINS0_4lessIvEEbEEEE10hipError_tPvRmT1_T2_T3_mmT4_T5_P12ihipStream_tbEUlRKsE_EESL_SP_SQ_mSR_SU_bEUlT_E_NS1_11comp_targetILNS1_3genE8ELNS1_11target_archE1030ELNS1_3gpuE2ELNS1_3repE0EEENS1_30default_config_static_selectorELNS0_4arch9wavefront6targetE0EEEvSO_
	.globl	_ZN7rocprim17ROCPRIM_400000_NS6detail17trampoline_kernelINS0_14default_configENS1_29binary_search_config_selectorIsbEEZNS1_14transform_implILb0ES3_S5_N6thrust23THRUST_200600_302600_NS17counting_iteratorIsNS8_11use_defaultESA_SA_EEPbZNS1_13binary_searchIS3_S5_PsSB_SC_NS1_16binary_search_opENS8_6detail16wrapped_functionINS0_4lessIvEEbEEEE10hipError_tPvRmT1_T2_T3_mmT4_T5_P12ihipStream_tbEUlRKsE_EESL_SP_SQ_mSR_SU_bEUlT_E_NS1_11comp_targetILNS1_3genE8ELNS1_11target_archE1030ELNS1_3gpuE2ELNS1_3repE0EEENS1_30default_config_static_selectorELNS0_4arch9wavefront6targetE0EEEvSO_
	.p2align	8
	.type	_ZN7rocprim17ROCPRIM_400000_NS6detail17trampoline_kernelINS0_14default_configENS1_29binary_search_config_selectorIsbEEZNS1_14transform_implILb0ES3_S5_N6thrust23THRUST_200600_302600_NS17counting_iteratorIsNS8_11use_defaultESA_SA_EEPbZNS1_13binary_searchIS3_S5_PsSB_SC_NS1_16binary_search_opENS8_6detail16wrapped_functionINS0_4lessIvEEbEEEE10hipError_tPvRmT1_T2_T3_mmT4_T5_P12ihipStream_tbEUlRKsE_EESL_SP_SQ_mSR_SU_bEUlT_E_NS1_11comp_targetILNS1_3genE8ELNS1_11target_archE1030ELNS1_3gpuE2ELNS1_3repE0EEENS1_30default_config_static_selectorELNS0_4arch9wavefront6targetE0EEEvSO_,@function
_ZN7rocprim17ROCPRIM_400000_NS6detail17trampoline_kernelINS0_14default_configENS1_29binary_search_config_selectorIsbEEZNS1_14transform_implILb0ES3_S5_N6thrust23THRUST_200600_302600_NS17counting_iteratorIsNS8_11use_defaultESA_SA_EEPbZNS1_13binary_searchIS3_S5_PsSB_SC_NS1_16binary_search_opENS8_6detail16wrapped_functionINS0_4lessIvEEbEEEE10hipError_tPvRmT1_T2_T3_mmT4_T5_P12ihipStream_tbEUlRKsE_EESL_SP_SQ_mSR_SU_bEUlT_E_NS1_11comp_targetILNS1_3genE8ELNS1_11target_archE1030ELNS1_3gpuE2ELNS1_3repE0EEENS1_30default_config_static_selectorELNS0_4arch9wavefront6targetE0EEEvSO_: ; @_ZN7rocprim17ROCPRIM_400000_NS6detail17trampoline_kernelINS0_14default_configENS1_29binary_search_config_selectorIsbEEZNS1_14transform_implILb0ES3_S5_N6thrust23THRUST_200600_302600_NS17counting_iteratorIsNS8_11use_defaultESA_SA_EEPbZNS1_13binary_searchIS3_S5_PsSB_SC_NS1_16binary_search_opENS8_6detail16wrapped_functionINS0_4lessIvEEbEEEE10hipError_tPvRmT1_T2_T3_mmT4_T5_P12ihipStream_tbEUlRKsE_EESL_SP_SQ_mSR_SU_bEUlT_E_NS1_11comp_targetILNS1_3genE8ELNS1_11target_archE1030ELNS1_3gpuE2ELNS1_3repE0EEENS1_30default_config_static_selectorELNS0_4arch9wavefront6targetE0EEEvSO_
; %bb.0:
	.section	.rodata,"a",@progbits
	.p2align	6, 0x0
	.amdhsa_kernel _ZN7rocprim17ROCPRIM_400000_NS6detail17trampoline_kernelINS0_14default_configENS1_29binary_search_config_selectorIsbEEZNS1_14transform_implILb0ES3_S5_N6thrust23THRUST_200600_302600_NS17counting_iteratorIsNS8_11use_defaultESA_SA_EEPbZNS1_13binary_searchIS3_S5_PsSB_SC_NS1_16binary_search_opENS8_6detail16wrapped_functionINS0_4lessIvEEbEEEE10hipError_tPvRmT1_T2_T3_mmT4_T5_P12ihipStream_tbEUlRKsE_EESL_SP_SQ_mSR_SU_bEUlT_E_NS1_11comp_targetILNS1_3genE8ELNS1_11target_archE1030ELNS1_3gpuE2ELNS1_3repE0EEENS1_30default_config_static_selectorELNS0_4arch9wavefront6targetE0EEEvSO_
		.amdhsa_group_segment_fixed_size 0
		.amdhsa_private_segment_fixed_size 0
		.amdhsa_kernarg_size 56
		.amdhsa_user_sgpr_count 15
		.amdhsa_user_sgpr_dispatch_ptr 0
		.amdhsa_user_sgpr_queue_ptr 0
		.amdhsa_user_sgpr_kernarg_segment_ptr 1
		.amdhsa_user_sgpr_dispatch_id 0
		.amdhsa_user_sgpr_private_segment_size 0
		.amdhsa_wavefront_size32 1
		.amdhsa_uses_dynamic_stack 0
		.amdhsa_enable_private_segment 0
		.amdhsa_system_sgpr_workgroup_id_x 1
		.amdhsa_system_sgpr_workgroup_id_y 0
		.amdhsa_system_sgpr_workgroup_id_z 0
		.amdhsa_system_sgpr_workgroup_info 0
		.amdhsa_system_vgpr_workitem_id 0
		.amdhsa_next_free_vgpr 1
		.amdhsa_next_free_sgpr 1
		.amdhsa_reserve_vcc 0
		.amdhsa_float_round_mode_32 0
		.amdhsa_float_round_mode_16_64 0
		.amdhsa_float_denorm_mode_32 3
		.amdhsa_float_denorm_mode_16_64 3
		.amdhsa_dx10_clamp 1
		.amdhsa_ieee_mode 1
		.amdhsa_fp16_overflow 0
		.amdhsa_workgroup_processor_mode 1
		.amdhsa_memory_ordered 1
		.amdhsa_forward_progress 0
		.amdhsa_shared_vgpr_count 0
		.amdhsa_exception_fp_ieee_invalid_op 0
		.amdhsa_exception_fp_denorm_src 0
		.amdhsa_exception_fp_ieee_div_zero 0
		.amdhsa_exception_fp_ieee_overflow 0
		.amdhsa_exception_fp_ieee_underflow 0
		.amdhsa_exception_fp_ieee_inexact 0
		.amdhsa_exception_int_div_zero 0
	.end_amdhsa_kernel
	.section	.text._ZN7rocprim17ROCPRIM_400000_NS6detail17trampoline_kernelINS0_14default_configENS1_29binary_search_config_selectorIsbEEZNS1_14transform_implILb0ES3_S5_N6thrust23THRUST_200600_302600_NS17counting_iteratorIsNS8_11use_defaultESA_SA_EEPbZNS1_13binary_searchIS3_S5_PsSB_SC_NS1_16binary_search_opENS8_6detail16wrapped_functionINS0_4lessIvEEbEEEE10hipError_tPvRmT1_T2_T3_mmT4_T5_P12ihipStream_tbEUlRKsE_EESL_SP_SQ_mSR_SU_bEUlT_E_NS1_11comp_targetILNS1_3genE8ELNS1_11target_archE1030ELNS1_3gpuE2ELNS1_3repE0EEENS1_30default_config_static_selectorELNS0_4arch9wavefront6targetE0EEEvSO_,"axG",@progbits,_ZN7rocprim17ROCPRIM_400000_NS6detail17trampoline_kernelINS0_14default_configENS1_29binary_search_config_selectorIsbEEZNS1_14transform_implILb0ES3_S5_N6thrust23THRUST_200600_302600_NS17counting_iteratorIsNS8_11use_defaultESA_SA_EEPbZNS1_13binary_searchIS3_S5_PsSB_SC_NS1_16binary_search_opENS8_6detail16wrapped_functionINS0_4lessIvEEbEEEE10hipError_tPvRmT1_T2_T3_mmT4_T5_P12ihipStream_tbEUlRKsE_EESL_SP_SQ_mSR_SU_bEUlT_E_NS1_11comp_targetILNS1_3genE8ELNS1_11target_archE1030ELNS1_3gpuE2ELNS1_3repE0EEENS1_30default_config_static_selectorELNS0_4arch9wavefront6targetE0EEEvSO_,comdat
.Lfunc_end248:
	.size	_ZN7rocprim17ROCPRIM_400000_NS6detail17trampoline_kernelINS0_14default_configENS1_29binary_search_config_selectorIsbEEZNS1_14transform_implILb0ES3_S5_N6thrust23THRUST_200600_302600_NS17counting_iteratorIsNS8_11use_defaultESA_SA_EEPbZNS1_13binary_searchIS3_S5_PsSB_SC_NS1_16binary_search_opENS8_6detail16wrapped_functionINS0_4lessIvEEbEEEE10hipError_tPvRmT1_T2_T3_mmT4_T5_P12ihipStream_tbEUlRKsE_EESL_SP_SQ_mSR_SU_bEUlT_E_NS1_11comp_targetILNS1_3genE8ELNS1_11target_archE1030ELNS1_3gpuE2ELNS1_3repE0EEENS1_30default_config_static_selectorELNS0_4arch9wavefront6targetE0EEEvSO_, .Lfunc_end248-_ZN7rocprim17ROCPRIM_400000_NS6detail17trampoline_kernelINS0_14default_configENS1_29binary_search_config_selectorIsbEEZNS1_14transform_implILb0ES3_S5_N6thrust23THRUST_200600_302600_NS17counting_iteratorIsNS8_11use_defaultESA_SA_EEPbZNS1_13binary_searchIS3_S5_PsSB_SC_NS1_16binary_search_opENS8_6detail16wrapped_functionINS0_4lessIvEEbEEEE10hipError_tPvRmT1_T2_T3_mmT4_T5_P12ihipStream_tbEUlRKsE_EESL_SP_SQ_mSR_SU_bEUlT_E_NS1_11comp_targetILNS1_3genE8ELNS1_11target_archE1030ELNS1_3gpuE2ELNS1_3repE0EEENS1_30default_config_static_selectorELNS0_4arch9wavefront6targetE0EEEvSO_
                                        ; -- End function
	.section	.AMDGPU.csdata,"",@progbits
; Kernel info:
; codeLenInByte = 0
; NumSgprs: 0
; NumVgprs: 0
; ScratchSize: 0
; MemoryBound: 0
; FloatMode: 240
; IeeeMode: 1
; LDSByteSize: 0 bytes/workgroup (compile time only)
; SGPRBlocks: 0
; VGPRBlocks: 0
; NumSGPRsForWavesPerEU: 1
; NumVGPRsForWavesPerEU: 1
; Occupancy: 16
; WaveLimiterHint : 0
; COMPUTE_PGM_RSRC2:SCRATCH_EN: 0
; COMPUTE_PGM_RSRC2:USER_SGPR: 15
; COMPUTE_PGM_RSRC2:TRAP_HANDLER: 0
; COMPUTE_PGM_RSRC2:TGID_X_EN: 1
; COMPUTE_PGM_RSRC2:TGID_Y_EN: 0
; COMPUTE_PGM_RSRC2:TGID_Z_EN: 0
; COMPUTE_PGM_RSRC2:TIDIG_COMP_CNT: 0
	.section	.text._ZN6thrust23THRUST_200600_302600_NS11hip_rocprim14__parallel_for6kernelILj256ENS1_10__tabulate7functorINS0_6detail15normal_iteratorINS0_10device_ptrIdEEEENS0_6system6detail7generic6detail22compute_sequence_valueIdvEElEElLj1EEEvT0_T1_SJ_,"axG",@progbits,_ZN6thrust23THRUST_200600_302600_NS11hip_rocprim14__parallel_for6kernelILj256ENS1_10__tabulate7functorINS0_6detail15normal_iteratorINS0_10device_ptrIdEEEENS0_6system6detail7generic6detail22compute_sequence_valueIdvEElEElLj1EEEvT0_T1_SJ_,comdat
	.protected	_ZN6thrust23THRUST_200600_302600_NS11hip_rocprim14__parallel_for6kernelILj256ENS1_10__tabulate7functorINS0_6detail15normal_iteratorINS0_10device_ptrIdEEEENS0_6system6detail7generic6detail22compute_sequence_valueIdvEElEElLj1EEEvT0_T1_SJ_ ; -- Begin function _ZN6thrust23THRUST_200600_302600_NS11hip_rocprim14__parallel_for6kernelILj256ENS1_10__tabulate7functorINS0_6detail15normal_iteratorINS0_10device_ptrIdEEEENS0_6system6detail7generic6detail22compute_sequence_valueIdvEElEElLj1EEEvT0_T1_SJ_
	.globl	_ZN6thrust23THRUST_200600_302600_NS11hip_rocprim14__parallel_for6kernelILj256ENS1_10__tabulate7functorINS0_6detail15normal_iteratorINS0_10device_ptrIdEEEENS0_6system6detail7generic6detail22compute_sequence_valueIdvEElEElLj1EEEvT0_T1_SJ_
	.p2align	8
	.type	_ZN6thrust23THRUST_200600_302600_NS11hip_rocprim14__parallel_for6kernelILj256ENS1_10__tabulate7functorINS0_6detail15normal_iteratorINS0_10device_ptrIdEEEENS0_6system6detail7generic6detail22compute_sequence_valueIdvEElEElLj1EEEvT0_T1_SJ_,@function
_ZN6thrust23THRUST_200600_302600_NS11hip_rocprim14__parallel_for6kernelILj256ENS1_10__tabulate7functorINS0_6detail15normal_iteratorINS0_10device_ptrIdEEEENS0_6system6detail7generic6detail22compute_sequence_valueIdvEElEElLj1EEEvT0_T1_SJ_: ; @_ZN6thrust23THRUST_200600_302600_NS11hip_rocprim14__parallel_for6kernelILj256ENS1_10__tabulate7functorINS0_6detail15normal_iteratorINS0_10device_ptrIdEEEENS0_6system6detail7generic6detail22compute_sequence_valueIdvEElEElLj1EEEvT0_T1_SJ_
; %bb.0:
	s_load_b128 s[4:7], s[0:1], 0x18
	s_lshl_b32 s2, s15, 8
	s_waitcnt lgkmcnt(0)
	s_add_u32 s2, s2, s6
	s_addc_u32 s3, 0, s7
	s_sub_u32 s4, s4, s2
	s_subb_u32 s5, s5, s3
	s_delay_alu instid0(SALU_CYCLE_1) | instskip(NEXT) | instid1(VALU_DEP_1)
	v_cmp_gt_i64_e64 s5, 0x100, s[4:5]
	s_and_b32 s5, s5, exec_lo
	s_cselect_b32 s4, s4, 0x100
	s_delay_alu instid0(SALU_CYCLE_1) | instskip(SKIP_2) | instid1(SALU_CYCLE_1)
	v_cmp_gt_u32_e32 vcc_lo, s4, v0
	s_cmpk_eq_i32 s4, 0x100
	s_cselect_b32 s4, -1, 0
	s_or_b32 s4, s4, vcc_lo
	s_delay_alu instid0(SALU_CYCLE_1)
	s_and_saveexec_b32 s5, s4
	s_cbranch_execz .LBB249_2
; %bb.1:
	v_add_co_u32 v0, s2, s2, v0
	s_delay_alu instid0(VALU_DEP_1)
	v_add_co_ci_u32_e64 v1, null, s3, 0, s2
	s_clause 0x1
	s_load_b128 s[4:7], s[0:1], 0x0
	s_load_b64 s[0:1], s[0:1], 0x10
	v_cvt_f64_u32_e32 v[4:5], v0
	v_cvt_f64_u32_e32 v[2:3], v1
	v_lshlrev_b64 v[0:1], 3, v[0:1]
	s_waitcnt lgkmcnt(0)
	s_delay_alu instid0(VALU_DEP_1) | instskip(NEXT) | instid1(VALU_DEP_2)
	v_add_co_u32 v0, vcc_lo, s4, v0
	v_add_co_ci_u32_e32 v1, vcc_lo, s5, v1, vcc_lo
	s_delay_alu instid0(VALU_DEP_4) | instskip(NEXT) | instid1(VALU_DEP_1)
	v_ldexp_f64 v[2:3], v[2:3], 32
	v_add_f64 v[2:3], v[2:3], v[4:5]
	s_delay_alu instid0(VALU_DEP_1)
	v_fma_f64 v[2:3], s[0:1], v[2:3], s[6:7]
	flat_store_b64 v[0:1], v[2:3]
.LBB249_2:
	s_endpgm
	.section	.rodata,"a",@progbits
	.p2align	6, 0x0
	.amdhsa_kernel _ZN6thrust23THRUST_200600_302600_NS11hip_rocprim14__parallel_for6kernelILj256ENS1_10__tabulate7functorINS0_6detail15normal_iteratorINS0_10device_ptrIdEEEENS0_6system6detail7generic6detail22compute_sequence_valueIdvEElEElLj1EEEvT0_T1_SJ_
		.amdhsa_group_segment_fixed_size 0
		.amdhsa_private_segment_fixed_size 0
		.amdhsa_kernarg_size 40
		.amdhsa_user_sgpr_count 15
		.amdhsa_user_sgpr_dispatch_ptr 0
		.amdhsa_user_sgpr_queue_ptr 0
		.amdhsa_user_sgpr_kernarg_segment_ptr 1
		.amdhsa_user_sgpr_dispatch_id 0
		.amdhsa_user_sgpr_private_segment_size 0
		.amdhsa_wavefront_size32 1
		.amdhsa_uses_dynamic_stack 0
		.amdhsa_enable_private_segment 0
		.amdhsa_system_sgpr_workgroup_id_x 1
		.amdhsa_system_sgpr_workgroup_id_y 0
		.amdhsa_system_sgpr_workgroup_id_z 0
		.amdhsa_system_sgpr_workgroup_info 0
		.amdhsa_system_vgpr_workitem_id 0
		.amdhsa_next_free_vgpr 6
		.amdhsa_next_free_sgpr 16
		.amdhsa_reserve_vcc 1
		.amdhsa_float_round_mode_32 0
		.amdhsa_float_round_mode_16_64 0
		.amdhsa_float_denorm_mode_32 3
		.amdhsa_float_denorm_mode_16_64 3
		.amdhsa_dx10_clamp 1
		.amdhsa_ieee_mode 1
		.amdhsa_fp16_overflow 0
		.amdhsa_workgroup_processor_mode 1
		.amdhsa_memory_ordered 1
		.amdhsa_forward_progress 0
		.amdhsa_shared_vgpr_count 0
		.amdhsa_exception_fp_ieee_invalid_op 0
		.amdhsa_exception_fp_denorm_src 0
		.amdhsa_exception_fp_ieee_div_zero 0
		.amdhsa_exception_fp_ieee_overflow 0
		.amdhsa_exception_fp_ieee_underflow 0
		.amdhsa_exception_fp_ieee_inexact 0
		.amdhsa_exception_int_div_zero 0
	.end_amdhsa_kernel
	.section	.text._ZN6thrust23THRUST_200600_302600_NS11hip_rocprim14__parallel_for6kernelILj256ENS1_10__tabulate7functorINS0_6detail15normal_iteratorINS0_10device_ptrIdEEEENS0_6system6detail7generic6detail22compute_sequence_valueIdvEElEElLj1EEEvT0_T1_SJ_,"axG",@progbits,_ZN6thrust23THRUST_200600_302600_NS11hip_rocprim14__parallel_for6kernelILj256ENS1_10__tabulate7functorINS0_6detail15normal_iteratorINS0_10device_ptrIdEEEENS0_6system6detail7generic6detail22compute_sequence_valueIdvEElEElLj1EEEvT0_T1_SJ_,comdat
.Lfunc_end249:
	.size	_ZN6thrust23THRUST_200600_302600_NS11hip_rocprim14__parallel_for6kernelILj256ENS1_10__tabulate7functorINS0_6detail15normal_iteratorINS0_10device_ptrIdEEEENS0_6system6detail7generic6detail22compute_sequence_valueIdvEElEElLj1EEEvT0_T1_SJ_, .Lfunc_end249-_ZN6thrust23THRUST_200600_302600_NS11hip_rocprim14__parallel_for6kernelILj256ENS1_10__tabulate7functorINS0_6detail15normal_iteratorINS0_10device_ptrIdEEEENS0_6system6detail7generic6detail22compute_sequence_valueIdvEElEElLj1EEEvT0_T1_SJ_
                                        ; -- End function
	.section	.AMDGPU.csdata,"",@progbits
; Kernel info:
; codeLenInByte = 212
; NumSgprs: 18
; NumVgprs: 6
; ScratchSize: 0
; MemoryBound: 0
; FloatMode: 240
; IeeeMode: 1
; LDSByteSize: 0 bytes/workgroup (compile time only)
; SGPRBlocks: 2
; VGPRBlocks: 0
; NumSGPRsForWavesPerEU: 18
; NumVGPRsForWavesPerEU: 6
; Occupancy: 16
; WaveLimiterHint : 0
; COMPUTE_PGM_RSRC2:SCRATCH_EN: 0
; COMPUTE_PGM_RSRC2:USER_SGPR: 15
; COMPUTE_PGM_RSRC2:TRAP_HANDLER: 0
; COMPUTE_PGM_RSRC2:TGID_X_EN: 1
; COMPUTE_PGM_RSRC2:TGID_Y_EN: 0
; COMPUTE_PGM_RSRC2:TGID_Z_EN: 0
; COMPUTE_PGM_RSRC2:TIDIG_COMP_CNT: 0
	.section	.text._ZN6thrust23THRUST_200600_302600_NS11hip_rocprim14__parallel_for6kernelILj256ENS1_20__uninitialized_fill7functorINS0_10device_ptrIiEEiEEmLj1EEEvT0_T1_SA_,"axG",@progbits,_ZN6thrust23THRUST_200600_302600_NS11hip_rocprim14__parallel_for6kernelILj256ENS1_20__uninitialized_fill7functorINS0_10device_ptrIiEEiEEmLj1EEEvT0_T1_SA_,comdat
	.protected	_ZN6thrust23THRUST_200600_302600_NS11hip_rocprim14__parallel_for6kernelILj256ENS1_20__uninitialized_fill7functorINS0_10device_ptrIiEEiEEmLj1EEEvT0_T1_SA_ ; -- Begin function _ZN6thrust23THRUST_200600_302600_NS11hip_rocprim14__parallel_for6kernelILj256ENS1_20__uninitialized_fill7functorINS0_10device_ptrIiEEiEEmLj1EEEvT0_T1_SA_
	.globl	_ZN6thrust23THRUST_200600_302600_NS11hip_rocprim14__parallel_for6kernelILj256ENS1_20__uninitialized_fill7functorINS0_10device_ptrIiEEiEEmLj1EEEvT0_T1_SA_
	.p2align	8
	.type	_ZN6thrust23THRUST_200600_302600_NS11hip_rocprim14__parallel_for6kernelILj256ENS1_20__uninitialized_fill7functorINS0_10device_ptrIiEEiEEmLj1EEEvT0_T1_SA_,@function
_ZN6thrust23THRUST_200600_302600_NS11hip_rocprim14__parallel_for6kernelILj256ENS1_20__uninitialized_fill7functorINS0_10device_ptrIiEEiEEmLj1EEEvT0_T1_SA_: ; @_ZN6thrust23THRUST_200600_302600_NS11hip_rocprim14__parallel_for6kernelILj256ENS1_20__uninitialized_fill7functorINS0_10device_ptrIiEEiEEmLj1EEEvT0_T1_SA_
; %bb.0:
	s_load_b128 s[4:7], s[0:1], 0x10
	s_lshl_b32 s2, s15, 8
	s_waitcnt lgkmcnt(0)
	s_add_u32 s2, s2, s6
	s_addc_u32 s3, 0, s7
	s_sub_u32 s4, s4, s2
	s_subb_u32 s5, s5, s3
	s_delay_alu instid0(SALU_CYCLE_1) | instskip(NEXT) | instid1(VALU_DEP_1)
	v_cmp_gt_u64_e64 s5, 0x100, s[4:5]
	s_and_b32 vcc_lo, exec_lo, s5
	s_mov_b32 s5, 0
	s_cbranch_vccz .LBB250_2
; %bb.1:
	v_cmp_gt_u32_e32 vcc_lo, s4, v0
	s_and_b32 s5, vcc_lo, exec_lo
	s_cbranch_execz .LBB250_3
	s_branch .LBB250_4
.LBB250_2:
.LBB250_3:
	s_or_b32 s5, s5, exec_lo
.LBB250_4:
	s_delay_alu instid0(SALU_CYCLE_1)
	s_and_saveexec_b32 s4, s5
	s_cbranch_execnz .LBB250_6
; %bb.5:
	s_endpgm
.LBB250_6:
	s_clause 0x1
	s_load_b64 s[4:5], s[0:1], 0x0
	s_load_b32 s6, s[0:1], 0x8
	v_mov_b32_e32 v1, 0
	s_lshl_b64 s[0:1], s[2:3], 2
	s_waitcnt lgkmcnt(0)
	s_add_u32 s0, s4, s0
	v_mov_b32_e32 v2, s6
	v_lshlrev_b64 v[0:1], 2, v[0:1]
	s_addc_u32 s1, s5, s1
	s_delay_alu instid0(VALU_DEP_1) | instskip(NEXT) | instid1(VALU_DEP_2)
	v_add_co_u32 v0, vcc_lo, s0, v0
	v_add_co_ci_u32_e32 v1, vcc_lo, s1, v1, vcc_lo
	flat_store_b32 v[0:1], v2
	s_endpgm
	.section	.rodata,"a",@progbits
	.p2align	6, 0x0
	.amdhsa_kernel _ZN6thrust23THRUST_200600_302600_NS11hip_rocprim14__parallel_for6kernelILj256ENS1_20__uninitialized_fill7functorINS0_10device_ptrIiEEiEEmLj1EEEvT0_T1_SA_
		.amdhsa_group_segment_fixed_size 0
		.amdhsa_private_segment_fixed_size 0
		.amdhsa_kernarg_size 32
		.amdhsa_user_sgpr_count 15
		.amdhsa_user_sgpr_dispatch_ptr 0
		.amdhsa_user_sgpr_queue_ptr 0
		.amdhsa_user_sgpr_kernarg_segment_ptr 1
		.amdhsa_user_sgpr_dispatch_id 0
		.amdhsa_user_sgpr_private_segment_size 0
		.amdhsa_wavefront_size32 1
		.amdhsa_uses_dynamic_stack 0
		.amdhsa_enable_private_segment 0
		.amdhsa_system_sgpr_workgroup_id_x 1
		.amdhsa_system_sgpr_workgroup_id_y 0
		.amdhsa_system_sgpr_workgroup_id_z 0
		.amdhsa_system_sgpr_workgroup_info 0
		.amdhsa_system_vgpr_workitem_id 0
		.amdhsa_next_free_vgpr 3
		.amdhsa_next_free_sgpr 16
		.amdhsa_reserve_vcc 1
		.amdhsa_float_round_mode_32 0
		.amdhsa_float_round_mode_16_64 0
		.amdhsa_float_denorm_mode_32 3
		.amdhsa_float_denorm_mode_16_64 3
		.amdhsa_dx10_clamp 1
		.amdhsa_ieee_mode 1
		.amdhsa_fp16_overflow 0
		.amdhsa_workgroup_processor_mode 1
		.amdhsa_memory_ordered 1
		.amdhsa_forward_progress 0
		.amdhsa_shared_vgpr_count 0
		.amdhsa_exception_fp_ieee_invalid_op 0
		.amdhsa_exception_fp_denorm_src 0
		.amdhsa_exception_fp_ieee_div_zero 0
		.amdhsa_exception_fp_ieee_overflow 0
		.amdhsa_exception_fp_ieee_underflow 0
		.amdhsa_exception_fp_ieee_inexact 0
		.amdhsa_exception_int_div_zero 0
	.end_amdhsa_kernel
	.section	.text._ZN6thrust23THRUST_200600_302600_NS11hip_rocprim14__parallel_for6kernelILj256ENS1_20__uninitialized_fill7functorINS0_10device_ptrIiEEiEEmLj1EEEvT0_T1_SA_,"axG",@progbits,_ZN6thrust23THRUST_200600_302600_NS11hip_rocprim14__parallel_for6kernelILj256ENS1_20__uninitialized_fill7functorINS0_10device_ptrIiEEiEEmLj1EEEvT0_T1_SA_,comdat
.Lfunc_end250:
	.size	_ZN6thrust23THRUST_200600_302600_NS11hip_rocprim14__parallel_for6kernelILj256ENS1_20__uninitialized_fill7functorINS0_10device_ptrIiEEiEEmLj1EEEvT0_T1_SA_, .Lfunc_end250-_ZN6thrust23THRUST_200600_302600_NS11hip_rocprim14__parallel_for6kernelILj256ENS1_20__uninitialized_fill7functorINS0_10device_ptrIiEEiEEmLj1EEEvT0_T1_SA_
                                        ; -- End function
	.section	.AMDGPU.csdata,"",@progbits
; Kernel info:
; codeLenInByte = 176
; NumSgprs: 18
; NumVgprs: 3
; ScratchSize: 0
; MemoryBound: 0
; FloatMode: 240
; IeeeMode: 1
; LDSByteSize: 0 bytes/workgroup (compile time only)
; SGPRBlocks: 2
; VGPRBlocks: 0
; NumSGPRsForWavesPerEU: 18
; NumVGPRsForWavesPerEU: 3
; Occupancy: 16
; WaveLimiterHint : 0
; COMPUTE_PGM_RSRC2:SCRATCH_EN: 0
; COMPUTE_PGM_RSRC2:USER_SGPR: 15
; COMPUTE_PGM_RSRC2:TRAP_HANDLER: 0
; COMPUTE_PGM_RSRC2:TGID_X_EN: 1
; COMPUTE_PGM_RSRC2:TGID_Y_EN: 0
; COMPUTE_PGM_RSRC2:TGID_Z_EN: 0
; COMPUTE_PGM_RSRC2:TIDIG_COMP_CNT: 0
	.section	.text._ZN7rocprim17ROCPRIM_400000_NS6detail17trampoline_kernelINS0_14default_configENS1_27lower_bound_config_selectorIdiEEZNS1_14transform_implILb0ES3_S5_N6thrust23THRUST_200600_302600_NS6detail15normal_iteratorINS8_10device_ptrIdEEEENSA_INSB_IiEEEEZNS1_13binary_searchIS3_S5_SD_SD_SF_NS1_21lower_bound_search_opENS9_16wrapped_functionINS0_4lessIvEEbEEEE10hipError_tPvRmT1_T2_T3_mmT4_T5_P12ihipStream_tbEUlRKdE_EESM_SQ_SR_mSS_SV_bEUlT_E_NS1_11comp_targetILNS1_3genE0ELNS1_11target_archE4294967295ELNS1_3gpuE0ELNS1_3repE0EEENS1_30default_config_static_selectorELNS0_4arch9wavefront6targetE0EEEvSP_,"axG",@progbits,_ZN7rocprim17ROCPRIM_400000_NS6detail17trampoline_kernelINS0_14default_configENS1_27lower_bound_config_selectorIdiEEZNS1_14transform_implILb0ES3_S5_N6thrust23THRUST_200600_302600_NS6detail15normal_iteratorINS8_10device_ptrIdEEEENSA_INSB_IiEEEEZNS1_13binary_searchIS3_S5_SD_SD_SF_NS1_21lower_bound_search_opENS9_16wrapped_functionINS0_4lessIvEEbEEEE10hipError_tPvRmT1_T2_T3_mmT4_T5_P12ihipStream_tbEUlRKdE_EESM_SQ_SR_mSS_SV_bEUlT_E_NS1_11comp_targetILNS1_3genE0ELNS1_11target_archE4294967295ELNS1_3gpuE0ELNS1_3repE0EEENS1_30default_config_static_selectorELNS0_4arch9wavefront6targetE0EEEvSP_,comdat
	.protected	_ZN7rocprim17ROCPRIM_400000_NS6detail17trampoline_kernelINS0_14default_configENS1_27lower_bound_config_selectorIdiEEZNS1_14transform_implILb0ES3_S5_N6thrust23THRUST_200600_302600_NS6detail15normal_iteratorINS8_10device_ptrIdEEEENSA_INSB_IiEEEEZNS1_13binary_searchIS3_S5_SD_SD_SF_NS1_21lower_bound_search_opENS9_16wrapped_functionINS0_4lessIvEEbEEEE10hipError_tPvRmT1_T2_T3_mmT4_T5_P12ihipStream_tbEUlRKdE_EESM_SQ_SR_mSS_SV_bEUlT_E_NS1_11comp_targetILNS1_3genE0ELNS1_11target_archE4294967295ELNS1_3gpuE0ELNS1_3repE0EEENS1_30default_config_static_selectorELNS0_4arch9wavefront6targetE0EEEvSP_ ; -- Begin function _ZN7rocprim17ROCPRIM_400000_NS6detail17trampoline_kernelINS0_14default_configENS1_27lower_bound_config_selectorIdiEEZNS1_14transform_implILb0ES3_S5_N6thrust23THRUST_200600_302600_NS6detail15normal_iteratorINS8_10device_ptrIdEEEENSA_INSB_IiEEEEZNS1_13binary_searchIS3_S5_SD_SD_SF_NS1_21lower_bound_search_opENS9_16wrapped_functionINS0_4lessIvEEbEEEE10hipError_tPvRmT1_T2_T3_mmT4_T5_P12ihipStream_tbEUlRKdE_EESM_SQ_SR_mSS_SV_bEUlT_E_NS1_11comp_targetILNS1_3genE0ELNS1_11target_archE4294967295ELNS1_3gpuE0ELNS1_3repE0EEENS1_30default_config_static_selectorELNS0_4arch9wavefront6targetE0EEEvSP_
	.globl	_ZN7rocprim17ROCPRIM_400000_NS6detail17trampoline_kernelINS0_14default_configENS1_27lower_bound_config_selectorIdiEEZNS1_14transform_implILb0ES3_S5_N6thrust23THRUST_200600_302600_NS6detail15normal_iteratorINS8_10device_ptrIdEEEENSA_INSB_IiEEEEZNS1_13binary_searchIS3_S5_SD_SD_SF_NS1_21lower_bound_search_opENS9_16wrapped_functionINS0_4lessIvEEbEEEE10hipError_tPvRmT1_T2_T3_mmT4_T5_P12ihipStream_tbEUlRKdE_EESM_SQ_SR_mSS_SV_bEUlT_E_NS1_11comp_targetILNS1_3genE0ELNS1_11target_archE4294967295ELNS1_3gpuE0ELNS1_3repE0EEENS1_30default_config_static_selectorELNS0_4arch9wavefront6targetE0EEEvSP_
	.p2align	8
	.type	_ZN7rocprim17ROCPRIM_400000_NS6detail17trampoline_kernelINS0_14default_configENS1_27lower_bound_config_selectorIdiEEZNS1_14transform_implILb0ES3_S5_N6thrust23THRUST_200600_302600_NS6detail15normal_iteratorINS8_10device_ptrIdEEEENSA_INSB_IiEEEEZNS1_13binary_searchIS3_S5_SD_SD_SF_NS1_21lower_bound_search_opENS9_16wrapped_functionINS0_4lessIvEEbEEEE10hipError_tPvRmT1_T2_T3_mmT4_T5_P12ihipStream_tbEUlRKdE_EESM_SQ_SR_mSS_SV_bEUlT_E_NS1_11comp_targetILNS1_3genE0ELNS1_11target_archE4294967295ELNS1_3gpuE0ELNS1_3repE0EEENS1_30default_config_static_selectorELNS0_4arch9wavefront6targetE0EEEvSP_,@function
_ZN7rocprim17ROCPRIM_400000_NS6detail17trampoline_kernelINS0_14default_configENS1_27lower_bound_config_selectorIdiEEZNS1_14transform_implILb0ES3_S5_N6thrust23THRUST_200600_302600_NS6detail15normal_iteratorINS8_10device_ptrIdEEEENSA_INSB_IiEEEEZNS1_13binary_searchIS3_S5_SD_SD_SF_NS1_21lower_bound_search_opENS9_16wrapped_functionINS0_4lessIvEEbEEEE10hipError_tPvRmT1_T2_T3_mmT4_T5_P12ihipStream_tbEUlRKdE_EESM_SQ_SR_mSS_SV_bEUlT_E_NS1_11comp_targetILNS1_3genE0ELNS1_11target_archE4294967295ELNS1_3gpuE0ELNS1_3repE0EEENS1_30default_config_static_selectorELNS0_4arch9wavefront6targetE0EEEvSP_: ; @_ZN7rocprim17ROCPRIM_400000_NS6detail17trampoline_kernelINS0_14default_configENS1_27lower_bound_config_selectorIdiEEZNS1_14transform_implILb0ES3_S5_N6thrust23THRUST_200600_302600_NS6detail15normal_iteratorINS8_10device_ptrIdEEEENSA_INSB_IiEEEEZNS1_13binary_searchIS3_S5_SD_SD_SF_NS1_21lower_bound_search_opENS9_16wrapped_functionINS0_4lessIvEEbEEEE10hipError_tPvRmT1_T2_T3_mmT4_T5_P12ihipStream_tbEUlRKdE_EESM_SQ_SR_mSS_SV_bEUlT_E_NS1_11comp_targetILNS1_3genE0ELNS1_11target_archE4294967295ELNS1_3gpuE0ELNS1_3repE0EEENS1_30default_config_static_selectorELNS0_4arch9wavefront6targetE0EEEvSP_
; %bb.0:
	.section	.rodata,"a",@progbits
	.p2align	6, 0x0
	.amdhsa_kernel _ZN7rocprim17ROCPRIM_400000_NS6detail17trampoline_kernelINS0_14default_configENS1_27lower_bound_config_selectorIdiEEZNS1_14transform_implILb0ES3_S5_N6thrust23THRUST_200600_302600_NS6detail15normal_iteratorINS8_10device_ptrIdEEEENSA_INSB_IiEEEEZNS1_13binary_searchIS3_S5_SD_SD_SF_NS1_21lower_bound_search_opENS9_16wrapped_functionINS0_4lessIvEEbEEEE10hipError_tPvRmT1_T2_T3_mmT4_T5_P12ihipStream_tbEUlRKdE_EESM_SQ_SR_mSS_SV_bEUlT_E_NS1_11comp_targetILNS1_3genE0ELNS1_11target_archE4294967295ELNS1_3gpuE0ELNS1_3repE0EEENS1_30default_config_static_selectorELNS0_4arch9wavefront6targetE0EEEvSP_
		.amdhsa_group_segment_fixed_size 0
		.amdhsa_private_segment_fixed_size 0
		.amdhsa_kernarg_size 56
		.amdhsa_user_sgpr_count 15
		.amdhsa_user_sgpr_dispatch_ptr 0
		.amdhsa_user_sgpr_queue_ptr 0
		.amdhsa_user_sgpr_kernarg_segment_ptr 1
		.amdhsa_user_sgpr_dispatch_id 0
		.amdhsa_user_sgpr_private_segment_size 0
		.amdhsa_wavefront_size32 1
		.amdhsa_uses_dynamic_stack 0
		.amdhsa_enable_private_segment 0
		.amdhsa_system_sgpr_workgroup_id_x 1
		.amdhsa_system_sgpr_workgroup_id_y 0
		.amdhsa_system_sgpr_workgroup_id_z 0
		.amdhsa_system_sgpr_workgroup_info 0
		.amdhsa_system_vgpr_workitem_id 0
		.amdhsa_next_free_vgpr 1
		.amdhsa_next_free_sgpr 1
		.amdhsa_reserve_vcc 0
		.amdhsa_float_round_mode_32 0
		.amdhsa_float_round_mode_16_64 0
		.amdhsa_float_denorm_mode_32 3
		.amdhsa_float_denorm_mode_16_64 3
		.amdhsa_dx10_clamp 1
		.amdhsa_ieee_mode 1
		.amdhsa_fp16_overflow 0
		.amdhsa_workgroup_processor_mode 1
		.amdhsa_memory_ordered 1
		.amdhsa_forward_progress 0
		.amdhsa_shared_vgpr_count 0
		.amdhsa_exception_fp_ieee_invalid_op 0
		.amdhsa_exception_fp_denorm_src 0
		.amdhsa_exception_fp_ieee_div_zero 0
		.amdhsa_exception_fp_ieee_overflow 0
		.amdhsa_exception_fp_ieee_underflow 0
		.amdhsa_exception_fp_ieee_inexact 0
		.amdhsa_exception_int_div_zero 0
	.end_amdhsa_kernel
	.section	.text._ZN7rocprim17ROCPRIM_400000_NS6detail17trampoline_kernelINS0_14default_configENS1_27lower_bound_config_selectorIdiEEZNS1_14transform_implILb0ES3_S5_N6thrust23THRUST_200600_302600_NS6detail15normal_iteratorINS8_10device_ptrIdEEEENSA_INSB_IiEEEEZNS1_13binary_searchIS3_S5_SD_SD_SF_NS1_21lower_bound_search_opENS9_16wrapped_functionINS0_4lessIvEEbEEEE10hipError_tPvRmT1_T2_T3_mmT4_T5_P12ihipStream_tbEUlRKdE_EESM_SQ_SR_mSS_SV_bEUlT_E_NS1_11comp_targetILNS1_3genE0ELNS1_11target_archE4294967295ELNS1_3gpuE0ELNS1_3repE0EEENS1_30default_config_static_selectorELNS0_4arch9wavefront6targetE0EEEvSP_,"axG",@progbits,_ZN7rocprim17ROCPRIM_400000_NS6detail17trampoline_kernelINS0_14default_configENS1_27lower_bound_config_selectorIdiEEZNS1_14transform_implILb0ES3_S5_N6thrust23THRUST_200600_302600_NS6detail15normal_iteratorINS8_10device_ptrIdEEEENSA_INSB_IiEEEEZNS1_13binary_searchIS3_S5_SD_SD_SF_NS1_21lower_bound_search_opENS9_16wrapped_functionINS0_4lessIvEEbEEEE10hipError_tPvRmT1_T2_T3_mmT4_T5_P12ihipStream_tbEUlRKdE_EESM_SQ_SR_mSS_SV_bEUlT_E_NS1_11comp_targetILNS1_3genE0ELNS1_11target_archE4294967295ELNS1_3gpuE0ELNS1_3repE0EEENS1_30default_config_static_selectorELNS0_4arch9wavefront6targetE0EEEvSP_,comdat
.Lfunc_end251:
	.size	_ZN7rocprim17ROCPRIM_400000_NS6detail17trampoline_kernelINS0_14default_configENS1_27lower_bound_config_selectorIdiEEZNS1_14transform_implILb0ES3_S5_N6thrust23THRUST_200600_302600_NS6detail15normal_iteratorINS8_10device_ptrIdEEEENSA_INSB_IiEEEEZNS1_13binary_searchIS3_S5_SD_SD_SF_NS1_21lower_bound_search_opENS9_16wrapped_functionINS0_4lessIvEEbEEEE10hipError_tPvRmT1_T2_T3_mmT4_T5_P12ihipStream_tbEUlRKdE_EESM_SQ_SR_mSS_SV_bEUlT_E_NS1_11comp_targetILNS1_3genE0ELNS1_11target_archE4294967295ELNS1_3gpuE0ELNS1_3repE0EEENS1_30default_config_static_selectorELNS0_4arch9wavefront6targetE0EEEvSP_, .Lfunc_end251-_ZN7rocprim17ROCPRIM_400000_NS6detail17trampoline_kernelINS0_14default_configENS1_27lower_bound_config_selectorIdiEEZNS1_14transform_implILb0ES3_S5_N6thrust23THRUST_200600_302600_NS6detail15normal_iteratorINS8_10device_ptrIdEEEENSA_INSB_IiEEEEZNS1_13binary_searchIS3_S5_SD_SD_SF_NS1_21lower_bound_search_opENS9_16wrapped_functionINS0_4lessIvEEbEEEE10hipError_tPvRmT1_T2_T3_mmT4_T5_P12ihipStream_tbEUlRKdE_EESM_SQ_SR_mSS_SV_bEUlT_E_NS1_11comp_targetILNS1_3genE0ELNS1_11target_archE4294967295ELNS1_3gpuE0ELNS1_3repE0EEENS1_30default_config_static_selectorELNS0_4arch9wavefront6targetE0EEEvSP_
                                        ; -- End function
	.section	.AMDGPU.csdata,"",@progbits
; Kernel info:
; codeLenInByte = 0
; NumSgprs: 0
; NumVgprs: 0
; ScratchSize: 0
; MemoryBound: 0
; FloatMode: 240
; IeeeMode: 1
; LDSByteSize: 0 bytes/workgroup (compile time only)
; SGPRBlocks: 0
; VGPRBlocks: 0
; NumSGPRsForWavesPerEU: 1
; NumVGPRsForWavesPerEU: 1
; Occupancy: 16
; WaveLimiterHint : 0
; COMPUTE_PGM_RSRC2:SCRATCH_EN: 0
; COMPUTE_PGM_RSRC2:USER_SGPR: 15
; COMPUTE_PGM_RSRC2:TRAP_HANDLER: 0
; COMPUTE_PGM_RSRC2:TGID_X_EN: 1
; COMPUTE_PGM_RSRC2:TGID_Y_EN: 0
; COMPUTE_PGM_RSRC2:TGID_Z_EN: 0
; COMPUTE_PGM_RSRC2:TIDIG_COMP_CNT: 0
	.section	.text._ZN7rocprim17ROCPRIM_400000_NS6detail17trampoline_kernelINS0_14default_configENS1_27lower_bound_config_selectorIdiEEZNS1_14transform_implILb0ES3_S5_N6thrust23THRUST_200600_302600_NS6detail15normal_iteratorINS8_10device_ptrIdEEEENSA_INSB_IiEEEEZNS1_13binary_searchIS3_S5_SD_SD_SF_NS1_21lower_bound_search_opENS9_16wrapped_functionINS0_4lessIvEEbEEEE10hipError_tPvRmT1_T2_T3_mmT4_T5_P12ihipStream_tbEUlRKdE_EESM_SQ_SR_mSS_SV_bEUlT_E_NS1_11comp_targetILNS1_3genE5ELNS1_11target_archE942ELNS1_3gpuE9ELNS1_3repE0EEENS1_30default_config_static_selectorELNS0_4arch9wavefront6targetE0EEEvSP_,"axG",@progbits,_ZN7rocprim17ROCPRIM_400000_NS6detail17trampoline_kernelINS0_14default_configENS1_27lower_bound_config_selectorIdiEEZNS1_14transform_implILb0ES3_S5_N6thrust23THRUST_200600_302600_NS6detail15normal_iteratorINS8_10device_ptrIdEEEENSA_INSB_IiEEEEZNS1_13binary_searchIS3_S5_SD_SD_SF_NS1_21lower_bound_search_opENS9_16wrapped_functionINS0_4lessIvEEbEEEE10hipError_tPvRmT1_T2_T3_mmT4_T5_P12ihipStream_tbEUlRKdE_EESM_SQ_SR_mSS_SV_bEUlT_E_NS1_11comp_targetILNS1_3genE5ELNS1_11target_archE942ELNS1_3gpuE9ELNS1_3repE0EEENS1_30default_config_static_selectorELNS0_4arch9wavefront6targetE0EEEvSP_,comdat
	.protected	_ZN7rocprim17ROCPRIM_400000_NS6detail17trampoline_kernelINS0_14default_configENS1_27lower_bound_config_selectorIdiEEZNS1_14transform_implILb0ES3_S5_N6thrust23THRUST_200600_302600_NS6detail15normal_iteratorINS8_10device_ptrIdEEEENSA_INSB_IiEEEEZNS1_13binary_searchIS3_S5_SD_SD_SF_NS1_21lower_bound_search_opENS9_16wrapped_functionINS0_4lessIvEEbEEEE10hipError_tPvRmT1_T2_T3_mmT4_T5_P12ihipStream_tbEUlRKdE_EESM_SQ_SR_mSS_SV_bEUlT_E_NS1_11comp_targetILNS1_3genE5ELNS1_11target_archE942ELNS1_3gpuE9ELNS1_3repE0EEENS1_30default_config_static_selectorELNS0_4arch9wavefront6targetE0EEEvSP_ ; -- Begin function _ZN7rocprim17ROCPRIM_400000_NS6detail17trampoline_kernelINS0_14default_configENS1_27lower_bound_config_selectorIdiEEZNS1_14transform_implILb0ES3_S5_N6thrust23THRUST_200600_302600_NS6detail15normal_iteratorINS8_10device_ptrIdEEEENSA_INSB_IiEEEEZNS1_13binary_searchIS3_S5_SD_SD_SF_NS1_21lower_bound_search_opENS9_16wrapped_functionINS0_4lessIvEEbEEEE10hipError_tPvRmT1_T2_T3_mmT4_T5_P12ihipStream_tbEUlRKdE_EESM_SQ_SR_mSS_SV_bEUlT_E_NS1_11comp_targetILNS1_3genE5ELNS1_11target_archE942ELNS1_3gpuE9ELNS1_3repE0EEENS1_30default_config_static_selectorELNS0_4arch9wavefront6targetE0EEEvSP_
	.globl	_ZN7rocprim17ROCPRIM_400000_NS6detail17trampoline_kernelINS0_14default_configENS1_27lower_bound_config_selectorIdiEEZNS1_14transform_implILb0ES3_S5_N6thrust23THRUST_200600_302600_NS6detail15normal_iteratorINS8_10device_ptrIdEEEENSA_INSB_IiEEEEZNS1_13binary_searchIS3_S5_SD_SD_SF_NS1_21lower_bound_search_opENS9_16wrapped_functionINS0_4lessIvEEbEEEE10hipError_tPvRmT1_T2_T3_mmT4_T5_P12ihipStream_tbEUlRKdE_EESM_SQ_SR_mSS_SV_bEUlT_E_NS1_11comp_targetILNS1_3genE5ELNS1_11target_archE942ELNS1_3gpuE9ELNS1_3repE0EEENS1_30default_config_static_selectorELNS0_4arch9wavefront6targetE0EEEvSP_
	.p2align	8
	.type	_ZN7rocprim17ROCPRIM_400000_NS6detail17trampoline_kernelINS0_14default_configENS1_27lower_bound_config_selectorIdiEEZNS1_14transform_implILb0ES3_S5_N6thrust23THRUST_200600_302600_NS6detail15normal_iteratorINS8_10device_ptrIdEEEENSA_INSB_IiEEEEZNS1_13binary_searchIS3_S5_SD_SD_SF_NS1_21lower_bound_search_opENS9_16wrapped_functionINS0_4lessIvEEbEEEE10hipError_tPvRmT1_T2_T3_mmT4_T5_P12ihipStream_tbEUlRKdE_EESM_SQ_SR_mSS_SV_bEUlT_E_NS1_11comp_targetILNS1_3genE5ELNS1_11target_archE942ELNS1_3gpuE9ELNS1_3repE0EEENS1_30default_config_static_selectorELNS0_4arch9wavefront6targetE0EEEvSP_,@function
_ZN7rocprim17ROCPRIM_400000_NS6detail17trampoline_kernelINS0_14default_configENS1_27lower_bound_config_selectorIdiEEZNS1_14transform_implILb0ES3_S5_N6thrust23THRUST_200600_302600_NS6detail15normal_iteratorINS8_10device_ptrIdEEEENSA_INSB_IiEEEEZNS1_13binary_searchIS3_S5_SD_SD_SF_NS1_21lower_bound_search_opENS9_16wrapped_functionINS0_4lessIvEEbEEEE10hipError_tPvRmT1_T2_T3_mmT4_T5_P12ihipStream_tbEUlRKdE_EESM_SQ_SR_mSS_SV_bEUlT_E_NS1_11comp_targetILNS1_3genE5ELNS1_11target_archE942ELNS1_3gpuE9ELNS1_3repE0EEENS1_30default_config_static_selectorELNS0_4arch9wavefront6targetE0EEEvSP_: ; @_ZN7rocprim17ROCPRIM_400000_NS6detail17trampoline_kernelINS0_14default_configENS1_27lower_bound_config_selectorIdiEEZNS1_14transform_implILb0ES3_S5_N6thrust23THRUST_200600_302600_NS6detail15normal_iteratorINS8_10device_ptrIdEEEENSA_INSB_IiEEEEZNS1_13binary_searchIS3_S5_SD_SD_SF_NS1_21lower_bound_search_opENS9_16wrapped_functionINS0_4lessIvEEbEEEE10hipError_tPvRmT1_T2_T3_mmT4_T5_P12ihipStream_tbEUlRKdE_EESM_SQ_SR_mSS_SV_bEUlT_E_NS1_11comp_targetILNS1_3genE5ELNS1_11target_archE942ELNS1_3gpuE9ELNS1_3repE0EEENS1_30default_config_static_selectorELNS0_4arch9wavefront6targetE0EEEvSP_
; %bb.0:
	.section	.rodata,"a",@progbits
	.p2align	6, 0x0
	.amdhsa_kernel _ZN7rocprim17ROCPRIM_400000_NS6detail17trampoline_kernelINS0_14default_configENS1_27lower_bound_config_selectorIdiEEZNS1_14transform_implILb0ES3_S5_N6thrust23THRUST_200600_302600_NS6detail15normal_iteratorINS8_10device_ptrIdEEEENSA_INSB_IiEEEEZNS1_13binary_searchIS3_S5_SD_SD_SF_NS1_21lower_bound_search_opENS9_16wrapped_functionINS0_4lessIvEEbEEEE10hipError_tPvRmT1_T2_T3_mmT4_T5_P12ihipStream_tbEUlRKdE_EESM_SQ_SR_mSS_SV_bEUlT_E_NS1_11comp_targetILNS1_3genE5ELNS1_11target_archE942ELNS1_3gpuE9ELNS1_3repE0EEENS1_30default_config_static_selectorELNS0_4arch9wavefront6targetE0EEEvSP_
		.amdhsa_group_segment_fixed_size 0
		.amdhsa_private_segment_fixed_size 0
		.amdhsa_kernarg_size 56
		.amdhsa_user_sgpr_count 15
		.amdhsa_user_sgpr_dispatch_ptr 0
		.amdhsa_user_sgpr_queue_ptr 0
		.amdhsa_user_sgpr_kernarg_segment_ptr 1
		.amdhsa_user_sgpr_dispatch_id 0
		.amdhsa_user_sgpr_private_segment_size 0
		.amdhsa_wavefront_size32 1
		.amdhsa_uses_dynamic_stack 0
		.amdhsa_enable_private_segment 0
		.amdhsa_system_sgpr_workgroup_id_x 1
		.amdhsa_system_sgpr_workgroup_id_y 0
		.amdhsa_system_sgpr_workgroup_id_z 0
		.amdhsa_system_sgpr_workgroup_info 0
		.amdhsa_system_vgpr_workitem_id 0
		.amdhsa_next_free_vgpr 1
		.amdhsa_next_free_sgpr 1
		.amdhsa_reserve_vcc 0
		.amdhsa_float_round_mode_32 0
		.amdhsa_float_round_mode_16_64 0
		.amdhsa_float_denorm_mode_32 3
		.amdhsa_float_denorm_mode_16_64 3
		.amdhsa_dx10_clamp 1
		.amdhsa_ieee_mode 1
		.amdhsa_fp16_overflow 0
		.amdhsa_workgroup_processor_mode 1
		.amdhsa_memory_ordered 1
		.amdhsa_forward_progress 0
		.amdhsa_shared_vgpr_count 0
		.amdhsa_exception_fp_ieee_invalid_op 0
		.amdhsa_exception_fp_denorm_src 0
		.amdhsa_exception_fp_ieee_div_zero 0
		.amdhsa_exception_fp_ieee_overflow 0
		.amdhsa_exception_fp_ieee_underflow 0
		.amdhsa_exception_fp_ieee_inexact 0
		.amdhsa_exception_int_div_zero 0
	.end_amdhsa_kernel
	.section	.text._ZN7rocprim17ROCPRIM_400000_NS6detail17trampoline_kernelINS0_14default_configENS1_27lower_bound_config_selectorIdiEEZNS1_14transform_implILb0ES3_S5_N6thrust23THRUST_200600_302600_NS6detail15normal_iteratorINS8_10device_ptrIdEEEENSA_INSB_IiEEEEZNS1_13binary_searchIS3_S5_SD_SD_SF_NS1_21lower_bound_search_opENS9_16wrapped_functionINS0_4lessIvEEbEEEE10hipError_tPvRmT1_T2_T3_mmT4_T5_P12ihipStream_tbEUlRKdE_EESM_SQ_SR_mSS_SV_bEUlT_E_NS1_11comp_targetILNS1_3genE5ELNS1_11target_archE942ELNS1_3gpuE9ELNS1_3repE0EEENS1_30default_config_static_selectorELNS0_4arch9wavefront6targetE0EEEvSP_,"axG",@progbits,_ZN7rocprim17ROCPRIM_400000_NS6detail17trampoline_kernelINS0_14default_configENS1_27lower_bound_config_selectorIdiEEZNS1_14transform_implILb0ES3_S5_N6thrust23THRUST_200600_302600_NS6detail15normal_iteratorINS8_10device_ptrIdEEEENSA_INSB_IiEEEEZNS1_13binary_searchIS3_S5_SD_SD_SF_NS1_21lower_bound_search_opENS9_16wrapped_functionINS0_4lessIvEEbEEEE10hipError_tPvRmT1_T2_T3_mmT4_T5_P12ihipStream_tbEUlRKdE_EESM_SQ_SR_mSS_SV_bEUlT_E_NS1_11comp_targetILNS1_3genE5ELNS1_11target_archE942ELNS1_3gpuE9ELNS1_3repE0EEENS1_30default_config_static_selectorELNS0_4arch9wavefront6targetE0EEEvSP_,comdat
.Lfunc_end252:
	.size	_ZN7rocprim17ROCPRIM_400000_NS6detail17trampoline_kernelINS0_14default_configENS1_27lower_bound_config_selectorIdiEEZNS1_14transform_implILb0ES3_S5_N6thrust23THRUST_200600_302600_NS6detail15normal_iteratorINS8_10device_ptrIdEEEENSA_INSB_IiEEEEZNS1_13binary_searchIS3_S5_SD_SD_SF_NS1_21lower_bound_search_opENS9_16wrapped_functionINS0_4lessIvEEbEEEE10hipError_tPvRmT1_T2_T3_mmT4_T5_P12ihipStream_tbEUlRKdE_EESM_SQ_SR_mSS_SV_bEUlT_E_NS1_11comp_targetILNS1_3genE5ELNS1_11target_archE942ELNS1_3gpuE9ELNS1_3repE0EEENS1_30default_config_static_selectorELNS0_4arch9wavefront6targetE0EEEvSP_, .Lfunc_end252-_ZN7rocprim17ROCPRIM_400000_NS6detail17trampoline_kernelINS0_14default_configENS1_27lower_bound_config_selectorIdiEEZNS1_14transform_implILb0ES3_S5_N6thrust23THRUST_200600_302600_NS6detail15normal_iteratorINS8_10device_ptrIdEEEENSA_INSB_IiEEEEZNS1_13binary_searchIS3_S5_SD_SD_SF_NS1_21lower_bound_search_opENS9_16wrapped_functionINS0_4lessIvEEbEEEE10hipError_tPvRmT1_T2_T3_mmT4_T5_P12ihipStream_tbEUlRKdE_EESM_SQ_SR_mSS_SV_bEUlT_E_NS1_11comp_targetILNS1_3genE5ELNS1_11target_archE942ELNS1_3gpuE9ELNS1_3repE0EEENS1_30default_config_static_selectorELNS0_4arch9wavefront6targetE0EEEvSP_
                                        ; -- End function
	.section	.AMDGPU.csdata,"",@progbits
; Kernel info:
; codeLenInByte = 0
; NumSgprs: 0
; NumVgprs: 0
; ScratchSize: 0
; MemoryBound: 0
; FloatMode: 240
; IeeeMode: 1
; LDSByteSize: 0 bytes/workgroup (compile time only)
; SGPRBlocks: 0
; VGPRBlocks: 0
; NumSGPRsForWavesPerEU: 1
; NumVGPRsForWavesPerEU: 1
; Occupancy: 16
; WaveLimiterHint : 0
; COMPUTE_PGM_RSRC2:SCRATCH_EN: 0
; COMPUTE_PGM_RSRC2:USER_SGPR: 15
; COMPUTE_PGM_RSRC2:TRAP_HANDLER: 0
; COMPUTE_PGM_RSRC2:TGID_X_EN: 1
; COMPUTE_PGM_RSRC2:TGID_Y_EN: 0
; COMPUTE_PGM_RSRC2:TGID_Z_EN: 0
; COMPUTE_PGM_RSRC2:TIDIG_COMP_CNT: 0
	.section	.text._ZN7rocprim17ROCPRIM_400000_NS6detail17trampoline_kernelINS0_14default_configENS1_27lower_bound_config_selectorIdiEEZNS1_14transform_implILb0ES3_S5_N6thrust23THRUST_200600_302600_NS6detail15normal_iteratorINS8_10device_ptrIdEEEENSA_INSB_IiEEEEZNS1_13binary_searchIS3_S5_SD_SD_SF_NS1_21lower_bound_search_opENS9_16wrapped_functionINS0_4lessIvEEbEEEE10hipError_tPvRmT1_T2_T3_mmT4_T5_P12ihipStream_tbEUlRKdE_EESM_SQ_SR_mSS_SV_bEUlT_E_NS1_11comp_targetILNS1_3genE4ELNS1_11target_archE910ELNS1_3gpuE8ELNS1_3repE0EEENS1_30default_config_static_selectorELNS0_4arch9wavefront6targetE0EEEvSP_,"axG",@progbits,_ZN7rocprim17ROCPRIM_400000_NS6detail17trampoline_kernelINS0_14default_configENS1_27lower_bound_config_selectorIdiEEZNS1_14transform_implILb0ES3_S5_N6thrust23THRUST_200600_302600_NS6detail15normal_iteratorINS8_10device_ptrIdEEEENSA_INSB_IiEEEEZNS1_13binary_searchIS3_S5_SD_SD_SF_NS1_21lower_bound_search_opENS9_16wrapped_functionINS0_4lessIvEEbEEEE10hipError_tPvRmT1_T2_T3_mmT4_T5_P12ihipStream_tbEUlRKdE_EESM_SQ_SR_mSS_SV_bEUlT_E_NS1_11comp_targetILNS1_3genE4ELNS1_11target_archE910ELNS1_3gpuE8ELNS1_3repE0EEENS1_30default_config_static_selectorELNS0_4arch9wavefront6targetE0EEEvSP_,comdat
	.protected	_ZN7rocprim17ROCPRIM_400000_NS6detail17trampoline_kernelINS0_14default_configENS1_27lower_bound_config_selectorIdiEEZNS1_14transform_implILb0ES3_S5_N6thrust23THRUST_200600_302600_NS6detail15normal_iteratorINS8_10device_ptrIdEEEENSA_INSB_IiEEEEZNS1_13binary_searchIS3_S5_SD_SD_SF_NS1_21lower_bound_search_opENS9_16wrapped_functionINS0_4lessIvEEbEEEE10hipError_tPvRmT1_T2_T3_mmT4_T5_P12ihipStream_tbEUlRKdE_EESM_SQ_SR_mSS_SV_bEUlT_E_NS1_11comp_targetILNS1_3genE4ELNS1_11target_archE910ELNS1_3gpuE8ELNS1_3repE0EEENS1_30default_config_static_selectorELNS0_4arch9wavefront6targetE0EEEvSP_ ; -- Begin function _ZN7rocprim17ROCPRIM_400000_NS6detail17trampoline_kernelINS0_14default_configENS1_27lower_bound_config_selectorIdiEEZNS1_14transform_implILb0ES3_S5_N6thrust23THRUST_200600_302600_NS6detail15normal_iteratorINS8_10device_ptrIdEEEENSA_INSB_IiEEEEZNS1_13binary_searchIS3_S5_SD_SD_SF_NS1_21lower_bound_search_opENS9_16wrapped_functionINS0_4lessIvEEbEEEE10hipError_tPvRmT1_T2_T3_mmT4_T5_P12ihipStream_tbEUlRKdE_EESM_SQ_SR_mSS_SV_bEUlT_E_NS1_11comp_targetILNS1_3genE4ELNS1_11target_archE910ELNS1_3gpuE8ELNS1_3repE0EEENS1_30default_config_static_selectorELNS0_4arch9wavefront6targetE0EEEvSP_
	.globl	_ZN7rocprim17ROCPRIM_400000_NS6detail17trampoline_kernelINS0_14default_configENS1_27lower_bound_config_selectorIdiEEZNS1_14transform_implILb0ES3_S5_N6thrust23THRUST_200600_302600_NS6detail15normal_iteratorINS8_10device_ptrIdEEEENSA_INSB_IiEEEEZNS1_13binary_searchIS3_S5_SD_SD_SF_NS1_21lower_bound_search_opENS9_16wrapped_functionINS0_4lessIvEEbEEEE10hipError_tPvRmT1_T2_T3_mmT4_T5_P12ihipStream_tbEUlRKdE_EESM_SQ_SR_mSS_SV_bEUlT_E_NS1_11comp_targetILNS1_3genE4ELNS1_11target_archE910ELNS1_3gpuE8ELNS1_3repE0EEENS1_30default_config_static_selectorELNS0_4arch9wavefront6targetE0EEEvSP_
	.p2align	8
	.type	_ZN7rocprim17ROCPRIM_400000_NS6detail17trampoline_kernelINS0_14default_configENS1_27lower_bound_config_selectorIdiEEZNS1_14transform_implILb0ES3_S5_N6thrust23THRUST_200600_302600_NS6detail15normal_iteratorINS8_10device_ptrIdEEEENSA_INSB_IiEEEEZNS1_13binary_searchIS3_S5_SD_SD_SF_NS1_21lower_bound_search_opENS9_16wrapped_functionINS0_4lessIvEEbEEEE10hipError_tPvRmT1_T2_T3_mmT4_T5_P12ihipStream_tbEUlRKdE_EESM_SQ_SR_mSS_SV_bEUlT_E_NS1_11comp_targetILNS1_3genE4ELNS1_11target_archE910ELNS1_3gpuE8ELNS1_3repE0EEENS1_30default_config_static_selectorELNS0_4arch9wavefront6targetE0EEEvSP_,@function
_ZN7rocprim17ROCPRIM_400000_NS6detail17trampoline_kernelINS0_14default_configENS1_27lower_bound_config_selectorIdiEEZNS1_14transform_implILb0ES3_S5_N6thrust23THRUST_200600_302600_NS6detail15normal_iteratorINS8_10device_ptrIdEEEENSA_INSB_IiEEEEZNS1_13binary_searchIS3_S5_SD_SD_SF_NS1_21lower_bound_search_opENS9_16wrapped_functionINS0_4lessIvEEbEEEE10hipError_tPvRmT1_T2_T3_mmT4_T5_P12ihipStream_tbEUlRKdE_EESM_SQ_SR_mSS_SV_bEUlT_E_NS1_11comp_targetILNS1_3genE4ELNS1_11target_archE910ELNS1_3gpuE8ELNS1_3repE0EEENS1_30default_config_static_selectorELNS0_4arch9wavefront6targetE0EEEvSP_: ; @_ZN7rocprim17ROCPRIM_400000_NS6detail17trampoline_kernelINS0_14default_configENS1_27lower_bound_config_selectorIdiEEZNS1_14transform_implILb0ES3_S5_N6thrust23THRUST_200600_302600_NS6detail15normal_iteratorINS8_10device_ptrIdEEEENSA_INSB_IiEEEEZNS1_13binary_searchIS3_S5_SD_SD_SF_NS1_21lower_bound_search_opENS9_16wrapped_functionINS0_4lessIvEEbEEEE10hipError_tPvRmT1_T2_T3_mmT4_T5_P12ihipStream_tbEUlRKdE_EESM_SQ_SR_mSS_SV_bEUlT_E_NS1_11comp_targetILNS1_3genE4ELNS1_11target_archE910ELNS1_3gpuE8ELNS1_3repE0EEENS1_30default_config_static_selectorELNS0_4arch9wavefront6targetE0EEEvSP_
; %bb.0:
	.section	.rodata,"a",@progbits
	.p2align	6, 0x0
	.amdhsa_kernel _ZN7rocprim17ROCPRIM_400000_NS6detail17trampoline_kernelINS0_14default_configENS1_27lower_bound_config_selectorIdiEEZNS1_14transform_implILb0ES3_S5_N6thrust23THRUST_200600_302600_NS6detail15normal_iteratorINS8_10device_ptrIdEEEENSA_INSB_IiEEEEZNS1_13binary_searchIS3_S5_SD_SD_SF_NS1_21lower_bound_search_opENS9_16wrapped_functionINS0_4lessIvEEbEEEE10hipError_tPvRmT1_T2_T3_mmT4_T5_P12ihipStream_tbEUlRKdE_EESM_SQ_SR_mSS_SV_bEUlT_E_NS1_11comp_targetILNS1_3genE4ELNS1_11target_archE910ELNS1_3gpuE8ELNS1_3repE0EEENS1_30default_config_static_selectorELNS0_4arch9wavefront6targetE0EEEvSP_
		.amdhsa_group_segment_fixed_size 0
		.amdhsa_private_segment_fixed_size 0
		.amdhsa_kernarg_size 56
		.amdhsa_user_sgpr_count 15
		.amdhsa_user_sgpr_dispatch_ptr 0
		.amdhsa_user_sgpr_queue_ptr 0
		.amdhsa_user_sgpr_kernarg_segment_ptr 1
		.amdhsa_user_sgpr_dispatch_id 0
		.amdhsa_user_sgpr_private_segment_size 0
		.amdhsa_wavefront_size32 1
		.amdhsa_uses_dynamic_stack 0
		.amdhsa_enable_private_segment 0
		.amdhsa_system_sgpr_workgroup_id_x 1
		.amdhsa_system_sgpr_workgroup_id_y 0
		.amdhsa_system_sgpr_workgroup_id_z 0
		.amdhsa_system_sgpr_workgroup_info 0
		.amdhsa_system_vgpr_workitem_id 0
		.amdhsa_next_free_vgpr 1
		.amdhsa_next_free_sgpr 1
		.amdhsa_reserve_vcc 0
		.amdhsa_float_round_mode_32 0
		.amdhsa_float_round_mode_16_64 0
		.amdhsa_float_denorm_mode_32 3
		.amdhsa_float_denorm_mode_16_64 3
		.amdhsa_dx10_clamp 1
		.amdhsa_ieee_mode 1
		.amdhsa_fp16_overflow 0
		.amdhsa_workgroup_processor_mode 1
		.amdhsa_memory_ordered 1
		.amdhsa_forward_progress 0
		.amdhsa_shared_vgpr_count 0
		.amdhsa_exception_fp_ieee_invalid_op 0
		.amdhsa_exception_fp_denorm_src 0
		.amdhsa_exception_fp_ieee_div_zero 0
		.amdhsa_exception_fp_ieee_overflow 0
		.amdhsa_exception_fp_ieee_underflow 0
		.amdhsa_exception_fp_ieee_inexact 0
		.amdhsa_exception_int_div_zero 0
	.end_amdhsa_kernel
	.section	.text._ZN7rocprim17ROCPRIM_400000_NS6detail17trampoline_kernelINS0_14default_configENS1_27lower_bound_config_selectorIdiEEZNS1_14transform_implILb0ES3_S5_N6thrust23THRUST_200600_302600_NS6detail15normal_iteratorINS8_10device_ptrIdEEEENSA_INSB_IiEEEEZNS1_13binary_searchIS3_S5_SD_SD_SF_NS1_21lower_bound_search_opENS9_16wrapped_functionINS0_4lessIvEEbEEEE10hipError_tPvRmT1_T2_T3_mmT4_T5_P12ihipStream_tbEUlRKdE_EESM_SQ_SR_mSS_SV_bEUlT_E_NS1_11comp_targetILNS1_3genE4ELNS1_11target_archE910ELNS1_3gpuE8ELNS1_3repE0EEENS1_30default_config_static_selectorELNS0_4arch9wavefront6targetE0EEEvSP_,"axG",@progbits,_ZN7rocprim17ROCPRIM_400000_NS6detail17trampoline_kernelINS0_14default_configENS1_27lower_bound_config_selectorIdiEEZNS1_14transform_implILb0ES3_S5_N6thrust23THRUST_200600_302600_NS6detail15normal_iteratorINS8_10device_ptrIdEEEENSA_INSB_IiEEEEZNS1_13binary_searchIS3_S5_SD_SD_SF_NS1_21lower_bound_search_opENS9_16wrapped_functionINS0_4lessIvEEbEEEE10hipError_tPvRmT1_T2_T3_mmT4_T5_P12ihipStream_tbEUlRKdE_EESM_SQ_SR_mSS_SV_bEUlT_E_NS1_11comp_targetILNS1_3genE4ELNS1_11target_archE910ELNS1_3gpuE8ELNS1_3repE0EEENS1_30default_config_static_selectorELNS0_4arch9wavefront6targetE0EEEvSP_,comdat
.Lfunc_end253:
	.size	_ZN7rocprim17ROCPRIM_400000_NS6detail17trampoline_kernelINS0_14default_configENS1_27lower_bound_config_selectorIdiEEZNS1_14transform_implILb0ES3_S5_N6thrust23THRUST_200600_302600_NS6detail15normal_iteratorINS8_10device_ptrIdEEEENSA_INSB_IiEEEEZNS1_13binary_searchIS3_S5_SD_SD_SF_NS1_21lower_bound_search_opENS9_16wrapped_functionINS0_4lessIvEEbEEEE10hipError_tPvRmT1_T2_T3_mmT4_T5_P12ihipStream_tbEUlRKdE_EESM_SQ_SR_mSS_SV_bEUlT_E_NS1_11comp_targetILNS1_3genE4ELNS1_11target_archE910ELNS1_3gpuE8ELNS1_3repE0EEENS1_30default_config_static_selectorELNS0_4arch9wavefront6targetE0EEEvSP_, .Lfunc_end253-_ZN7rocprim17ROCPRIM_400000_NS6detail17trampoline_kernelINS0_14default_configENS1_27lower_bound_config_selectorIdiEEZNS1_14transform_implILb0ES3_S5_N6thrust23THRUST_200600_302600_NS6detail15normal_iteratorINS8_10device_ptrIdEEEENSA_INSB_IiEEEEZNS1_13binary_searchIS3_S5_SD_SD_SF_NS1_21lower_bound_search_opENS9_16wrapped_functionINS0_4lessIvEEbEEEE10hipError_tPvRmT1_T2_T3_mmT4_T5_P12ihipStream_tbEUlRKdE_EESM_SQ_SR_mSS_SV_bEUlT_E_NS1_11comp_targetILNS1_3genE4ELNS1_11target_archE910ELNS1_3gpuE8ELNS1_3repE0EEENS1_30default_config_static_selectorELNS0_4arch9wavefront6targetE0EEEvSP_
                                        ; -- End function
	.section	.AMDGPU.csdata,"",@progbits
; Kernel info:
; codeLenInByte = 0
; NumSgprs: 0
; NumVgprs: 0
; ScratchSize: 0
; MemoryBound: 0
; FloatMode: 240
; IeeeMode: 1
; LDSByteSize: 0 bytes/workgroup (compile time only)
; SGPRBlocks: 0
; VGPRBlocks: 0
; NumSGPRsForWavesPerEU: 1
; NumVGPRsForWavesPerEU: 1
; Occupancy: 16
; WaveLimiterHint : 0
; COMPUTE_PGM_RSRC2:SCRATCH_EN: 0
; COMPUTE_PGM_RSRC2:USER_SGPR: 15
; COMPUTE_PGM_RSRC2:TRAP_HANDLER: 0
; COMPUTE_PGM_RSRC2:TGID_X_EN: 1
; COMPUTE_PGM_RSRC2:TGID_Y_EN: 0
; COMPUTE_PGM_RSRC2:TGID_Z_EN: 0
; COMPUTE_PGM_RSRC2:TIDIG_COMP_CNT: 0
	.section	.text._ZN7rocprim17ROCPRIM_400000_NS6detail17trampoline_kernelINS0_14default_configENS1_27lower_bound_config_selectorIdiEEZNS1_14transform_implILb0ES3_S5_N6thrust23THRUST_200600_302600_NS6detail15normal_iteratorINS8_10device_ptrIdEEEENSA_INSB_IiEEEEZNS1_13binary_searchIS3_S5_SD_SD_SF_NS1_21lower_bound_search_opENS9_16wrapped_functionINS0_4lessIvEEbEEEE10hipError_tPvRmT1_T2_T3_mmT4_T5_P12ihipStream_tbEUlRKdE_EESM_SQ_SR_mSS_SV_bEUlT_E_NS1_11comp_targetILNS1_3genE3ELNS1_11target_archE908ELNS1_3gpuE7ELNS1_3repE0EEENS1_30default_config_static_selectorELNS0_4arch9wavefront6targetE0EEEvSP_,"axG",@progbits,_ZN7rocprim17ROCPRIM_400000_NS6detail17trampoline_kernelINS0_14default_configENS1_27lower_bound_config_selectorIdiEEZNS1_14transform_implILb0ES3_S5_N6thrust23THRUST_200600_302600_NS6detail15normal_iteratorINS8_10device_ptrIdEEEENSA_INSB_IiEEEEZNS1_13binary_searchIS3_S5_SD_SD_SF_NS1_21lower_bound_search_opENS9_16wrapped_functionINS0_4lessIvEEbEEEE10hipError_tPvRmT1_T2_T3_mmT4_T5_P12ihipStream_tbEUlRKdE_EESM_SQ_SR_mSS_SV_bEUlT_E_NS1_11comp_targetILNS1_3genE3ELNS1_11target_archE908ELNS1_3gpuE7ELNS1_3repE0EEENS1_30default_config_static_selectorELNS0_4arch9wavefront6targetE0EEEvSP_,comdat
	.protected	_ZN7rocprim17ROCPRIM_400000_NS6detail17trampoline_kernelINS0_14default_configENS1_27lower_bound_config_selectorIdiEEZNS1_14transform_implILb0ES3_S5_N6thrust23THRUST_200600_302600_NS6detail15normal_iteratorINS8_10device_ptrIdEEEENSA_INSB_IiEEEEZNS1_13binary_searchIS3_S5_SD_SD_SF_NS1_21lower_bound_search_opENS9_16wrapped_functionINS0_4lessIvEEbEEEE10hipError_tPvRmT1_T2_T3_mmT4_T5_P12ihipStream_tbEUlRKdE_EESM_SQ_SR_mSS_SV_bEUlT_E_NS1_11comp_targetILNS1_3genE3ELNS1_11target_archE908ELNS1_3gpuE7ELNS1_3repE0EEENS1_30default_config_static_selectorELNS0_4arch9wavefront6targetE0EEEvSP_ ; -- Begin function _ZN7rocprim17ROCPRIM_400000_NS6detail17trampoline_kernelINS0_14default_configENS1_27lower_bound_config_selectorIdiEEZNS1_14transform_implILb0ES3_S5_N6thrust23THRUST_200600_302600_NS6detail15normal_iteratorINS8_10device_ptrIdEEEENSA_INSB_IiEEEEZNS1_13binary_searchIS3_S5_SD_SD_SF_NS1_21lower_bound_search_opENS9_16wrapped_functionINS0_4lessIvEEbEEEE10hipError_tPvRmT1_T2_T3_mmT4_T5_P12ihipStream_tbEUlRKdE_EESM_SQ_SR_mSS_SV_bEUlT_E_NS1_11comp_targetILNS1_3genE3ELNS1_11target_archE908ELNS1_3gpuE7ELNS1_3repE0EEENS1_30default_config_static_selectorELNS0_4arch9wavefront6targetE0EEEvSP_
	.globl	_ZN7rocprim17ROCPRIM_400000_NS6detail17trampoline_kernelINS0_14default_configENS1_27lower_bound_config_selectorIdiEEZNS1_14transform_implILb0ES3_S5_N6thrust23THRUST_200600_302600_NS6detail15normal_iteratorINS8_10device_ptrIdEEEENSA_INSB_IiEEEEZNS1_13binary_searchIS3_S5_SD_SD_SF_NS1_21lower_bound_search_opENS9_16wrapped_functionINS0_4lessIvEEbEEEE10hipError_tPvRmT1_T2_T3_mmT4_T5_P12ihipStream_tbEUlRKdE_EESM_SQ_SR_mSS_SV_bEUlT_E_NS1_11comp_targetILNS1_3genE3ELNS1_11target_archE908ELNS1_3gpuE7ELNS1_3repE0EEENS1_30default_config_static_selectorELNS0_4arch9wavefront6targetE0EEEvSP_
	.p2align	8
	.type	_ZN7rocprim17ROCPRIM_400000_NS6detail17trampoline_kernelINS0_14default_configENS1_27lower_bound_config_selectorIdiEEZNS1_14transform_implILb0ES3_S5_N6thrust23THRUST_200600_302600_NS6detail15normal_iteratorINS8_10device_ptrIdEEEENSA_INSB_IiEEEEZNS1_13binary_searchIS3_S5_SD_SD_SF_NS1_21lower_bound_search_opENS9_16wrapped_functionINS0_4lessIvEEbEEEE10hipError_tPvRmT1_T2_T3_mmT4_T5_P12ihipStream_tbEUlRKdE_EESM_SQ_SR_mSS_SV_bEUlT_E_NS1_11comp_targetILNS1_3genE3ELNS1_11target_archE908ELNS1_3gpuE7ELNS1_3repE0EEENS1_30default_config_static_selectorELNS0_4arch9wavefront6targetE0EEEvSP_,@function
_ZN7rocprim17ROCPRIM_400000_NS6detail17trampoline_kernelINS0_14default_configENS1_27lower_bound_config_selectorIdiEEZNS1_14transform_implILb0ES3_S5_N6thrust23THRUST_200600_302600_NS6detail15normal_iteratorINS8_10device_ptrIdEEEENSA_INSB_IiEEEEZNS1_13binary_searchIS3_S5_SD_SD_SF_NS1_21lower_bound_search_opENS9_16wrapped_functionINS0_4lessIvEEbEEEE10hipError_tPvRmT1_T2_T3_mmT4_T5_P12ihipStream_tbEUlRKdE_EESM_SQ_SR_mSS_SV_bEUlT_E_NS1_11comp_targetILNS1_3genE3ELNS1_11target_archE908ELNS1_3gpuE7ELNS1_3repE0EEENS1_30default_config_static_selectorELNS0_4arch9wavefront6targetE0EEEvSP_: ; @_ZN7rocprim17ROCPRIM_400000_NS6detail17trampoline_kernelINS0_14default_configENS1_27lower_bound_config_selectorIdiEEZNS1_14transform_implILb0ES3_S5_N6thrust23THRUST_200600_302600_NS6detail15normal_iteratorINS8_10device_ptrIdEEEENSA_INSB_IiEEEEZNS1_13binary_searchIS3_S5_SD_SD_SF_NS1_21lower_bound_search_opENS9_16wrapped_functionINS0_4lessIvEEbEEEE10hipError_tPvRmT1_T2_T3_mmT4_T5_P12ihipStream_tbEUlRKdE_EESM_SQ_SR_mSS_SV_bEUlT_E_NS1_11comp_targetILNS1_3genE3ELNS1_11target_archE908ELNS1_3gpuE7ELNS1_3repE0EEENS1_30default_config_static_selectorELNS0_4arch9wavefront6targetE0EEEvSP_
; %bb.0:
	.section	.rodata,"a",@progbits
	.p2align	6, 0x0
	.amdhsa_kernel _ZN7rocprim17ROCPRIM_400000_NS6detail17trampoline_kernelINS0_14default_configENS1_27lower_bound_config_selectorIdiEEZNS1_14transform_implILb0ES3_S5_N6thrust23THRUST_200600_302600_NS6detail15normal_iteratorINS8_10device_ptrIdEEEENSA_INSB_IiEEEEZNS1_13binary_searchIS3_S5_SD_SD_SF_NS1_21lower_bound_search_opENS9_16wrapped_functionINS0_4lessIvEEbEEEE10hipError_tPvRmT1_T2_T3_mmT4_T5_P12ihipStream_tbEUlRKdE_EESM_SQ_SR_mSS_SV_bEUlT_E_NS1_11comp_targetILNS1_3genE3ELNS1_11target_archE908ELNS1_3gpuE7ELNS1_3repE0EEENS1_30default_config_static_selectorELNS0_4arch9wavefront6targetE0EEEvSP_
		.amdhsa_group_segment_fixed_size 0
		.amdhsa_private_segment_fixed_size 0
		.amdhsa_kernarg_size 56
		.amdhsa_user_sgpr_count 15
		.amdhsa_user_sgpr_dispatch_ptr 0
		.amdhsa_user_sgpr_queue_ptr 0
		.amdhsa_user_sgpr_kernarg_segment_ptr 1
		.amdhsa_user_sgpr_dispatch_id 0
		.amdhsa_user_sgpr_private_segment_size 0
		.amdhsa_wavefront_size32 1
		.amdhsa_uses_dynamic_stack 0
		.amdhsa_enable_private_segment 0
		.amdhsa_system_sgpr_workgroup_id_x 1
		.amdhsa_system_sgpr_workgroup_id_y 0
		.amdhsa_system_sgpr_workgroup_id_z 0
		.amdhsa_system_sgpr_workgroup_info 0
		.amdhsa_system_vgpr_workitem_id 0
		.amdhsa_next_free_vgpr 1
		.amdhsa_next_free_sgpr 1
		.amdhsa_reserve_vcc 0
		.amdhsa_float_round_mode_32 0
		.amdhsa_float_round_mode_16_64 0
		.amdhsa_float_denorm_mode_32 3
		.amdhsa_float_denorm_mode_16_64 3
		.amdhsa_dx10_clamp 1
		.amdhsa_ieee_mode 1
		.amdhsa_fp16_overflow 0
		.amdhsa_workgroup_processor_mode 1
		.amdhsa_memory_ordered 1
		.amdhsa_forward_progress 0
		.amdhsa_shared_vgpr_count 0
		.amdhsa_exception_fp_ieee_invalid_op 0
		.amdhsa_exception_fp_denorm_src 0
		.amdhsa_exception_fp_ieee_div_zero 0
		.amdhsa_exception_fp_ieee_overflow 0
		.amdhsa_exception_fp_ieee_underflow 0
		.amdhsa_exception_fp_ieee_inexact 0
		.amdhsa_exception_int_div_zero 0
	.end_amdhsa_kernel
	.section	.text._ZN7rocprim17ROCPRIM_400000_NS6detail17trampoline_kernelINS0_14default_configENS1_27lower_bound_config_selectorIdiEEZNS1_14transform_implILb0ES3_S5_N6thrust23THRUST_200600_302600_NS6detail15normal_iteratorINS8_10device_ptrIdEEEENSA_INSB_IiEEEEZNS1_13binary_searchIS3_S5_SD_SD_SF_NS1_21lower_bound_search_opENS9_16wrapped_functionINS0_4lessIvEEbEEEE10hipError_tPvRmT1_T2_T3_mmT4_T5_P12ihipStream_tbEUlRKdE_EESM_SQ_SR_mSS_SV_bEUlT_E_NS1_11comp_targetILNS1_3genE3ELNS1_11target_archE908ELNS1_3gpuE7ELNS1_3repE0EEENS1_30default_config_static_selectorELNS0_4arch9wavefront6targetE0EEEvSP_,"axG",@progbits,_ZN7rocprim17ROCPRIM_400000_NS6detail17trampoline_kernelINS0_14default_configENS1_27lower_bound_config_selectorIdiEEZNS1_14transform_implILb0ES3_S5_N6thrust23THRUST_200600_302600_NS6detail15normal_iteratorINS8_10device_ptrIdEEEENSA_INSB_IiEEEEZNS1_13binary_searchIS3_S5_SD_SD_SF_NS1_21lower_bound_search_opENS9_16wrapped_functionINS0_4lessIvEEbEEEE10hipError_tPvRmT1_T2_T3_mmT4_T5_P12ihipStream_tbEUlRKdE_EESM_SQ_SR_mSS_SV_bEUlT_E_NS1_11comp_targetILNS1_3genE3ELNS1_11target_archE908ELNS1_3gpuE7ELNS1_3repE0EEENS1_30default_config_static_selectorELNS0_4arch9wavefront6targetE0EEEvSP_,comdat
.Lfunc_end254:
	.size	_ZN7rocprim17ROCPRIM_400000_NS6detail17trampoline_kernelINS0_14default_configENS1_27lower_bound_config_selectorIdiEEZNS1_14transform_implILb0ES3_S5_N6thrust23THRUST_200600_302600_NS6detail15normal_iteratorINS8_10device_ptrIdEEEENSA_INSB_IiEEEEZNS1_13binary_searchIS3_S5_SD_SD_SF_NS1_21lower_bound_search_opENS9_16wrapped_functionINS0_4lessIvEEbEEEE10hipError_tPvRmT1_T2_T3_mmT4_T5_P12ihipStream_tbEUlRKdE_EESM_SQ_SR_mSS_SV_bEUlT_E_NS1_11comp_targetILNS1_3genE3ELNS1_11target_archE908ELNS1_3gpuE7ELNS1_3repE0EEENS1_30default_config_static_selectorELNS0_4arch9wavefront6targetE0EEEvSP_, .Lfunc_end254-_ZN7rocprim17ROCPRIM_400000_NS6detail17trampoline_kernelINS0_14default_configENS1_27lower_bound_config_selectorIdiEEZNS1_14transform_implILb0ES3_S5_N6thrust23THRUST_200600_302600_NS6detail15normal_iteratorINS8_10device_ptrIdEEEENSA_INSB_IiEEEEZNS1_13binary_searchIS3_S5_SD_SD_SF_NS1_21lower_bound_search_opENS9_16wrapped_functionINS0_4lessIvEEbEEEE10hipError_tPvRmT1_T2_T3_mmT4_T5_P12ihipStream_tbEUlRKdE_EESM_SQ_SR_mSS_SV_bEUlT_E_NS1_11comp_targetILNS1_3genE3ELNS1_11target_archE908ELNS1_3gpuE7ELNS1_3repE0EEENS1_30default_config_static_selectorELNS0_4arch9wavefront6targetE0EEEvSP_
                                        ; -- End function
	.section	.AMDGPU.csdata,"",@progbits
; Kernel info:
; codeLenInByte = 0
; NumSgprs: 0
; NumVgprs: 0
; ScratchSize: 0
; MemoryBound: 0
; FloatMode: 240
; IeeeMode: 1
; LDSByteSize: 0 bytes/workgroup (compile time only)
; SGPRBlocks: 0
; VGPRBlocks: 0
; NumSGPRsForWavesPerEU: 1
; NumVGPRsForWavesPerEU: 1
; Occupancy: 16
; WaveLimiterHint : 0
; COMPUTE_PGM_RSRC2:SCRATCH_EN: 0
; COMPUTE_PGM_RSRC2:USER_SGPR: 15
; COMPUTE_PGM_RSRC2:TRAP_HANDLER: 0
; COMPUTE_PGM_RSRC2:TGID_X_EN: 1
; COMPUTE_PGM_RSRC2:TGID_Y_EN: 0
; COMPUTE_PGM_RSRC2:TGID_Z_EN: 0
; COMPUTE_PGM_RSRC2:TIDIG_COMP_CNT: 0
	.section	.text._ZN7rocprim17ROCPRIM_400000_NS6detail17trampoline_kernelINS0_14default_configENS1_27lower_bound_config_selectorIdiEEZNS1_14transform_implILb0ES3_S5_N6thrust23THRUST_200600_302600_NS6detail15normal_iteratorINS8_10device_ptrIdEEEENSA_INSB_IiEEEEZNS1_13binary_searchIS3_S5_SD_SD_SF_NS1_21lower_bound_search_opENS9_16wrapped_functionINS0_4lessIvEEbEEEE10hipError_tPvRmT1_T2_T3_mmT4_T5_P12ihipStream_tbEUlRKdE_EESM_SQ_SR_mSS_SV_bEUlT_E_NS1_11comp_targetILNS1_3genE2ELNS1_11target_archE906ELNS1_3gpuE6ELNS1_3repE0EEENS1_30default_config_static_selectorELNS0_4arch9wavefront6targetE0EEEvSP_,"axG",@progbits,_ZN7rocprim17ROCPRIM_400000_NS6detail17trampoline_kernelINS0_14default_configENS1_27lower_bound_config_selectorIdiEEZNS1_14transform_implILb0ES3_S5_N6thrust23THRUST_200600_302600_NS6detail15normal_iteratorINS8_10device_ptrIdEEEENSA_INSB_IiEEEEZNS1_13binary_searchIS3_S5_SD_SD_SF_NS1_21lower_bound_search_opENS9_16wrapped_functionINS0_4lessIvEEbEEEE10hipError_tPvRmT1_T2_T3_mmT4_T5_P12ihipStream_tbEUlRKdE_EESM_SQ_SR_mSS_SV_bEUlT_E_NS1_11comp_targetILNS1_3genE2ELNS1_11target_archE906ELNS1_3gpuE6ELNS1_3repE0EEENS1_30default_config_static_selectorELNS0_4arch9wavefront6targetE0EEEvSP_,comdat
	.protected	_ZN7rocprim17ROCPRIM_400000_NS6detail17trampoline_kernelINS0_14default_configENS1_27lower_bound_config_selectorIdiEEZNS1_14transform_implILb0ES3_S5_N6thrust23THRUST_200600_302600_NS6detail15normal_iteratorINS8_10device_ptrIdEEEENSA_INSB_IiEEEEZNS1_13binary_searchIS3_S5_SD_SD_SF_NS1_21lower_bound_search_opENS9_16wrapped_functionINS0_4lessIvEEbEEEE10hipError_tPvRmT1_T2_T3_mmT4_T5_P12ihipStream_tbEUlRKdE_EESM_SQ_SR_mSS_SV_bEUlT_E_NS1_11comp_targetILNS1_3genE2ELNS1_11target_archE906ELNS1_3gpuE6ELNS1_3repE0EEENS1_30default_config_static_selectorELNS0_4arch9wavefront6targetE0EEEvSP_ ; -- Begin function _ZN7rocprim17ROCPRIM_400000_NS6detail17trampoline_kernelINS0_14default_configENS1_27lower_bound_config_selectorIdiEEZNS1_14transform_implILb0ES3_S5_N6thrust23THRUST_200600_302600_NS6detail15normal_iteratorINS8_10device_ptrIdEEEENSA_INSB_IiEEEEZNS1_13binary_searchIS3_S5_SD_SD_SF_NS1_21lower_bound_search_opENS9_16wrapped_functionINS0_4lessIvEEbEEEE10hipError_tPvRmT1_T2_T3_mmT4_T5_P12ihipStream_tbEUlRKdE_EESM_SQ_SR_mSS_SV_bEUlT_E_NS1_11comp_targetILNS1_3genE2ELNS1_11target_archE906ELNS1_3gpuE6ELNS1_3repE0EEENS1_30default_config_static_selectorELNS0_4arch9wavefront6targetE0EEEvSP_
	.globl	_ZN7rocprim17ROCPRIM_400000_NS6detail17trampoline_kernelINS0_14default_configENS1_27lower_bound_config_selectorIdiEEZNS1_14transform_implILb0ES3_S5_N6thrust23THRUST_200600_302600_NS6detail15normal_iteratorINS8_10device_ptrIdEEEENSA_INSB_IiEEEEZNS1_13binary_searchIS3_S5_SD_SD_SF_NS1_21lower_bound_search_opENS9_16wrapped_functionINS0_4lessIvEEbEEEE10hipError_tPvRmT1_T2_T3_mmT4_T5_P12ihipStream_tbEUlRKdE_EESM_SQ_SR_mSS_SV_bEUlT_E_NS1_11comp_targetILNS1_3genE2ELNS1_11target_archE906ELNS1_3gpuE6ELNS1_3repE0EEENS1_30default_config_static_selectorELNS0_4arch9wavefront6targetE0EEEvSP_
	.p2align	8
	.type	_ZN7rocprim17ROCPRIM_400000_NS6detail17trampoline_kernelINS0_14default_configENS1_27lower_bound_config_selectorIdiEEZNS1_14transform_implILb0ES3_S5_N6thrust23THRUST_200600_302600_NS6detail15normal_iteratorINS8_10device_ptrIdEEEENSA_INSB_IiEEEEZNS1_13binary_searchIS3_S5_SD_SD_SF_NS1_21lower_bound_search_opENS9_16wrapped_functionINS0_4lessIvEEbEEEE10hipError_tPvRmT1_T2_T3_mmT4_T5_P12ihipStream_tbEUlRKdE_EESM_SQ_SR_mSS_SV_bEUlT_E_NS1_11comp_targetILNS1_3genE2ELNS1_11target_archE906ELNS1_3gpuE6ELNS1_3repE0EEENS1_30default_config_static_selectorELNS0_4arch9wavefront6targetE0EEEvSP_,@function
_ZN7rocprim17ROCPRIM_400000_NS6detail17trampoline_kernelINS0_14default_configENS1_27lower_bound_config_selectorIdiEEZNS1_14transform_implILb0ES3_S5_N6thrust23THRUST_200600_302600_NS6detail15normal_iteratorINS8_10device_ptrIdEEEENSA_INSB_IiEEEEZNS1_13binary_searchIS3_S5_SD_SD_SF_NS1_21lower_bound_search_opENS9_16wrapped_functionINS0_4lessIvEEbEEEE10hipError_tPvRmT1_T2_T3_mmT4_T5_P12ihipStream_tbEUlRKdE_EESM_SQ_SR_mSS_SV_bEUlT_E_NS1_11comp_targetILNS1_3genE2ELNS1_11target_archE906ELNS1_3gpuE6ELNS1_3repE0EEENS1_30default_config_static_selectorELNS0_4arch9wavefront6targetE0EEEvSP_: ; @_ZN7rocprim17ROCPRIM_400000_NS6detail17trampoline_kernelINS0_14default_configENS1_27lower_bound_config_selectorIdiEEZNS1_14transform_implILb0ES3_S5_N6thrust23THRUST_200600_302600_NS6detail15normal_iteratorINS8_10device_ptrIdEEEENSA_INSB_IiEEEEZNS1_13binary_searchIS3_S5_SD_SD_SF_NS1_21lower_bound_search_opENS9_16wrapped_functionINS0_4lessIvEEbEEEE10hipError_tPvRmT1_T2_T3_mmT4_T5_P12ihipStream_tbEUlRKdE_EESM_SQ_SR_mSS_SV_bEUlT_E_NS1_11comp_targetILNS1_3genE2ELNS1_11target_archE906ELNS1_3gpuE6ELNS1_3repE0EEENS1_30default_config_static_selectorELNS0_4arch9wavefront6targetE0EEEvSP_
; %bb.0:
	.section	.rodata,"a",@progbits
	.p2align	6, 0x0
	.amdhsa_kernel _ZN7rocprim17ROCPRIM_400000_NS6detail17trampoline_kernelINS0_14default_configENS1_27lower_bound_config_selectorIdiEEZNS1_14transform_implILb0ES3_S5_N6thrust23THRUST_200600_302600_NS6detail15normal_iteratorINS8_10device_ptrIdEEEENSA_INSB_IiEEEEZNS1_13binary_searchIS3_S5_SD_SD_SF_NS1_21lower_bound_search_opENS9_16wrapped_functionINS0_4lessIvEEbEEEE10hipError_tPvRmT1_T2_T3_mmT4_T5_P12ihipStream_tbEUlRKdE_EESM_SQ_SR_mSS_SV_bEUlT_E_NS1_11comp_targetILNS1_3genE2ELNS1_11target_archE906ELNS1_3gpuE6ELNS1_3repE0EEENS1_30default_config_static_selectorELNS0_4arch9wavefront6targetE0EEEvSP_
		.amdhsa_group_segment_fixed_size 0
		.amdhsa_private_segment_fixed_size 0
		.amdhsa_kernarg_size 56
		.amdhsa_user_sgpr_count 15
		.amdhsa_user_sgpr_dispatch_ptr 0
		.amdhsa_user_sgpr_queue_ptr 0
		.amdhsa_user_sgpr_kernarg_segment_ptr 1
		.amdhsa_user_sgpr_dispatch_id 0
		.amdhsa_user_sgpr_private_segment_size 0
		.amdhsa_wavefront_size32 1
		.amdhsa_uses_dynamic_stack 0
		.amdhsa_enable_private_segment 0
		.amdhsa_system_sgpr_workgroup_id_x 1
		.amdhsa_system_sgpr_workgroup_id_y 0
		.amdhsa_system_sgpr_workgroup_id_z 0
		.amdhsa_system_sgpr_workgroup_info 0
		.amdhsa_system_vgpr_workitem_id 0
		.amdhsa_next_free_vgpr 1
		.amdhsa_next_free_sgpr 1
		.amdhsa_reserve_vcc 0
		.amdhsa_float_round_mode_32 0
		.amdhsa_float_round_mode_16_64 0
		.amdhsa_float_denorm_mode_32 3
		.amdhsa_float_denorm_mode_16_64 3
		.amdhsa_dx10_clamp 1
		.amdhsa_ieee_mode 1
		.amdhsa_fp16_overflow 0
		.amdhsa_workgroup_processor_mode 1
		.amdhsa_memory_ordered 1
		.amdhsa_forward_progress 0
		.amdhsa_shared_vgpr_count 0
		.amdhsa_exception_fp_ieee_invalid_op 0
		.amdhsa_exception_fp_denorm_src 0
		.amdhsa_exception_fp_ieee_div_zero 0
		.amdhsa_exception_fp_ieee_overflow 0
		.amdhsa_exception_fp_ieee_underflow 0
		.amdhsa_exception_fp_ieee_inexact 0
		.amdhsa_exception_int_div_zero 0
	.end_amdhsa_kernel
	.section	.text._ZN7rocprim17ROCPRIM_400000_NS6detail17trampoline_kernelINS0_14default_configENS1_27lower_bound_config_selectorIdiEEZNS1_14transform_implILb0ES3_S5_N6thrust23THRUST_200600_302600_NS6detail15normal_iteratorINS8_10device_ptrIdEEEENSA_INSB_IiEEEEZNS1_13binary_searchIS3_S5_SD_SD_SF_NS1_21lower_bound_search_opENS9_16wrapped_functionINS0_4lessIvEEbEEEE10hipError_tPvRmT1_T2_T3_mmT4_T5_P12ihipStream_tbEUlRKdE_EESM_SQ_SR_mSS_SV_bEUlT_E_NS1_11comp_targetILNS1_3genE2ELNS1_11target_archE906ELNS1_3gpuE6ELNS1_3repE0EEENS1_30default_config_static_selectorELNS0_4arch9wavefront6targetE0EEEvSP_,"axG",@progbits,_ZN7rocprim17ROCPRIM_400000_NS6detail17trampoline_kernelINS0_14default_configENS1_27lower_bound_config_selectorIdiEEZNS1_14transform_implILb0ES3_S5_N6thrust23THRUST_200600_302600_NS6detail15normal_iteratorINS8_10device_ptrIdEEEENSA_INSB_IiEEEEZNS1_13binary_searchIS3_S5_SD_SD_SF_NS1_21lower_bound_search_opENS9_16wrapped_functionINS0_4lessIvEEbEEEE10hipError_tPvRmT1_T2_T3_mmT4_T5_P12ihipStream_tbEUlRKdE_EESM_SQ_SR_mSS_SV_bEUlT_E_NS1_11comp_targetILNS1_3genE2ELNS1_11target_archE906ELNS1_3gpuE6ELNS1_3repE0EEENS1_30default_config_static_selectorELNS0_4arch9wavefront6targetE0EEEvSP_,comdat
.Lfunc_end255:
	.size	_ZN7rocprim17ROCPRIM_400000_NS6detail17trampoline_kernelINS0_14default_configENS1_27lower_bound_config_selectorIdiEEZNS1_14transform_implILb0ES3_S5_N6thrust23THRUST_200600_302600_NS6detail15normal_iteratorINS8_10device_ptrIdEEEENSA_INSB_IiEEEEZNS1_13binary_searchIS3_S5_SD_SD_SF_NS1_21lower_bound_search_opENS9_16wrapped_functionINS0_4lessIvEEbEEEE10hipError_tPvRmT1_T2_T3_mmT4_T5_P12ihipStream_tbEUlRKdE_EESM_SQ_SR_mSS_SV_bEUlT_E_NS1_11comp_targetILNS1_3genE2ELNS1_11target_archE906ELNS1_3gpuE6ELNS1_3repE0EEENS1_30default_config_static_selectorELNS0_4arch9wavefront6targetE0EEEvSP_, .Lfunc_end255-_ZN7rocprim17ROCPRIM_400000_NS6detail17trampoline_kernelINS0_14default_configENS1_27lower_bound_config_selectorIdiEEZNS1_14transform_implILb0ES3_S5_N6thrust23THRUST_200600_302600_NS6detail15normal_iteratorINS8_10device_ptrIdEEEENSA_INSB_IiEEEEZNS1_13binary_searchIS3_S5_SD_SD_SF_NS1_21lower_bound_search_opENS9_16wrapped_functionINS0_4lessIvEEbEEEE10hipError_tPvRmT1_T2_T3_mmT4_T5_P12ihipStream_tbEUlRKdE_EESM_SQ_SR_mSS_SV_bEUlT_E_NS1_11comp_targetILNS1_3genE2ELNS1_11target_archE906ELNS1_3gpuE6ELNS1_3repE0EEENS1_30default_config_static_selectorELNS0_4arch9wavefront6targetE0EEEvSP_
                                        ; -- End function
	.section	.AMDGPU.csdata,"",@progbits
; Kernel info:
; codeLenInByte = 0
; NumSgprs: 0
; NumVgprs: 0
; ScratchSize: 0
; MemoryBound: 0
; FloatMode: 240
; IeeeMode: 1
; LDSByteSize: 0 bytes/workgroup (compile time only)
; SGPRBlocks: 0
; VGPRBlocks: 0
; NumSGPRsForWavesPerEU: 1
; NumVGPRsForWavesPerEU: 1
; Occupancy: 16
; WaveLimiterHint : 0
; COMPUTE_PGM_RSRC2:SCRATCH_EN: 0
; COMPUTE_PGM_RSRC2:USER_SGPR: 15
; COMPUTE_PGM_RSRC2:TRAP_HANDLER: 0
; COMPUTE_PGM_RSRC2:TGID_X_EN: 1
; COMPUTE_PGM_RSRC2:TGID_Y_EN: 0
; COMPUTE_PGM_RSRC2:TGID_Z_EN: 0
; COMPUTE_PGM_RSRC2:TIDIG_COMP_CNT: 0
	.section	.text._ZN7rocprim17ROCPRIM_400000_NS6detail17trampoline_kernelINS0_14default_configENS1_27lower_bound_config_selectorIdiEEZNS1_14transform_implILb0ES3_S5_N6thrust23THRUST_200600_302600_NS6detail15normal_iteratorINS8_10device_ptrIdEEEENSA_INSB_IiEEEEZNS1_13binary_searchIS3_S5_SD_SD_SF_NS1_21lower_bound_search_opENS9_16wrapped_functionINS0_4lessIvEEbEEEE10hipError_tPvRmT1_T2_T3_mmT4_T5_P12ihipStream_tbEUlRKdE_EESM_SQ_SR_mSS_SV_bEUlT_E_NS1_11comp_targetILNS1_3genE10ELNS1_11target_archE1201ELNS1_3gpuE5ELNS1_3repE0EEENS1_30default_config_static_selectorELNS0_4arch9wavefront6targetE0EEEvSP_,"axG",@progbits,_ZN7rocprim17ROCPRIM_400000_NS6detail17trampoline_kernelINS0_14default_configENS1_27lower_bound_config_selectorIdiEEZNS1_14transform_implILb0ES3_S5_N6thrust23THRUST_200600_302600_NS6detail15normal_iteratorINS8_10device_ptrIdEEEENSA_INSB_IiEEEEZNS1_13binary_searchIS3_S5_SD_SD_SF_NS1_21lower_bound_search_opENS9_16wrapped_functionINS0_4lessIvEEbEEEE10hipError_tPvRmT1_T2_T3_mmT4_T5_P12ihipStream_tbEUlRKdE_EESM_SQ_SR_mSS_SV_bEUlT_E_NS1_11comp_targetILNS1_3genE10ELNS1_11target_archE1201ELNS1_3gpuE5ELNS1_3repE0EEENS1_30default_config_static_selectorELNS0_4arch9wavefront6targetE0EEEvSP_,comdat
	.protected	_ZN7rocprim17ROCPRIM_400000_NS6detail17trampoline_kernelINS0_14default_configENS1_27lower_bound_config_selectorIdiEEZNS1_14transform_implILb0ES3_S5_N6thrust23THRUST_200600_302600_NS6detail15normal_iteratorINS8_10device_ptrIdEEEENSA_INSB_IiEEEEZNS1_13binary_searchIS3_S5_SD_SD_SF_NS1_21lower_bound_search_opENS9_16wrapped_functionINS0_4lessIvEEbEEEE10hipError_tPvRmT1_T2_T3_mmT4_T5_P12ihipStream_tbEUlRKdE_EESM_SQ_SR_mSS_SV_bEUlT_E_NS1_11comp_targetILNS1_3genE10ELNS1_11target_archE1201ELNS1_3gpuE5ELNS1_3repE0EEENS1_30default_config_static_selectorELNS0_4arch9wavefront6targetE0EEEvSP_ ; -- Begin function _ZN7rocprim17ROCPRIM_400000_NS6detail17trampoline_kernelINS0_14default_configENS1_27lower_bound_config_selectorIdiEEZNS1_14transform_implILb0ES3_S5_N6thrust23THRUST_200600_302600_NS6detail15normal_iteratorINS8_10device_ptrIdEEEENSA_INSB_IiEEEEZNS1_13binary_searchIS3_S5_SD_SD_SF_NS1_21lower_bound_search_opENS9_16wrapped_functionINS0_4lessIvEEbEEEE10hipError_tPvRmT1_T2_T3_mmT4_T5_P12ihipStream_tbEUlRKdE_EESM_SQ_SR_mSS_SV_bEUlT_E_NS1_11comp_targetILNS1_3genE10ELNS1_11target_archE1201ELNS1_3gpuE5ELNS1_3repE0EEENS1_30default_config_static_selectorELNS0_4arch9wavefront6targetE0EEEvSP_
	.globl	_ZN7rocprim17ROCPRIM_400000_NS6detail17trampoline_kernelINS0_14default_configENS1_27lower_bound_config_selectorIdiEEZNS1_14transform_implILb0ES3_S5_N6thrust23THRUST_200600_302600_NS6detail15normal_iteratorINS8_10device_ptrIdEEEENSA_INSB_IiEEEEZNS1_13binary_searchIS3_S5_SD_SD_SF_NS1_21lower_bound_search_opENS9_16wrapped_functionINS0_4lessIvEEbEEEE10hipError_tPvRmT1_T2_T3_mmT4_T5_P12ihipStream_tbEUlRKdE_EESM_SQ_SR_mSS_SV_bEUlT_E_NS1_11comp_targetILNS1_3genE10ELNS1_11target_archE1201ELNS1_3gpuE5ELNS1_3repE0EEENS1_30default_config_static_selectorELNS0_4arch9wavefront6targetE0EEEvSP_
	.p2align	8
	.type	_ZN7rocprim17ROCPRIM_400000_NS6detail17trampoline_kernelINS0_14default_configENS1_27lower_bound_config_selectorIdiEEZNS1_14transform_implILb0ES3_S5_N6thrust23THRUST_200600_302600_NS6detail15normal_iteratorINS8_10device_ptrIdEEEENSA_INSB_IiEEEEZNS1_13binary_searchIS3_S5_SD_SD_SF_NS1_21lower_bound_search_opENS9_16wrapped_functionINS0_4lessIvEEbEEEE10hipError_tPvRmT1_T2_T3_mmT4_T5_P12ihipStream_tbEUlRKdE_EESM_SQ_SR_mSS_SV_bEUlT_E_NS1_11comp_targetILNS1_3genE10ELNS1_11target_archE1201ELNS1_3gpuE5ELNS1_3repE0EEENS1_30default_config_static_selectorELNS0_4arch9wavefront6targetE0EEEvSP_,@function
_ZN7rocprim17ROCPRIM_400000_NS6detail17trampoline_kernelINS0_14default_configENS1_27lower_bound_config_selectorIdiEEZNS1_14transform_implILb0ES3_S5_N6thrust23THRUST_200600_302600_NS6detail15normal_iteratorINS8_10device_ptrIdEEEENSA_INSB_IiEEEEZNS1_13binary_searchIS3_S5_SD_SD_SF_NS1_21lower_bound_search_opENS9_16wrapped_functionINS0_4lessIvEEbEEEE10hipError_tPvRmT1_T2_T3_mmT4_T5_P12ihipStream_tbEUlRKdE_EESM_SQ_SR_mSS_SV_bEUlT_E_NS1_11comp_targetILNS1_3genE10ELNS1_11target_archE1201ELNS1_3gpuE5ELNS1_3repE0EEENS1_30default_config_static_selectorELNS0_4arch9wavefront6targetE0EEEvSP_: ; @_ZN7rocprim17ROCPRIM_400000_NS6detail17trampoline_kernelINS0_14default_configENS1_27lower_bound_config_selectorIdiEEZNS1_14transform_implILb0ES3_S5_N6thrust23THRUST_200600_302600_NS6detail15normal_iteratorINS8_10device_ptrIdEEEENSA_INSB_IiEEEEZNS1_13binary_searchIS3_S5_SD_SD_SF_NS1_21lower_bound_search_opENS9_16wrapped_functionINS0_4lessIvEEbEEEE10hipError_tPvRmT1_T2_T3_mmT4_T5_P12ihipStream_tbEUlRKdE_EESM_SQ_SR_mSS_SV_bEUlT_E_NS1_11comp_targetILNS1_3genE10ELNS1_11target_archE1201ELNS1_3gpuE5ELNS1_3repE0EEENS1_30default_config_static_selectorELNS0_4arch9wavefront6targetE0EEEvSP_
; %bb.0:
	.section	.rodata,"a",@progbits
	.p2align	6, 0x0
	.amdhsa_kernel _ZN7rocprim17ROCPRIM_400000_NS6detail17trampoline_kernelINS0_14default_configENS1_27lower_bound_config_selectorIdiEEZNS1_14transform_implILb0ES3_S5_N6thrust23THRUST_200600_302600_NS6detail15normal_iteratorINS8_10device_ptrIdEEEENSA_INSB_IiEEEEZNS1_13binary_searchIS3_S5_SD_SD_SF_NS1_21lower_bound_search_opENS9_16wrapped_functionINS0_4lessIvEEbEEEE10hipError_tPvRmT1_T2_T3_mmT4_T5_P12ihipStream_tbEUlRKdE_EESM_SQ_SR_mSS_SV_bEUlT_E_NS1_11comp_targetILNS1_3genE10ELNS1_11target_archE1201ELNS1_3gpuE5ELNS1_3repE0EEENS1_30default_config_static_selectorELNS0_4arch9wavefront6targetE0EEEvSP_
		.amdhsa_group_segment_fixed_size 0
		.amdhsa_private_segment_fixed_size 0
		.amdhsa_kernarg_size 56
		.amdhsa_user_sgpr_count 15
		.amdhsa_user_sgpr_dispatch_ptr 0
		.amdhsa_user_sgpr_queue_ptr 0
		.amdhsa_user_sgpr_kernarg_segment_ptr 1
		.amdhsa_user_sgpr_dispatch_id 0
		.amdhsa_user_sgpr_private_segment_size 0
		.amdhsa_wavefront_size32 1
		.amdhsa_uses_dynamic_stack 0
		.amdhsa_enable_private_segment 0
		.amdhsa_system_sgpr_workgroup_id_x 1
		.amdhsa_system_sgpr_workgroup_id_y 0
		.amdhsa_system_sgpr_workgroup_id_z 0
		.amdhsa_system_sgpr_workgroup_info 0
		.amdhsa_system_vgpr_workitem_id 0
		.amdhsa_next_free_vgpr 1
		.amdhsa_next_free_sgpr 1
		.amdhsa_reserve_vcc 0
		.amdhsa_float_round_mode_32 0
		.amdhsa_float_round_mode_16_64 0
		.amdhsa_float_denorm_mode_32 3
		.amdhsa_float_denorm_mode_16_64 3
		.amdhsa_dx10_clamp 1
		.amdhsa_ieee_mode 1
		.amdhsa_fp16_overflow 0
		.amdhsa_workgroup_processor_mode 1
		.amdhsa_memory_ordered 1
		.amdhsa_forward_progress 0
		.amdhsa_shared_vgpr_count 0
		.amdhsa_exception_fp_ieee_invalid_op 0
		.amdhsa_exception_fp_denorm_src 0
		.amdhsa_exception_fp_ieee_div_zero 0
		.amdhsa_exception_fp_ieee_overflow 0
		.amdhsa_exception_fp_ieee_underflow 0
		.amdhsa_exception_fp_ieee_inexact 0
		.amdhsa_exception_int_div_zero 0
	.end_amdhsa_kernel
	.section	.text._ZN7rocprim17ROCPRIM_400000_NS6detail17trampoline_kernelINS0_14default_configENS1_27lower_bound_config_selectorIdiEEZNS1_14transform_implILb0ES3_S5_N6thrust23THRUST_200600_302600_NS6detail15normal_iteratorINS8_10device_ptrIdEEEENSA_INSB_IiEEEEZNS1_13binary_searchIS3_S5_SD_SD_SF_NS1_21lower_bound_search_opENS9_16wrapped_functionINS0_4lessIvEEbEEEE10hipError_tPvRmT1_T2_T3_mmT4_T5_P12ihipStream_tbEUlRKdE_EESM_SQ_SR_mSS_SV_bEUlT_E_NS1_11comp_targetILNS1_3genE10ELNS1_11target_archE1201ELNS1_3gpuE5ELNS1_3repE0EEENS1_30default_config_static_selectorELNS0_4arch9wavefront6targetE0EEEvSP_,"axG",@progbits,_ZN7rocprim17ROCPRIM_400000_NS6detail17trampoline_kernelINS0_14default_configENS1_27lower_bound_config_selectorIdiEEZNS1_14transform_implILb0ES3_S5_N6thrust23THRUST_200600_302600_NS6detail15normal_iteratorINS8_10device_ptrIdEEEENSA_INSB_IiEEEEZNS1_13binary_searchIS3_S5_SD_SD_SF_NS1_21lower_bound_search_opENS9_16wrapped_functionINS0_4lessIvEEbEEEE10hipError_tPvRmT1_T2_T3_mmT4_T5_P12ihipStream_tbEUlRKdE_EESM_SQ_SR_mSS_SV_bEUlT_E_NS1_11comp_targetILNS1_3genE10ELNS1_11target_archE1201ELNS1_3gpuE5ELNS1_3repE0EEENS1_30default_config_static_selectorELNS0_4arch9wavefront6targetE0EEEvSP_,comdat
.Lfunc_end256:
	.size	_ZN7rocprim17ROCPRIM_400000_NS6detail17trampoline_kernelINS0_14default_configENS1_27lower_bound_config_selectorIdiEEZNS1_14transform_implILb0ES3_S5_N6thrust23THRUST_200600_302600_NS6detail15normal_iteratorINS8_10device_ptrIdEEEENSA_INSB_IiEEEEZNS1_13binary_searchIS3_S5_SD_SD_SF_NS1_21lower_bound_search_opENS9_16wrapped_functionINS0_4lessIvEEbEEEE10hipError_tPvRmT1_T2_T3_mmT4_T5_P12ihipStream_tbEUlRKdE_EESM_SQ_SR_mSS_SV_bEUlT_E_NS1_11comp_targetILNS1_3genE10ELNS1_11target_archE1201ELNS1_3gpuE5ELNS1_3repE0EEENS1_30default_config_static_selectorELNS0_4arch9wavefront6targetE0EEEvSP_, .Lfunc_end256-_ZN7rocprim17ROCPRIM_400000_NS6detail17trampoline_kernelINS0_14default_configENS1_27lower_bound_config_selectorIdiEEZNS1_14transform_implILb0ES3_S5_N6thrust23THRUST_200600_302600_NS6detail15normal_iteratorINS8_10device_ptrIdEEEENSA_INSB_IiEEEEZNS1_13binary_searchIS3_S5_SD_SD_SF_NS1_21lower_bound_search_opENS9_16wrapped_functionINS0_4lessIvEEbEEEE10hipError_tPvRmT1_T2_T3_mmT4_T5_P12ihipStream_tbEUlRKdE_EESM_SQ_SR_mSS_SV_bEUlT_E_NS1_11comp_targetILNS1_3genE10ELNS1_11target_archE1201ELNS1_3gpuE5ELNS1_3repE0EEENS1_30default_config_static_selectorELNS0_4arch9wavefront6targetE0EEEvSP_
                                        ; -- End function
	.section	.AMDGPU.csdata,"",@progbits
; Kernel info:
; codeLenInByte = 0
; NumSgprs: 0
; NumVgprs: 0
; ScratchSize: 0
; MemoryBound: 0
; FloatMode: 240
; IeeeMode: 1
; LDSByteSize: 0 bytes/workgroup (compile time only)
; SGPRBlocks: 0
; VGPRBlocks: 0
; NumSGPRsForWavesPerEU: 1
; NumVGPRsForWavesPerEU: 1
; Occupancy: 16
; WaveLimiterHint : 0
; COMPUTE_PGM_RSRC2:SCRATCH_EN: 0
; COMPUTE_PGM_RSRC2:USER_SGPR: 15
; COMPUTE_PGM_RSRC2:TRAP_HANDLER: 0
; COMPUTE_PGM_RSRC2:TGID_X_EN: 1
; COMPUTE_PGM_RSRC2:TGID_Y_EN: 0
; COMPUTE_PGM_RSRC2:TGID_Z_EN: 0
; COMPUTE_PGM_RSRC2:TIDIG_COMP_CNT: 0
	.section	.text._ZN7rocprim17ROCPRIM_400000_NS6detail17trampoline_kernelINS0_14default_configENS1_27lower_bound_config_selectorIdiEEZNS1_14transform_implILb0ES3_S5_N6thrust23THRUST_200600_302600_NS6detail15normal_iteratorINS8_10device_ptrIdEEEENSA_INSB_IiEEEEZNS1_13binary_searchIS3_S5_SD_SD_SF_NS1_21lower_bound_search_opENS9_16wrapped_functionINS0_4lessIvEEbEEEE10hipError_tPvRmT1_T2_T3_mmT4_T5_P12ihipStream_tbEUlRKdE_EESM_SQ_SR_mSS_SV_bEUlT_E_NS1_11comp_targetILNS1_3genE10ELNS1_11target_archE1200ELNS1_3gpuE4ELNS1_3repE0EEENS1_30default_config_static_selectorELNS0_4arch9wavefront6targetE0EEEvSP_,"axG",@progbits,_ZN7rocprim17ROCPRIM_400000_NS6detail17trampoline_kernelINS0_14default_configENS1_27lower_bound_config_selectorIdiEEZNS1_14transform_implILb0ES3_S5_N6thrust23THRUST_200600_302600_NS6detail15normal_iteratorINS8_10device_ptrIdEEEENSA_INSB_IiEEEEZNS1_13binary_searchIS3_S5_SD_SD_SF_NS1_21lower_bound_search_opENS9_16wrapped_functionINS0_4lessIvEEbEEEE10hipError_tPvRmT1_T2_T3_mmT4_T5_P12ihipStream_tbEUlRKdE_EESM_SQ_SR_mSS_SV_bEUlT_E_NS1_11comp_targetILNS1_3genE10ELNS1_11target_archE1200ELNS1_3gpuE4ELNS1_3repE0EEENS1_30default_config_static_selectorELNS0_4arch9wavefront6targetE0EEEvSP_,comdat
	.protected	_ZN7rocprim17ROCPRIM_400000_NS6detail17trampoline_kernelINS0_14default_configENS1_27lower_bound_config_selectorIdiEEZNS1_14transform_implILb0ES3_S5_N6thrust23THRUST_200600_302600_NS6detail15normal_iteratorINS8_10device_ptrIdEEEENSA_INSB_IiEEEEZNS1_13binary_searchIS3_S5_SD_SD_SF_NS1_21lower_bound_search_opENS9_16wrapped_functionINS0_4lessIvEEbEEEE10hipError_tPvRmT1_T2_T3_mmT4_T5_P12ihipStream_tbEUlRKdE_EESM_SQ_SR_mSS_SV_bEUlT_E_NS1_11comp_targetILNS1_3genE10ELNS1_11target_archE1200ELNS1_3gpuE4ELNS1_3repE0EEENS1_30default_config_static_selectorELNS0_4arch9wavefront6targetE0EEEvSP_ ; -- Begin function _ZN7rocprim17ROCPRIM_400000_NS6detail17trampoline_kernelINS0_14default_configENS1_27lower_bound_config_selectorIdiEEZNS1_14transform_implILb0ES3_S5_N6thrust23THRUST_200600_302600_NS6detail15normal_iteratorINS8_10device_ptrIdEEEENSA_INSB_IiEEEEZNS1_13binary_searchIS3_S5_SD_SD_SF_NS1_21lower_bound_search_opENS9_16wrapped_functionINS0_4lessIvEEbEEEE10hipError_tPvRmT1_T2_T3_mmT4_T5_P12ihipStream_tbEUlRKdE_EESM_SQ_SR_mSS_SV_bEUlT_E_NS1_11comp_targetILNS1_3genE10ELNS1_11target_archE1200ELNS1_3gpuE4ELNS1_3repE0EEENS1_30default_config_static_selectorELNS0_4arch9wavefront6targetE0EEEvSP_
	.globl	_ZN7rocprim17ROCPRIM_400000_NS6detail17trampoline_kernelINS0_14default_configENS1_27lower_bound_config_selectorIdiEEZNS1_14transform_implILb0ES3_S5_N6thrust23THRUST_200600_302600_NS6detail15normal_iteratorINS8_10device_ptrIdEEEENSA_INSB_IiEEEEZNS1_13binary_searchIS3_S5_SD_SD_SF_NS1_21lower_bound_search_opENS9_16wrapped_functionINS0_4lessIvEEbEEEE10hipError_tPvRmT1_T2_T3_mmT4_T5_P12ihipStream_tbEUlRKdE_EESM_SQ_SR_mSS_SV_bEUlT_E_NS1_11comp_targetILNS1_3genE10ELNS1_11target_archE1200ELNS1_3gpuE4ELNS1_3repE0EEENS1_30default_config_static_selectorELNS0_4arch9wavefront6targetE0EEEvSP_
	.p2align	8
	.type	_ZN7rocprim17ROCPRIM_400000_NS6detail17trampoline_kernelINS0_14default_configENS1_27lower_bound_config_selectorIdiEEZNS1_14transform_implILb0ES3_S5_N6thrust23THRUST_200600_302600_NS6detail15normal_iteratorINS8_10device_ptrIdEEEENSA_INSB_IiEEEEZNS1_13binary_searchIS3_S5_SD_SD_SF_NS1_21lower_bound_search_opENS9_16wrapped_functionINS0_4lessIvEEbEEEE10hipError_tPvRmT1_T2_T3_mmT4_T5_P12ihipStream_tbEUlRKdE_EESM_SQ_SR_mSS_SV_bEUlT_E_NS1_11comp_targetILNS1_3genE10ELNS1_11target_archE1200ELNS1_3gpuE4ELNS1_3repE0EEENS1_30default_config_static_selectorELNS0_4arch9wavefront6targetE0EEEvSP_,@function
_ZN7rocprim17ROCPRIM_400000_NS6detail17trampoline_kernelINS0_14default_configENS1_27lower_bound_config_selectorIdiEEZNS1_14transform_implILb0ES3_S5_N6thrust23THRUST_200600_302600_NS6detail15normal_iteratorINS8_10device_ptrIdEEEENSA_INSB_IiEEEEZNS1_13binary_searchIS3_S5_SD_SD_SF_NS1_21lower_bound_search_opENS9_16wrapped_functionINS0_4lessIvEEbEEEE10hipError_tPvRmT1_T2_T3_mmT4_T5_P12ihipStream_tbEUlRKdE_EESM_SQ_SR_mSS_SV_bEUlT_E_NS1_11comp_targetILNS1_3genE10ELNS1_11target_archE1200ELNS1_3gpuE4ELNS1_3repE0EEENS1_30default_config_static_selectorELNS0_4arch9wavefront6targetE0EEEvSP_: ; @_ZN7rocprim17ROCPRIM_400000_NS6detail17trampoline_kernelINS0_14default_configENS1_27lower_bound_config_selectorIdiEEZNS1_14transform_implILb0ES3_S5_N6thrust23THRUST_200600_302600_NS6detail15normal_iteratorINS8_10device_ptrIdEEEENSA_INSB_IiEEEEZNS1_13binary_searchIS3_S5_SD_SD_SF_NS1_21lower_bound_search_opENS9_16wrapped_functionINS0_4lessIvEEbEEEE10hipError_tPvRmT1_T2_T3_mmT4_T5_P12ihipStream_tbEUlRKdE_EESM_SQ_SR_mSS_SV_bEUlT_E_NS1_11comp_targetILNS1_3genE10ELNS1_11target_archE1200ELNS1_3gpuE4ELNS1_3repE0EEENS1_30default_config_static_selectorELNS0_4arch9wavefront6targetE0EEEvSP_
; %bb.0:
	.section	.rodata,"a",@progbits
	.p2align	6, 0x0
	.amdhsa_kernel _ZN7rocprim17ROCPRIM_400000_NS6detail17trampoline_kernelINS0_14default_configENS1_27lower_bound_config_selectorIdiEEZNS1_14transform_implILb0ES3_S5_N6thrust23THRUST_200600_302600_NS6detail15normal_iteratorINS8_10device_ptrIdEEEENSA_INSB_IiEEEEZNS1_13binary_searchIS3_S5_SD_SD_SF_NS1_21lower_bound_search_opENS9_16wrapped_functionINS0_4lessIvEEbEEEE10hipError_tPvRmT1_T2_T3_mmT4_T5_P12ihipStream_tbEUlRKdE_EESM_SQ_SR_mSS_SV_bEUlT_E_NS1_11comp_targetILNS1_3genE10ELNS1_11target_archE1200ELNS1_3gpuE4ELNS1_3repE0EEENS1_30default_config_static_selectorELNS0_4arch9wavefront6targetE0EEEvSP_
		.amdhsa_group_segment_fixed_size 0
		.amdhsa_private_segment_fixed_size 0
		.amdhsa_kernarg_size 56
		.amdhsa_user_sgpr_count 15
		.amdhsa_user_sgpr_dispatch_ptr 0
		.amdhsa_user_sgpr_queue_ptr 0
		.amdhsa_user_sgpr_kernarg_segment_ptr 1
		.amdhsa_user_sgpr_dispatch_id 0
		.amdhsa_user_sgpr_private_segment_size 0
		.amdhsa_wavefront_size32 1
		.amdhsa_uses_dynamic_stack 0
		.amdhsa_enable_private_segment 0
		.amdhsa_system_sgpr_workgroup_id_x 1
		.amdhsa_system_sgpr_workgroup_id_y 0
		.amdhsa_system_sgpr_workgroup_id_z 0
		.amdhsa_system_sgpr_workgroup_info 0
		.amdhsa_system_vgpr_workitem_id 0
		.amdhsa_next_free_vgpr 1
		.amdhsa_next_free_sgpr 1
		.amdhsa_reserve_vcc 0
		.amdhsa_float_round_mode_32 0
		.amdhsa_float_round_mode_16_64 0
		.amdhsa_float_denorm_mode_32 3
		.amdhsa_float_denorm_mode_16_64 3
		.amdhsa_dx10_clamp 1
		.amdhsa_ieee_mode 1
		.amdhsa_fp16_overflow 0
		.amdhsa_workgroup_processor_mode 1
		.amdhsa_memory_ordered 1
		.amdhsa_forward_progress 0
		.amdhsa_shared_vgpr_count 0
		.amdhsa_exception_fp_ieee_invalid_op 0
		.amdhsa_exception_fp_denorm_src 0
		.amdhsa_exception_fp_ieee_div_zero 0
		.amdhsa_exception_fp_ieee_overflow 0
		.amdhsa_exception_fp_ieee_underflow 0
		.amdhsa_exception_fp_ieee_inexact 0
		.amdhsa_exception_int_div_zero 0
	.end_amdhsa_kernel
	.section	.text._ZN7rocprim17ROCPRIM_400000_NS6detail17trampoline_kernelINS0_14default_configENS1_27lower_bound_config_selectorIdiEEZNS1_14transform_implILb0ES3_S5_N6thrust23THRUST_200600_302600_NS6detail15normal_iteratorINS8_10device_ptrIdEEEENSA_INSB_IiEEEEZNS1_13binary_searchIS3_S5_SD_SD_SF_NS1_21lower_bound_search_opENS9_16wrapped_functionINS0_4lessIvEEbEEEE10hipError_tPvRmT1_T2_T3_mmT4_T5_P12ihipStream_tbEUlRKdE_EESM_SQ_SR_mSS_SV_bEUlT_E_NS1_11comp_targetILNS1_3genE10ELNS1_11target_archE1200ELNS1_3gpuE4ELNS1_3repE0EEENS1_30default_config_static_selectorELNS0_4arch9wavefront6targetE0EEEvSP_,"axG",@progbits,_ZN7rocprim17ROCPRIM_400000_NS6detail17trampoline_kernelINS0_14default_configENS1_27lower_bound_config_selectorIdiEEZNS1_14transform_implILb0ES3_S5_N6thrust23THRUST_200600_302600_NS6detail15normal_iteratorINS8_10device_ptrIdEEEENSA_INSB_IiEEEEZNS1_13binary_searchIS3_S5_SD_SD_SF_NS1_21lower_bound_search_opENS9_16wrapped_functionINS0_4lessIvEEbEEEE10hipError_tPvRmT1_T2_T3_mmT4_T5_P12ihipStream_tbEUlRKdE_EESM_SQ_SR_mSS_SV_bEUlT_E_NS1_11comp_targetILNS1_3genE10ELNS1_11target_archE1200ELNS1_3gpuE4ELNS1_3repE0EEENS1_30default_config_static_selectorELNS0_4arch9wavefront6targetE0EEEvSP_,comdat
.Lfunc_end257:
	.size	_ZN7rocprim17ROCPRIM_400000_NS6detail17trampoline_kernelINS0_14default_configENS1_27lower_bound_config_selectorIdiEEZNS1_14transform_implILb0ES3_S5_N6thrust23THRUST_200600_302600_NS6detail15normal_iteratorINS8_10device_ptrIdEEEENSA_INSB_IiEEEEZNS1_13binary_searchIS3_S5_SD_SD_SF_NS1_21lower_bound_search_opENS9_16wrapped_functionINS0_4lessIvEEbEEEE10hipError_tPvRmT1_T2_T3_mmT4_T5_P12ihipStream_tbEUlRKdE_EESM_SQ_SR_mSS_SV_bEUlT_E_NS1_11comp_targetILNS1_3genE10ELNS1_11target_archE1200ELNS1_3gpuE4ELNS1_3repE0EEENS1_30default_config_static_selectorELNS0_4arch9wavefront6targetE0EEEvSP_, .Lfunc_end257-_ZN7rocprim17ROCPRIM_400000_NS6detail17trampoline_kernelINS0_14default_configENS1_27lower_bound_config_selectorIdiEEZNS1_14transform_implILb0ES3_S5_N6thrust23THRUST_200600_302600_NS6detail15normal_iteratorINS8_10device_ptrIdEEEENSA_INSB_IiEEEEZNS1_13binary_searchIS3_S5_SD_SD_SF_NS1_21lower_bound_search_opENS9_16wrapped_functionINS0_4lessIvEEbEEEE10hipError_tPvRmT1_T2_T3_mmT4_T5_P12ihipStream_tbEUlRKdE_EESM_SQ_SR_mSS_SV_bEUlT_E_NS1_11comp_targetILNS1_3genE10ELNS1_11target_archE1200ELNS1_3gpuE4ELNS1_3repE0EEENS1_30default_config_static_selectorELNS0_4arch9wavefront6targetE0EEEvSP_
                                        ; -- End function
	.section	.AMDGPU.csdata,"",@progbits
; Kernel info:
; codeLenInByte = 0
; NumSgprs: 0
; NumVgprs: 0
; ScratchSize: 0
; MemoryBound: 0
; FloatMode: 240
; IeeeMode: 1
; LDSByteSize: 0 bytes/workgroup (compile time only)
; SGPRBlocks: 0
; VGPRBlocks: 0
; NumSGPRsForWavesPerEU: 1
; NumVGPRsForWavesPerEU: 1
; Occupancy: 16
; WaveLimiterHint : 0
; COMPUTE_PGM_RSRC2:SCRATCH_EN: 0
; COMPUTE_PGM_RSRC2:USER_SGPR: 15
; COMPUTE_PGM_RSRC2:TRAP_HANDLER: 0
; COMPUTE_PGM_RSRC2:TGID_X_EN: 1
; COMPUTE_PGM_RSRC2:TGID_Y_EN: 0
; COMPUTE_PGM_RSRC2:TGID_Z_EN: 0
; COMPUTE_PGM_RSRC2:TIDIG_COMP_CNT: 0
	.section	.text._ZN7rocprim17ROCPRIM_400000_NS6detail17trampoline_kernelINS0_14default_configENS1_27lower_bound_config_selectorIdiEEZNS1_14transform_implILb0ES3_S5_N6thrust23THRUST_200600_302600_NS6detail15normal_iteratorINS8_10device_ptrIdEEEENSA_INSB_IiEEEEZNS1_13binary_searchIS3_S5_SD_SD_SF_NS1_21lower_bound_search_opENS9_16wrapped_functionINS0_4lessIvEEbEEEE10hipError_tPvRmT1_T2_T3_mmT4_T5_P12ihipStream_tbEUlRKdE_EESM_SQ_SR_mSS_SV_bEUlT_E_NS1_11comp_targetILNS1_3genE9ELNS1_11target_archE1100ELNS1_3gpuE3ELNS1_3repE0EEENS1_30default_config_static_selectorELNS0_4arch9wavefront6targetE0EEEvSP_,"axG",@progbits,_ZN7rocprim17ROCPRIM_400000_NS6detail17trampoline_kernelINS0_14default_configENS1_27lower_bound_config_selectorIdiEEZNS1_14transform_implILb0ES3_S5_N6thrust23THRUST_200600_302600_NS6detail15normal_iteratorINS8_10device_ptrIdEEEENSA_INSB_IiEEEEZNS1_13binary_searchIS3_S5_SD_SD_SF_NS1_21lower_bound_search_opENS9_16wrapped_functionINS0_4lessIvEEbEEEE10hipError_tPvRmT1_T2_T3_mmT4_T5_P12ihipStream_tbEUlRKdE_EESM_SQ_SR_mSS_SV_bEUlT_E_NS1_11comp_targetILNS1_3genE9ELNS1_11target_archE1100ELNS1_3gpuE3ELNS1_3repE0EEENS1_30default_config_static_selectorELNS0_4arch9wavefront6targetE0EEEvSP_,comdat
	.protected	_ZN7rocprim17ROCPRIM_400000_NS6detail17trampoline_kernelINS0_14default_configENS1_27lower_bound_config_selectorIdiEEZNS1_14transform_implILb0ES3_S5_N6thrust23THRUST_200600_302600_NS6detail15normal_iteratorINS8_10device_ptrIdEEEENSA_INSB_IiEEEEZNS1_13binary_searchIS3_S5_SD_SD_SF_NS1_21lower_bound_search_opENS9_16wrapped_functionINS0_4lessIvEEbEEEE10hipError_tPvRmT1_T2_T3_mmT4_T5_P12ihipStream_tbEUlRKdE_EESM_SQ_SR_mSS_SV_bEUlT_E_NS1_11comp_targetILNS1_3genE9ELNS1_11target_archE1100ELNS1_3gpuE3ELNS1_3repE0EEENS1_30default_config_static_selectorELNS0_4arch9wavefront6targetE0EEEvSP_ ; -- Begin function _ZN7rocprim17ROCPRIM_400000_NS6detail17trampoline_kernelINS0_14default_configENS1_27lower_bound_config_selectorIdiEEZNS1_14transform_implILb0ES3_S5_N6thrust23THRUST_200600_302600_NS6detail15normal_iteratorINS8_10device_ptrIdEEEENSA_INSB_IiEEEEZNS1_13binary_searchIS3_S5_SD_SD_SF_NS1_21lower_bound_search_opENS9_16wrapped_functionINS0_4lessIvEEbEEEE10hipError_tPvRmT1_T2_T3_mmT4_T5_P12ihipStream_tbEUlRKdE_EESM_SQ_SR_mSS_SV_bEUlT_E_NS1_11comp_targetILNS1_3genE9ELNS1_11target_archE1100ELNS1_3gpuE3ELNS1_3repE0EEENS1_30default_config_static_selectorELNS0_4arch9wavefront6targetE0EEEvSP_
	.globl	_ZN7rocprim17ROCPRIM_400000_NS6detail17trampoline_kernelINS0_14default_configENS1_27lower_bound_config_selectorIdiEEZNS1_14transform_implILb0ES3_S5_N6thrust23THRUST_200600_302600_NS6detail15normal_iteratorINS8_10device_ptrIdEEEENSA_INSB_IiEEEEZNS1_13binary_searchIS3_S5_SD_SD_SF_NS1_21lower_bound_search_opENS9_16wrapped_functionINS0_4lessIvEEbEEEE10hipError_tPvRmT1_T2_T3_mmT4_T5_P12ihipStream_tbEUlRKdE_EESM_SQ_SR_mSS_SV_bEUlT_E_NS1_11comp_targetILNS1_3genE9ELNS1_11target_archE1100ELNS1_3gpuE3ELNS1_3repE0EEENS1_30default_config_static_selectorELNS0_4arch9wavefront6targetE0EEEvSP_
	.p2align	8
	.type	_ZN7rocprim17ROCPRIM_400000_NS6detail17trampoline_kernelINS0_14default_configENS1_27lower_bound_config_selectorIdiEEZNS1_14transform_implILb0ES3_S5_N6thrust23THRUST_200600_302600_NS6detail15normal_iteratorINS8_10device_ptrIdEEEENSA_INSB_IiEEEEZNS1_13binary_searchIS3_S5_SD_SD_SF_NS1_21lower_bound_search_opENS9_16wrapped_functionINS0_4lessIvEEbEEEE10hipError_tPvRmT1_T2_T3_mmT4_T5_P12ihipStream_tbEUlRKdE_EESM_SQ_SR_mSS_SV_bEUlT_E_NS1_11comp_targetILNS1_3genE9ELNS1_11target_archE1100ELNS1_3gpuE3ELNS1_3repE0EEENS1_30default_config_static_selectorELNS0_4arch9wavefront6targetE0EEEvSP_,@function
_ZN7rocprim17ROCPRIM_400000_NS6detail17trampoline_kernelINS0_14default_configENS1_27lower_bound_config_selectorIdiEEZNS1_14transform_implILb0ES3_S5_N6thrust23THRUST_200600_302600_NS6detail15normal_iteratorINS8_10device_ptrIdEEEENSA_INSB_IiEEEEZNS1_13binary_searchIS3_S5_SD_SD_SF_NS1_21lower_bound_search_opENS9_16wrapped_functionINS0_4lessIvEEbEEEE10hipError_tPvRmT1_T2_T3_mmT4_T5_P12ihipStream_tbEUlRKdE_EESM_SQ_SR_mSS_SV_bEUlT_E_NS1_11comp_targetILNS1_3genE9ELNS1_11target_archE1100ELNS1_3gpuE3ELNS1_3repE0EEENS1_30default_config_static_selectorELNS0_4arch9wavefront6targetE0EEEvSP_: ; @_ZN7rocprim17ROCPRIM_400000_NS6detail17trampoline_kernelINS0_14default_configENS1_27lower_bound_config_selectorIdiEEZNS1_14transform_implILb0ES3_S5_N6thrust23THRUST_200600_302600_NS6detail15normal_iteratorINS8_10device_ptrIdEEEENSA_INSB_IiEEEEZNS1_13binary_searchIS3_S5_SD_SD_SF_NS1_21lower_bound_search_opENS9_16wrapped_functionINS0_4lessIvEEbEEEE10hipError_tPvRmT1_T2_T3_mmT4_T5_P12ihipStream_tbEUlRKdE_EESM_SQ_SR_mSS_SV_bEUlT_E_NS1_11comp_targetILNS1_3genE9ELNS1_11target_archE1100ELNS1_3gpuE3ELNS1_3repE0EEENS1_30default_config_static_selectorELNS0_4arch9wavefront6targetE0EEEvSP_
; %bb.0:
	s_clause 0x2
	s_load_b256 s[4:11], s[0:1], 0x0
	s_load_b32 s2, s[0:1], 0x38
	s_load_b128 s[16:19], s[0:1], 0x20
	s_mov_b32 s21, 0
	s_waitcnt lgkmcnt(0)
	s_lshl_b64 s[0:1], s[6:7], 3
	s_delay_alu instid0(SALU_CYCLE_1) | instskip(SKIP_2) | instid1(SALU_CYCLE_1)
	s_add_u32 s3, s4, s0
	s_addc_u32 s4, s5, s1
	s_lshl_b64 s[0:1], s[6:7], 2
	s_add_u32 s22, s10, s0
	s_addc_u32 s23, s11, s1
	s_lshl_b32 s20, s15, 12
	s_add_i32 s2, s2, -1
	s_lshl_b64 s[0:1], s[20:21], 3
	s_delay_alu instid0(SALU_CYCLE_1)
	s_add_u32 s25, s3, s0
	s_addc_u32 s26, s4, s1
	s_cmp_lg_u32 s15, s2
	s_mov_b32 s0, -1
	s_cbranch_scc0 .LBB258_58
; %bb.1:
	v_lshlrev_b32_e32 v1, 3, v0
	s_cmp_lg_u64 s[18:19], 0
	s_mov_b32 s2, 0
	s_cselect_b32 s1, -1, 0
	s_cmp_eq_u64 s[18:19], 0
	v_add_co_u32 v5, s0, s25, v1
	s_delay_alu instid0(VALU_DEP_1) | instskip(NEXT) | instid1(VALU_DEP_2)
	v_add_co_ci_u32_e64 v6, null, s26, 0, s0
	v_add_co_u32 v1, vcc_lo, 0x1000, v5
	s_delay_alu instid0(VALU_DEP_2)
	v_add_co_ci_u32_e32 v2, vcc_lo, 0, v6, vcc_lo
	v_add_co_u32 v3, vcc_lo, 0x2000, v5
	v_add_co_ci_u32_e32 v4, vcc_lo, 0, v6, vcc_lo
	v_add_co_u32 v7, vcc_lo, 0x3000, v5
	;; [unrolled: 2-line block ×3, first 2 shown]
	v_add_co_ci_u32_e32 v12, vcc_lo, 0, v6, vcc_lo
	s_clause 0x7
	flat_load_b64 v[9:10], v[5:6] offset:2048
	flat_load_b64 v[13:14], v[1:2]
	flat_load_b64 v[17:18], v[1:2] offset:2048
	flat_load_b64 v[21:22], v[3:4]
	;; [unrolled: 2-line block ×4, first 2 shown]
	v_add_co_u32 v1, vcc_lo, 0x5000, v5
	v_add_co_ci_u32_e32 v2, vcc_lo, 0, v6, vcc_lo
	v_add_co_u32 v3, vcc_lo, 0x6000, v5
	v_add_co_ci_u32_e32 v4, vcc_lo, 0, v6, vcc_lo
	;; [unrolled: 2-line block ×3, first 2 shown]
	s_clause 0x6
	flat_load_b64 v[27:28], v[11:12] offset:2048
	flat_load_b64 v[23:24], v[1:2]
	flat_load_b64 v[19:20], v[1:2] offset:2048
	flat_load_b64 v[15:16], v[3:4]
	;; [unrolled: 2-line block ×3, first 2 shown]
	flat_load_b64 v[3:4], v[35:36] offset:2048
	v_mov_b32_e32 v1, 0
	v_mov_b32_e32 v2, 0
	s_cbranch_scc1 .LBB258_5
; %bb.2:
	flat_load_b64 v[5:6], v[5:6]
	v_dual_mov_b32 v1, 0 :: v_dual_mov_b32 v36, s19
	v_dual_mov_b32 v2, 0 :: v_dual_mov_b32 v35, s18
	s_set_inst_prefetch_distance 0x1
	.p2align	6
.LBB258_3:                              ; =>This Inner Loop Header: Depth=1
	s_delay_alu instid0(VALU_DEP_1) | instskip(NEXT) | instid1(VALU_DEP_2)
	v_sub_co_u32 v37, vcc_lo, v35, v1
	v_sub_co_ci_u32_e32 v38, vcc_lo, v36, v2, vcc_lo
	s_delay_alu instid0(VALU_DEP_1) | instskip(SKIP_1) | instid1(VALU_DEP_2)
	v_lshrrev_b64 v[39:40], 1, v[37:38]
	v_lshrrev_b64 v[37:38], 6, v[37:38]
	v_add_co_u32 v39, vcc_lo, v39, v1
	s_delay_alu instid0(VALU_DEP_3) | instskip(NEXT) | instid1(VALU_DEP_2)
	v_add_co_ci_u32_e32 v40, vcc_lo, v40, v2, vcc_lo
	v_add_co_u32 v37, vcc_lo, v39, v37
	s_delay_alu instid0(VALU_DEP_2) | instskip(NEXT) | instid1(VALU_DEP_1)
	v_add_co_ci_u32_e32 v38, vcc_lo, v40, v38, vcc_lo
	v_lshlrev_b64 v[39:40], 3, v[37:38]
	s_delay_alu instid0(VALU_DEP_1) | instskip(NEXT) | instid1(VALU_DEP_2)
	v_add_co_u32 v39, vcc_lo, s16, v39
	v_add_co_ci_u32_e32 v40, vcc_lo, s17, v40, vcc_lo
	global_load_b64 v[39:40], v[39:40], off
	s_waitcnt vmcnt(0) lgkmcnt(0)
	v_cmp_lt_f64_e32 vcc_lo, v[39:40], v[5:6]
	v_add_co_u32 v39, s0, v37, 1
	s_delay_alu instid0(VALU_DEP_1) | instskip(SKIP_1) | instid1(VALU_DEP_2)
	v_add_co_ci_u32_e64 v40, s0, 0, v38, s0
	v_dual_cndmask_b32 v36, v38, v36 :: v_dual_cndmask_b32 v35, v37, v35
	v_dual_cndmask_b32 v2, v2, v40 :: v_dual_cndmask_b32 v1, v1, v39
	s_delay_alu instid0(VALU_DEP_1) | instskip(SKIP_1) | instid1(SALU_CYCLE_1)
	v_cmp_ge_u64_e32 vcc_lo, v[1:2], v[35:36]
	s_or_b32 s2, vcc_lo, s2
	s_and_not1_b32 exec_lo, exec_lo, s2
	s_cbranch_execnz .LBB258_3
; %bb.4:
	s_set_inst_prefetch_distance 0x2
	s_or_b32 exec_lo, exec_lo, s2
.LBB258_5:
	v_mov_b32_e32 v5, 0
	v_cndmask_b32_e64 v2, 0, 1, s1
	v_mov_b32_e32 v6, 0
	s_and_not1_b32 vcc_lo, exec_lo, s1
	s_cbranch_vccnz .LBB258_9
; %bb.6:
	v_dual_mov_b32 v36, s19 :: v_dual_mov_b32 v35, s18
	s_mov_b32 s1, 0
	s_set_inst_prefetch_distance 0x1
	.p2align	6
.LBB258_7:                              ; =>This Inner Loop Header: Depth=1
	s_delay_alu instid0(VALU_DEP_1) | instskip(NEXT) | instid1(VALU_DEP_2)
	v_sub_co_u32 v37, vcc_lo, v35, v5
	v_sub_co_ci_u32_e32 v38, vcc_lo, v36, v6, vcc_lo
	s_delay_alu instid0(VALU_DEP_1) | instskip(SKIP_1) | instid1(VALU_DEP_2)
	v_lshrrev_b64 v[39:40], 1, v[37:38]
	v_lshrrev_b64 v[37:38], 6, v[37:38]
	v_add_co_u32 v39, vcc_lo, v39, v5
	s_delay_alu instid0(VALU_DEP_3) | instskip(NEXT) | instid1(VALU_DEP_2)
	v_add_co_ci_u32_e32 v40, vcc_lo, v40, v6, vcc_lo
	v_add_co_u32 v37, vcc_lo, v39, v37
	s_delay_alu instid0(VALU_DEP_2) | instskip(NEXT) | instid1(VALU_DEP_1)
	v_add_co_ci_u32_e32 v38, vcc_lo, v40, v38, vcc_lo
	v_lshlrev_b64 v[39:40], 3, v[37:38]
	s_delay_alu instid0(VALU_DEP_1) | instskip(NEXT) | instid1(VALU_DEP_2)
	v_add_co_u32 v39, vcc_lo, s16, v39
	v_add_co_ci_u32_e32 v40, vcc_lo, s17, v40, vcc_lo
	global_load_b64 v[39:40], v[39:40], off
	s_waitcnt vmcnt(0) lgkmcnt(14)
	v_cmp_lt_f64_e32 vcc_lo, v[39:40], v[9:10]
	v_add_co_u32 v39, s0, v37, 1
	s_delay_alu instid0(VALU_DEP_1) | instskip(SKIP_1) | instid1(VALU_DEP_2)
	v_add_co_ci_u32_e64 v40, s0, 0, v38, s0
	v_dual_cndmask_b32 v36, v38, v36 :: v_dual_cndmask_b32 v35, v37, v35
	v_dual_cndmask_b32 v6, v6, v40 :: v_dual_cndmask_b32 v5, v5, v39
	s_delay_alu instid0(VALU_DEP_1) | instskip(SKIP_1) | instid1(SALU_CYCLE_1)
	v_cmp_ge_u64_e32 vcc_lo, v[5:6], v[35:36]
	s_or_b32 s1, vcc_lo, s1
	s_and_not1_b32 exec_lo, exec_lo, s1
	s_cbranch_execnz .LBB258_7
; %bb.8:
	s_set_inst_prefetch_distance 0x2
	s_or_b32 exec_lo, exec_lo, s1
.LBB258_9:
	s_delay_alu instid0(VALU_DEP_2)
	v_cmp_ne_u32_e32 vcc_lo, 1, v2
	s_waitcnt vmcnt(14) lgkmcnt(14)
	v_mov_b32_e32 v9, 0
	v_mov_b32_e32 v10, 0
	s_cbranch_vccnz .LBB258_13
; %bb.10:
	v_dual_mov_b32 v36, s19 :: v_dual_mov_b32 v35, s18
	s_mov_b32 s1, 0
	s_set_inst_prefetch_distance 0x1
	.p2align	6
.LBB258_11:                             ; =>This Inner Loop Header: Depth=1
	s_delay_alu instid0(VALU_DEP_1) | instskip(NEXT) | instid1(VALU_DEP_2)
	v_sub_co_u32 v37, vcc_lo, v35, v9
	v_sub_co_ci_u32_e32 v38, vcc_lo, v36, v10, vcc_lo
	s_delay_alu instid0(VALU_DEP_1) | instskip(SKIP_1) | instid1(VALU_DEP_2)
	v_lshrrev_b64 v[39:40], 1, v[37:38]
	v_lshrrev_b64 v[37:38], 6, v[37:38]
	v_add_co_u32 v6, vcc_lo, v39, v9
	s_delay_alu instid0(VALU_DEP_3) | instskip(NEXT) | instid1(VALU_DEP_2)
	v_add_co_ci_u32_e32 v39, vcc_lo, v40, v10, vcc_lo
	v_add_co_u32 v37, vcc_lo, v6, v37
	s_delay_alu instid0(VALU_DEP_2) | instskip(NEXT) | instid1(VALU_DEP_2)
	v_add_co_ci_u32_e32 v38, vcc_lo, v39, v38, vcc_lo
	v_add_co_u32 v6, s0, v37, 1
	s_delay_alu instid0(VALU_DEP_2) | instskip(NEXT) | instid1(VALU_DEP_1)
	v_lshlrev_b64 v[39:40], 3, v[37:38]
	v_add_co_u32 v39, vcc_lo, s16, v39
	s_delay_alu instid0(VALU_DEP_2)
	v_add_co_ci_u32_e32 v40, vcc_lo, s17, v40, vcc_lo
	global_load_b64 v[39:40], v[39:40], off
	s_waitcnt vmcnt(0) lgkmcnt(13)
	v_cmp_lt_f64_e32 vcc_lo, v[39:40], v[13:14]
	v_add_co_ci_u32_e64 v39, s0, 0, v38, s0
	v_dual_cndmask_b32 v36, v38, v36 :: v_dual_cndmask_b32 v35, v37, v35
	s_delay_alu instid0(VALU_DEP_2) | instskip(NEXT) | instid1(VALU_DEP_1)
	v_dual_cndmask_b32 v10, v10, v39 :: v_dual_cndmask_b32 v9, v9, v6
	v_cmp_ge_u64_e32 vcc_lo, v[9:10], v[35:36]
	s_or_b32 s1, vcc_lo, s1
	s_delay_alu instid0(SALU_CYCLE_1)
	s_and_not1_b32 exec_lo, exec_lo, s1
	s_cbranch_execnz .LBB258_11
; %bb.12:
	s_set_inst_prefetch_distance 0x2
	s_or_b32 exec_lo, exec_lo, s1
.LBB258_13:
	v_cmp_ne_u32_e32 vcc_lo, 1, v2
	s_waitcnt vmcnt(13) lgkmcnt(13)
	v_mov_b32_e32 v13, 0
	v_mov_b32_e32 v14, 0
	s_cbranch_vccnz .LBB258_17
; %bb.14:
	v_dual_mov_b32 v36, s19 :: v_dual_mov_b32 v35, s18
	s_mov_b32 s1, 0
	s_set_inst_prefetch_distance 0x1
	.p2align	6
.LBB258_15:                             ; =>This Inner Loop Header: Depth=1
	s_delay_alu instid0(VALU_DEP_1) | instskip(NEXT) | instid1(VALU_DEP_2)
	v_sub_co_u32 v37, vcc_lo, v35, v13
	v_sub_co_ci_u32_e32 v38, vcc_lo, v36, v14, vcc_lo
	s_delay_alu instid0(VALU_DEP_1) | instskip(SKIP_1) | instid1(VALU_DEP_2)
	v_lshrrev_b64 v[39:40], 1, v[37:38]
	v_lshrrev_b64 v[37:38], 6, v[37:38]
	v_add_co_u32 v6, vcc_lo, v39, v13
	s_delay_alu instid0(VALU_DEP_3) | instskip(NEXT) | instid1(VALU_DEP_2)
	v_add_co_ci_u32_e32 v10, vcc_lo, v40, v14, vcc_lo
	v_add_co_u32 v37, vcc_lo, v6, v37
	s_delay_alu instid0(VALU_DEP_2) | instskip(NEXT) | instid1(VALU_DEP_2)
	v_add_co_ci_u32_e32 v38, vcc_lo, v10, v38, vcc_lo
	v_add_co_u32 v6, s0, v37, 1
	s_delay_alu instid0(VALU_DEP_2) | instskip(SKIP_1) | instid1(VALU_DEP_2)
	v_lshlrev_b64 v[39:40], 3, v[37:38]
	v_add_co_ci_u32_e64 v10, s0, 0, v38, s0
	v_add_co_u32 v39, vcc_lo, s16, v39
	s_delay_alu instid0(VALU_DEP_3)
	v_add_co_ci_u32_e32 v40, vcc_lo, s17, v40, vcc_lo
	global_load_b64 v[39:40], v[39:40], off
	s_waitcnt vmcnt(0) lgkmcnt(12)
	v_cmp_lt_f64_e32 vcc_lo, v[39:40], v[17:18]
	v_dual_cndmask_b32 v36, v38, v36 :: v_dual_cndmask_b32 v35, v37, v35
	v_cndmask_b32_e32 v14, v14, v10, vcc_lo
	v_cndmask_b32_e32 v13, v13, v6, vcc_lo
	s_delay_alu instid0(VALU_DEP_1) | instskip(SKIP_1) | instid1(SALU_CYCLE_1)
	v_cmp_ge_u64_e32 vcc_lo, v[13:14], v[35:36]
	s_or_b32 s1, vcc_lo, s1
	s_and_not1_b32 exec_lo, exec_lo, s1
	s_cbranch_execnz .LBB258_15
; %bb.16:
	s_set_inst_prefetch_distance 0x2
	s_or_b32 exec_lo, exec_lo, s1
.LBB258_17:
	v_cmp_ne_u32_e32 vcc_lo, 1, v2
	s_waitcnt vmcnt(12) lgkmcnt(12)
	v_mov_b32_e32 v17, 0
	v_mov_b32_e32 v18, 0
	s_cbranch_vccnz .LBB258_21
; %bb.18:
	v_dual_mov_b32 v36, s19 :: v_dual_mov_b32 v35, s18
	s_mov_b32 s1, 0
	s_set_inst_prefetch_distance 0x1
	.p2align	6
.LBB258_19:                             ; =>This Inner Loop Header: Depth=1
	s_delay_alu instid0(VALU_DEP_1) | instskip(NEXT) | instid1(VALU_DEP_2)
	v_sub_co_u32 v37, vcc_lo, v35, v17
	v_sub_co_ci_u32_e32 v38, vcc_lo, v36, v18, vcc_lo
	s_delay_alu instid0(VALU_DEP_1) | instskip(SKIP_1) | instid1(VALU_DEP_2)
	v_lshrrev_b64 v[39:40], 1, v[37:38]
	v_lshrrev_b64 v[37:38], 6, v[37:38]
	v_add_co_u32 v6, vcc_lo, v39, v17
	s_delay_alu instid0(VALU_DEP_3) | instskip(NEXT) | instid1(VALU_DEP_2)
	v_add_co_ci_u32_e32 v10, vcc_lo, v40, v18, vcc_lo
	v_add_co_u32 v37, vcc_lo, v6, v37
	s_delay_alu instid0(VALU_DEP_2) | instskip(NEXT) | instid1(VALU_DEP_2)
	v_add_co_ci_u32_e32 v38, vcc_lo, v10, v38, vcc_lo
	v_add_co_u32 v6, s0, v37, 1
	s_delay_alu instid0(VALU_DEP_2) | instskip(SKIP_1) | instid1(VALU_DEP_2)
	v_lshlrev_b64 v[39:40], 3, v[37:38]
	v_add_co_ci_u32_e64 v10, s0, 0, v38, s0
	v_add_co_u32 v39, vcc_lo, s16, v39
	s_delay_alu instid0(VALU_DEP_3)
	v_add_co_ci_u32_e32 v40, vcc_lo, s17, v40, vcc_lo
	global_load_b64 v[39:40], v[39:40], off
	s_waitcnt vmcnt(0) lgkmcnt(11)
	v_cmp_lt_f64_e32 vcc_lo, v[39:40], v[21:22]
	v_dual_cndmask_b32 v36, v38, v36 :: v_dual_cndmask_b32 v35, v37, v35
	v_cndmask_b32_e32 v18, v18, v10, vcc_lo
	v_cndmask_b32_e32 v17, v17, v6, vcc_lo
	s_delay_alu instid0(VALU_DEP_1) | instskip(SKIP_1) | instid1(SALU_CYCLE_1)
	v_cmp_ge_u64_e32 vcc_lo, v[17:18], v[35:36]
	s_or_b32 s1, vcc_lo, s1
	s_and_not1_b32 exec_lo, exec_lo, s1
	s_cbranch_execnz .LBB258_19
; %bb.20:
	s_set_inst_prefetch_distance 0x2
	s_or_b32 exec_lo, exec_lo, s1
.LBB258_21:
	v_cmp_ne_u32_e32 vcc_lo, 1, v2
	s_waitcnt vmcnt(11) lgkmcnt(11)
	v_mov_b32_e32 v21, 0
	v_mov_b32_e32 v22, 0
	s_cbranch_vccnz .LBB258_25
; %bb.22:
	v_dual_mov_b32 v36, s19 :: v_dual_mov_b32 v35, s18
	s_mov_b32 s1, 0
	s_set_inst_prefetch_distance 0x1
	.p2align	6
.LBB258_23:                             ; =>This Inner Loop Header: Depth=1
	s_delay_alu instid0(VALU_DEP_1) | instskip(NEXT) | instid1(VALU_DEP_2)
	v_sub_co_u32 v37, vcc_lo, v35, v21
	v_sub_co_ci_u32_e32 v38, vcc_lo, v36, v22, vcc_lo
	s_delay_alu instid0(VALU_DEP_1) | instskip(SKIP_1) | instid1(VALU_DEP_2)
	v_lshrrev_b64 v[39:40], 1, v[37:38]
	v_lshrrev_b64 v[37:38], 6, v[37:38]
	v_add_co_u32 v6, vcc_lo, v39, v21
	s_delay_alu instid0(VALU_DEP_3) | instskip(NEXT) | instid1(VALU_DEP_2)
	v_add_co_ci_u32_e32 v10, vcc_lo, v40, v22, vcc_lo
	v_add_co_u32 v37, vcc_lo, v6, v37
	s_delay_alu instid0(VALU_DEP_2) | instskip(NEXT) | instid1(VALU_DEP_2)
	v_add_co_ci_u32_e32 v38, vcc_lo, v10, v38, vcc_lo
	v_add_co_u32 v6, s0, v37, 1
	s_delay_alu instid0(VALU_DEP_2) | instskip(SKIP_1) | instid1(VALU_DEP_2)
	v_lshlrev_b64 v[39:40], 3, v[37:38]
	v_add_co_ci_u32_e64 v10, s0, 0, v38, s0
	v_add_co_u32 v39, vcc_lo, s16, v39
	s_delay_alu instid0(VALU_DEP_3)
	v_add_co_ci_u32_e32 v40, vcc_lo, s17, v40, vcc_lo
	global_load_b64 v[39:40], v[39:40], off
	s_waitcnt vmcnt(0) lgkmcnt(10)
	v_cmp_lt_f64_e32 vcc_lo, v[39:40], v[25:26]
	v_dual_cndmask_b32 v36, v38, v36 :: v_dual_cndmask_b32 v35, v37, v35
	v_cndmask_b32_e32 v22, v22, v10, vcc_lo
	v_cndmask_b32_e32 v21, v21, v6, vcc_lo
	s_delay_alu instid0(VALU_DEP_1) | instskip(SKIP_1) | instid1(SALU_CYCLE_1)
	v_cmp_ge_u64_e32 vcc_lo, v[21:22], v[35:36]
	s_or_b32 s1, vcc_lo, s1
	s_and_not1_b32 exec_lo, exec_lo, s1
	s_cbranch_execnz .LBB258_23
; %bb.24:
	s_set_inst_prefetch_distance 0x2
	s_or_b32 exec_lo, exec_lo, s1
.LBB258_25:
	v_cmp_ne_u32_e32 vcc_lo, 1, v2
	s_waitcnt vmcnt(10) lgkmcnt(10)
	v_mov_b32_e32 v25, 0
	v_mov_b32_e32 v26, 0
	s_cbranch_vccnz .LBB258_29
; %bb.26:
	v_dual_mov_b32 v36, s19 :: v_dual_mov_b32 v35, s18
	s_mov_b32 s1, 0
	s_set_inst_prefetch_distance 0x1
	.p2align	6
.LBB258_27:                             ; =>This Inner Loop Header: Depth=1
	s_delay_alu instid0(VALU_DEP_1) | instskip(NEXT) | instid1(VALU_DEP_2)
	v_sub_co_u32 v37, vcc_lo, v35, v25
	v_sub_co_ci_u32_e32 v38, vcc_lo, v36, v26, vcc_lo
	s_delay_alu instid0(VALU_DEP_1) | instskip(SKIP_1) | instid1(VALU_DEP_2)
	v_lshrrev_b64 v[39:40], 1, v[37:38]
	v_lshrrev_b64 v[37:38], 6, v[37:38]
	v_add_co_u32 v6, vcc_lo, v39, v25
	s_delay_alu instid0(VALU_DEP_3) | instskip(NEXT) | instid1(VALU_DEP_2)
	v_add_co_ci_u32_e32 v10, vcc_lo, v40, v26, vcc_lo
	v_add_co_u32 v37, vcc_lo, v6, v37
	s_delay_alu instid0(VALU_DEP_2) | instskip(NEXT) | instid1(VALU_DEP_2)
	v_add_co_ci_u32_e32 v38, vcc_lo, v10, v38, vcc_lo
	v_add_co_u32 v6, s0, v37, 1
	s_delay_alu instid0(VALU_DEP_2) | instskip(SKIP_1) | instid1(VALU_DEP_2)
	v_lshlrev_b64 v[39:40], 3, v[37:38]
	v_add_co_ci_u32_e64 v10, s0, 0, v38, s0
	v_add_co_u32 v39, vcc_lo, s16, v39
	s_delay_alu instid0(VALU_DEP_3)
	v_add_co_ci_u32_e32 v40, vcc_lo, s17, v40, vcc_lo
	global_load_b64 v[39:40], v[39:40], off
	s_waitcnt vmcnt(0) lgkmcnt(9)
	v_cmp_lt_f64_e32 vcc_lo, v[39:40], v[29:30]
	v_dual_cndmask_b32 v36, v38, v36 :: v_dual_cndmask_b32 v35, v37, v35
	v_cndmask_b32_e32 v26, v26, v10, vcc_lo
	v_cndmask_b32_e32 v25, v25, v6, vcc_lo
	s_delay_alu instid0(VALU_DEP_1) | instskip(SKIP_1) | instid1(SALU_CYCLE_1)
	v_cmp_ge_u64_e32 vcc_lo, v[25:26], v[35:36]
	s_or_b32 s1, vcc_lo, s1
	s_and_not1_b32 exec_lo, exec_lo, s1
	s_cbranch_execnz .LBB258_27
; %bb.28:
	s_set_inst_prefetch_distance 0x2
	s_or_b32 exec_lo, exec_lo, s1
.LBB258_29:
	v_cmp_ne_u32_e32 vcc_lo, 1, v2
	s_waitcnt vmcnt(9) lgkmcnt(9)
	v_mov_b32_e32 v29, 0
	v_mov_b32_e32 v30, 0
	s_cbranch_vccnz .LBB258_33
; %bb.30:
	v_dual_mov_b32 v36, s19 :: v_dual_mov_b32 v35, s18
	s_mov_b32 s1, 0
	s_set_inst_prefetch_distance 0x1
	.p2align	6
.LBB258_31:                             ; =>This Inner Loop Header: Depth=1
	s_delay_alu instid0(VALU_DEP_1) | instskip(NEXT) | instid1(VALU_DEP_2)
	v_sub_co_u32 v37, vcc_lo, v35, v29
	v_sub_co_ci_u32_e32 v38, vcc_lo, v36, v30, vcc_lo
	s_delay_alu instid0(VALU_DEP_1) | instskip(SKIP_1) | instid1(VALU_DEP_2)
	v_lshrrev_b64 v[39:40], 1, v[37:38]
	v_lshrrev_b64 v[37:38], 6, v[37:38]
	v_add_co_u32 v6, vcc_lo, v39, v29
	s_delay_alu instid0(VALU_DEP_3) | instskip(NEXT) | instid1(VALU_DEP_2)
	v_add_co_ci_u32_e32 v10, vcc_lo, v40, v30, vcc_lo
	v_add_co_u32 v37, vcc_lo, v6, v37
	s_delay_alu instid0(VALU_DEP_2) | instskip(NEXT) | instid1(VALU_DEP_2)
	v_add_co_ci_u32_e32 v38, vcc_lo, v10, v38, vcc_lo
	v_add_co_u32 v6, s0, v37, 1
	s_delay_alu instid0(VALU_DEP_2) | instskip(SKIP_1) | instid1(VALU_DEP_2)
	v_lshlrev_b64 v[39:40], 3, v[37:38]
	v_add_co_ci_u32_e64 v10, s0, 0, v38, s0
	v_add_co_u32 v39, vcc_lo, s16, v39
	s_delay_alu instid0(VALU_DEP_3)
	v_add_co_ci_u32_e32 v40, vcc_lo, s17, v40, vcc_lo
	global_load_b64 v[39:40], v[39:40], off
	s_waitcnt vmcnt(0) lgkmcnt(8)
	v_cmp_lt_f64_e32 vcc_lo, v[39:40], v[33:34]
	v_dual_cndmask_b32 v36, v38, v36 :: v_dual_cndmask_b32 v35, v37, v35
	v_cndmask_b32_e32 v30, v30, v10, vcc_lo
	v_cndmask_b32_e32 v29, v29, v6, vcc_lo
	s_delay_alu instid0(VALU_DEP_1) | instskip(SKIP_1) | instid1(SALU_CYCLE_1)
	v_cmp_ge_u64_e32 vcc_lo, v[29:30], v[35:36]
	s_or_b32 s1, vcc_lo, s1
	s_and_not1_b32 exec_lo, exec_lo, s1
	s_cbranch_execnz .LBB258_31
; %bb.32:
	s_set_inst_prefetch_distance 0x2
	s_or_b32 exec_lo, exec_lo, s1
.LBB258_33:
	v_cmp_ne_u32_e32 vcc_lo, 1, v2
	s_cbranch_vccnz .LBB258_59
; %bb.34:
	s_waitcnt vmcnt(8) lgkmcnt(8)
	v_dual_mov_b32 v33, 0 :: v_dual_mov_b32 v36, s19
	v_dual_mov_b32 v34, 0 :: v_dual_mov_b32 v35, s18
	s_mov_b32 s1, 0
	s_set_inst_prefetch_distance 0x1
	.p2align	6
.LBB258_35:                             ; =>This Inner Loop Header: Depth=1
	s_delay_alu instid0(VALU_DEP_1) | instskip(NEXT) | instid1(VALU_DEP_2)
	v_sub_co_u32 v37, vcc_lo, v35, v33
	v_sub_co_ci_u32_e32 v38, vcc_lo, v36, v34, vcc_lo
	s_delay_alu instid0(VALU_DEP_1) | instskip(SKIP_1) | instid1(VALU_DEP_2)
	v_lshrrev_b64 v[39:40], 1, v[37:38]
	v_lshrrev_b64 v[37:38], 6, v[37:38]
	v_add_co_u32 v6, vcc_lo, v39, v33
	s_delay_alu instid0(VALU_DEP_3) | instskip(NEXT) | instid1(VALU_DEP_2)
	v_add_co_ci_u32_e32 v10, vcc_lo, v40, v34, vcc_lo
	v_add_co_u32 v37, vcc_lo, v6, v37
	s_delay_alu instid0(VALU_DEP_2) | instskip(NEXT) | instid1(VALU_DEP_2)
	v_add_co_ci_u32_e32 v38, vcc_lo, v10, v38, vcc_lo
	v_add_co_u32 v6, s0, v37, 1
	s_delay_alu instid0(VALU_DEP_2) | instskip(SKIP_1) | instid1(VALU_DEP_2)
	v_lshlrev_b64 v[39:40], 3, v[37:38]
	v_add_co_ci_u32_e64 v10, s0, 0, v38, s0
	v_add_co_u32 v39, vcc_lo, s16, v39
	s_delay_alu instid0(VALU_DEP_3)
	v_add_co_ci_u32_e32 v40, vcc_lo, s17, v40, vcc_lo
	global_load_b64 v[39:40], v[39:40], off
	s_waitcnt vmcnt(0) lgkmcnt(7)
	v_cmp_lt_f64_e32 vcc_lo, v[39:40], v[31:32]
	v_dual_cndmask_b32 v36, v38, v36 :: v_dual_cndmask_b32 v35, v37, v35
	v_cndmask_b32_e32 v34, v34, v10, vcc_lo
	v_cndmask_b32_e32 v33, v33, v6, vcc_lo
	s_delay_alu instid0(VALU_DEP_1) | instskip(SKIP_1) | instid1(SALU_CYCLE_1)
	v_cmp_ge_u64_e32 vcc_lo, v[33:34], v[35:36]
	s_or_b32 s1, vcc_lo, s1
	s_and_not1_b32 exec_lo, exec_lo, s1
	s_cbranch_execnz .LBB258_35
; %bb.36:
	s_set_inst_prefetch_distance 0x2
	s_or_b32 exec_lo, exec_lo, s1
	v_cmp_ne_u32_e32 vcc_lo, 1, v2
	s_cbranch_vccnz .LBB258_60
.LBB258_37:
	s_waitcnt vmcnt(7) lgkmcnt(7)
	v_dual_mov_b32 v30, 0 :: v_dual_mov_b32 v35, s19
	v_dual_mov_b32 v31, 0 :: v_dual_mov_b32 v34, s18
	s_mov_b32 s1, 0
	s_set_inst_prefetch_distance 0x1
	.p2align	6
.LBB258_38:                             ; =>This Inner Loop Header: Depth=1
	s_delay_alu instid0(VALU_DEP_1) | instskip(NEXT) | instid1(VALU_DEP_2)
	v_sub_co_u32 v36, vcc_lo, v34, v30
	v_sub_co_ci_u32_e32 v37, vcc_lo, v35, v31, vcc_lo
	s_delay_alu instid0(VALU_DEP_1) | instskip(SKIP_1) | instid1(VALU_DEP_2)
	v_lshrrev_b64 v[38:39], 1, v[36:37]
	v_lshrrev_b64 v[36:37], 6, v[36:37]
	v_add_co_u32 v6, vcc_lo, v38, v30
	s_delay_alu instid0(VALU_DEP_3) | instskip(NEXT) | instid1(VALU_DEP_2)
	v_add_co_ci_u32_e32 v10, vcc_lo, v39, v31, vcc_lo
	v_add_co_u32 v36, vcc_lo, v6, v36
	s_delay_alu instid0(VALU_DEP_2) | instskip(NEXT) | instid1(VALU_DEP_2)
	v_add_co_ci_u32_e32 v37, vcc_lo, v10, v37, vcc_lo
	v_add_co_u32 v6, s0, v36, 1
	s_delay_alu instid0(VALU_DEP_2) | instskip(SKIP_1) | instid1(VALU_DEP_2)
	v_lshlrev_b64 v[38:39], 3, v[36:37]
	v_add_co_ci_u32_e64 v10, s0, 0, v37, s0
	v_add_co_u32 v38, vcc_lo, s16, v38
	s_delay_alu instid0(VALU_DEP_3)
	v_add_co_ci_u32_e32 v39, vcc_lo, s17, v39, vcc_lo
	global_load_b64 v[38:39], v[38:39], off
	s_waitcnt vmcnt(0) lgkmcnt(6)
	v_cmp_lt_f64_e32 vcc_lo, v[38:39], v[27:28]
	v_dual_cndmask_b32 v35, v37, v35 :: v_dual_cndmask_b32 v34, v36, v34
	v_cndmask_b32_e32 v31, v31, v10, vcc_lo
	v_cndmask_b32_e32 v30, v30, v6, vcc_lo
	s_delay_alu instid0(VALU_DEP_1) | instskip(SKIP_1) | instid1(SALU_CYCLE_1)
	v_cmp_ge_u64_e32 vcc_lo, v[30:31], v[34:35]
	s_or_b32 s1, vcc_lo, s1
	s_and_not1_b32 exec_lo, exec_lo, s1
	s_cbranch_execnz .LBB258_38
; %bb.39:
	s_set_inst_prefetch_distance 0x2
	s_or_b32 exec_lo, exec_lo, s1
	v_cmp_ne_u32_e32 vcc_lo, 1, v2
	s_cbranch_vccnz .LBB258_61
.LBB258_40:
	s_waitcnt vmcnt(6) lgkmcnt(6)
	v_mov_b32_e32 v26, 0
	v_dual_mov_b32 v27, 0 :: v_dual_mov_b32 v32, s19
	v_mov_b32_e32 v31, s18
	s_mov_b32 s1, 0
	s_set_inst_prefetch_distance 0x1
	.p2align	6
.LBB258_41:                             ; =>This Inner Loop Header: Depth=1
	s_delay_alu instid0(VALU_DEP_1) | instskip(SKIP_1) | instid1(VALU_DEP_1)
	v_sub_co_u32 v34, vcc_lo, v31, v26
	v_sub_co_ci_u32_e32 v35, vcc_lo, v32, v27, vcc_lo
	v_lshrrev_b64 v[36:37], 1, v[34:35]
	v_lshrrev_b64 v[34:35], 6, v[34:35]
	s_delay_alu instid0(VALU_DEP_2) | instskip(NEXT) | instid1(VALU_DEP_3)
	v_add_co_u32 v6, vcc_lo, v36, v26
	v_add_co_ci_u32_e32 v10, vcc_lo, v37, v27, vcc_lo
	s_delay_alu instid0(VALU_DEP_2) | instskip(NEXT) | instid1(VALU_DEP_2)
	v_add_co_u32 v34, vcc_lo, v6, v34
	v_add_co_ci_u32_e32 v35, vcc_lo, v10, v35, vcc_lo
	s_delay_alu instid0(VALU_DEP_2) | instskip(NEXT) | instid1(VALU_DEP_2)
	v_add_co_u32 v6, s0, v34, 1
	v_lshlrev_b64 v[36:37], 3, v[34:35]
	v_add_co_ci_u32_e64 v10, s0, 0, v35, s0
	s_delay_alu instid0(VALU_DEP_2) | instskip(NEXT) | instid1(VALU_DEP_3)
	v_add_co_u32 v36, vcc_lo, s16, v36
	v_add_co_ci_u32_e32 v37, vcc_lo, s17, v37, vcc_lo
	global_load_b64 v[36:37], v[36:37], off
	s_waitcnt vmcnt(0) lgkmcnt(5)
	v_cmp_lt_f64_e32 vcc_lo, v[36:37], v[23:24]
	v_dual_cndmask_b32 v32, v35, v32 :: v_dual_cndmask_b32 v31, v34, v31
	v_cndmask_b32_e32 v27, v27, v10, vcc_lo
	v_cndmask_b32_e32 v26, v26, v6, vcc_lo
	s_delay_alu instid0(VALU_DEP_1) | instskip(SKIP_1) | instid1(SALU_CYCLE_1)
	v_cmp_ge_u64_e32 vcc_lo, v[26:27], v[31:32]
	s_or_b32 s1, vcc_lo, s1
	s_and_not1_b32 exec_lo, exec_lo, s1
	s_cbranch_execnz .LBB258_41
; %bb.42:
	s_set_inst_prefetch_distance 0x2
	s_or_b32 exec_lo, exec_lo, s1
	v_cmp_ne_u32_e32 vcc_lo, 1, v2
	s_cbranch_vccnz .LBB258_62
.LBB258_43:
	s_waitcnt vmcnt(5) lgkmcnt(5)
	v_mov_b32_e32 v22, 0
	v_dual_mov_b32 v23, 0 :: v_dual_mov_b32 v28, s19
	v_mov_b32_e32 v27, s18
	s_mov_b32 s1, 0
	s_set_inst_prefetch_distance 0x1
	.p2align	6
.LBB258_44:                             ; =>This Inner Loop Header: Depth=1
	s_delay_alu instid0(VALU_DEP_1) | instskip(SKIP_1) | instid1(VALU_DEP_1)
	v_sub_co_u32 v31, vcc_lo, v27, v22
	v_sub_co_ci_u32_e32 v32, vcc_lo, v28, v23, vcc_lo
	v_lshrrev_b64 v[34:35], 1, v[31:32]
	v_lshrrev_b64 v[31:32], 6, v[31:32]
	s_delay_alu instid0(VALU_DEP_2) | instskip(NEXT) | instid1(VALU_DEP_3)
	v_add_co_u32 v6, vcc_lo, v34, v22
	v_add_co_ci_u32_e32 v10, vcc_lo, v35, v23, vcc_lo
	s_delay_alu instid0(VALU_DEP_2) | instskip(NEXT) | instid1(VALU_DEP_2)
	v_add_co_u32 v31, vcc_lo, v6, v31
	v_add_co_ci_u32_e32 v32, vcc_lo, v10, v32, vcc_lo
	s_delay_alu instid0(VALU_DEP_2) | instskip(NEXT) | instid1(VALU_DEP_2)
	v_add_co_u32 v6, s0, v31, 1
	v_lshlrev_b64 v[34:35], 3, v[31:32]
	v_add_co_ci_u32_e64 v10, s0, 0, v32, s0
	s_delay_alu instid0(VALU_DEP_2) | instskip(NEXT) | instid1(VALU_DEP_3)
	v_add_co_u32 v34, vcc_lo, s16, v34
	v_add_co_ci_u32_e32 v35, vcc_lo, s17, v35, vcc_lo
	global_load_b64 v[34:35], v[34:35], off
	s_waitcnt vmcnt(0) lgkmcnt(4)
	v_cmp_lt_f64_e32 vcc_lo, v[34:35], v[19:20]
	v_dual_cndmask_b32 v28, v32, v28 :: v_dual_cndmask_b32 v27, v31, v27
	v_cndmask_b32_e32 v23, v23, v10, vcc_lo
	v_cndmask_b32_e32 v22, v22, v6, vcc_lo
	s_delay_alu instid0(VALU_DEP_1) | instskip(SKIP_1) | instid1(SALU_CYCLE_1)
	v_cmp_ge_u64_e32 vcc_lo, v[22:23], v[27:28]
	s_or_b32 s1, vcc_lo, s1
	s_and_not1_b32 exec_lo, exec_lo, s1
	s_cbranch_execnz .LBB258_44
; %bb.45:
	s_set_inst_prefetch_distance 0x2
	s_or_b32 exec_lo, exec_lo, s1
	v_cmp_ne_u32_e32 vcc_lo, 1, v2
	s_cbranch_vccnz .LBB258_63
.LBB258_46:
	s_waitcnt vmcnt(4) lgkmcnt(4)
	v_mov_b32_e32 v18, 0
	v_dual_mov_b32 v19, 0 :: v_dual_mov_b32 v24, s19
	v_mov_b32_e32 v23, s18
	s_mov_b32 s1, 0
	s_set_inst_prefetch_distance 0x1
	.p2align	6
.LBB258_47:                             ; =>This Inner Loop Header: Depth=1
	s_delay_alu instid0(VALU_DEP_1) | instskip(SKIP_1) | instid1(VALU_DEP_1)
	v_sub_co_u32 v27, vcc_lo, v23, v18
	v_sub_co_ci_u32_e32 v28, vcc_lo, v24, v19, vcc_lo
	v_lshrrev_b64 v[31:32], 1, v[27:28]
	v_lshrrev_b64 v[27:28], 6, v[27:28]
	s_delay_alu instid0(VALU_DEP_2) | instskip(NEXT) | instid1(VALU_DEP_3)
	v_add_co_u32 v6, vcc_lo, v31, v18
	v_add_co_ci_u32_e32 v10, vcc_lo, v32, v19, vcc_lo
	s_delay_alu instid0(VALU_DEP_2) | instskip(NEXT) | instid1(VALU_DEP_2)
	v_add_co_u32 v27, vcc_lo, v6, v27
	v_add_co_ci_u32_e32 v28, vcc_lo, v10, v28, vcc_lo
	s_delay_alu instid0(VALU_DEP_2) | instskip(NEXT) | instid1(VALU_DEP_2)
	v_add_co_u32 v6, s0, v27, 1
	v_lshlrev_b64 v[31:32], 3, v[27:28]
	v_add_co_ci_u32_e64 v10, s0, 0, v28, s0
	s_delay_alu instid0(VALU_DEP_2) | instskip(NEXT) | instid1(VALU_DEP_3)
	v_add_co_u32 v31, vcc_lo, s16, v31
	v_add_co_ci_u32_e32 v32, vcc_lo, s17, v32, vcc_lo
	global_load_b64 v[31:32], v[31:32], off
	s_waitcnt vmcnt(0) lgkmcnt(3)
	v_cmp_lt_f64_e32 vcc_lo, v[31:32], v[15:16]
	v_dual_cndmask_b32 v24, v28, v24 :: v_dual_cndmask_b32 v23, v27, v23
	v_cndmask_b32_e32 v19, v19, v10, vcc_lo
	v_cndmask_b32_e32 v18, v18, v6, vcc_lo
	s_delay_alu instid0(VALU_DEP_1) | instskip(SKIP_1) | instid1(SALU_CYCLE_1)
	v_cmp_ge_u64_e32 vcc_lo, v[18:19], v[23:24]
	s_or_b32 s1, vcc_lo, s1
	s_and_not1_b32 exec_lo, exec_lo, s1
	s_cbranch_execnz .LBB258_47
; %bb.48:
	s_set_inst_prefetch_distance 0x2
	s_or_b32 exec_lo, exec_lo, s1
	v_cmp_ne_u32_e32 vcc_lo, 1, v2
	s_cbranch_vccnz .LBB258_64
.LBB258_49:
	s_waitcnt vmcnt(3) lgkmcnt(3)
	v_mov_b32_e32 v14, 0
	v_dual_mov_b32 v15, 0 :: v_dual_mov_b32 v20, s19
	v_mov_b32_e32 v19, s18
	s_mov_b32 s1, 0
	s_set_inst_prefetch_distance 0x1
	.p2align	6
.LBB258_50:                             ; =>This Inner Loop Header: Depth=1
	s_delay_alu instid0(VALU_DEP_1) | instskip(SKIP_1) | instid1(VALU_DEP_1)
	v_sub_co_u32 v23, vcc_lo, v19, v14
	v_sub_co_ci_u32_e32 v24, vcc_lo, v20, v15, vcc_lo
	v_lshrrev_b64 v[27:28], 1, v[23:24]
	v_lshrrev_b64 v[23:24], 6, v[23:24]
	s_delay_alu instid0(VALU_DEP_2) | instskip(NEXT) | instid1(VALU_DEP_3)
	v_add_co_u32 v6, vcc_lo, v27, v14
	v_add_co_ci_u32_e32 v10, vcc_lo, v28, v15, vcc_lo
	s_delay_alu instid0(VALU_DEP_2) | instskip(NEXT) | instid1(VALU_DEP_2)
	v_add_co_u32 v23, vcc_lo, v6, v23
	v_add_co_ci_u32_e32 v24, vcc_lo, v10, v24, vcc_lo
	s_delay_alu instid0(VALU_DEP_2) | instskip(NEXT) | instid1(VALU_DEP_2)
	v_add_co_u32 v6, s0, v23, 1
	v_lshlrev_b64 v[27:28], 3, v[23:24]
	v_add_co_ci_u32_e64 v10, s0, 0, v24, s0
	s_delay_alu instid0(VALU_DEP_2) | instskip(NEXT) | instid1(VALU_DEP_3)
	v_add_co_u32 v27, vcc_lo, s16, v27
	v_add_co_ci_u32_e32 v28, vcc_lo, s17, v28, vcc_lo
	global_load_b64 v[27:28], v[27:28], off
	s_waitcnt vmcnt(0) lgkmcnt(2)
	v_cmp_lt_f64_e32 vcc_lo, v[27:28], v[11:12]
	v_dual_cndmask_b32 v20, v24, v20 :: v_dual_cndmask_b32 v19, v23, v19
	v_cndmask_b32_e32 v15, v15, v10, vcc_lo
	v_cndmask_b32_e32 v14, v14, v6, vcc_lo
	s_delay_alu instid0(VALU_DEP_1) | instskip(SKIP_1) | instid1(SALU_CYCLE_1)
	v_cmp_ge_u64_e32 vcc_lo, v[14:15], v[19:20]
	s_or_b32 s1, vcc_lo, s1
	s_and_not1_b32 exec_lo, exec_lo, s1
	s_cbranch_execnz .LBB258_50
; %bb.51:
	s_set_inst_prefetch_distance 0x2
	s_or_b32 exec_lo, exec_lo, s1
	v_cmp_ne_u32_e32 vcc_lo, 1, v2
	s_cbranch_vccnz .LBB258_65
.LBB258_52:
	s_waitcnt vmcnt(2) lgkmcnt(2)
	v_dual_mov_b32 v10, 0 :: v_dual_mov_b32 v15, s18
	v_dual_mov_b32 v11, 0 :: v_dual_mov_b32 v16, s19
	s_mov_b32 s1, 0
	s_set_inst_prefetch_distance 0x1
	.p2align	6
.LBB258_53:                             ; =>This Inner Loop Header: Depth=1
	s_delay_alu instid0(VALU_DEP_2) | instskip(NEXT) | instid1(VALU_DEP_2)
	v_sub_co_u32 v19, vcc_lo, v15, v10
	v_sub_co_ci_u32_e32 v20, vcc_lo, v16, v11, vcc_lo
	s_delay_alu instid0(VALU_DEP_1) | instskip(SKIP_1) | instid1(VALU_DEP_2)
	v_lshrrev_b64 v[23:24], 1, v[19:20]
	v_lshrrev_b64 v[19:20], 6, v[19:20]
	v_add_co_u32 v6, vcc_lo, v23, v10
	s_delay_alu instid0(VALU_DEP_3) | instskip(NEXT) | instid1(VALU_DEP_2)
	v_add_co_ci_u32_e32 v12, vcc_lo, v24, v11, vcc_lo
	v_add_co_u32 v19, vcc_lo, v6, v19
	s_delay_alu instid0(VALU_DEP_2) | instskip(NEXT) | instid1(VALU_DEP_2)
	v_add_co_ci_u32_e32 v20, vcc_lo, v12, v20, vcc_lo
	v_add_co_u32 v6, s0, v19, 1
	s_delay_alu instid0(VALU_DEP_2) | instskip(SKIP_1) | instid1(VALU_DEP_2)
	v_lshlrev_b64 v[23:24], 3, v[19:20]
	v_add_co_ci_u32_e64 v12, s0, 0, v20, s0
	v_add_co_u32 v23, vcc_lo, s16, v23
	s_delay_alu instid0(VALU_DEP_3)
	v_add_co_ci_u32_e32 v24, vcc_lo, s17, v24, vcc_lo
	global_load_b64 v[23:24], v[23:24], off
	s_waitcnt vmcnt(0) lgkmcnt(1)
	v_cmp_lt_f64_e32 vcc_lo, v[23:24], v[7:8]
	v_dual_cndmask_b32 v16, v20, v16 :: v_dual_cndmask_b32 v15, v19, v15
	v_dual_cndmask_b32 v11, v11, v12 :: v_dual_cndmask_b32 v10, v10, v6
	s_delay_alu instid0(VALU_DEP_1) | instskip(SKIP_1) | instid1(SALU_CYCLE_1)
	v_cmp_ge_u64_e32 vcc_lo, v[10:11], v[15:16]
	s_or_b32 s1, vcc_lo, s1
	s_and_not1_b32 exec_lo, exec_lo, s1
	s_cbranch_execnz .LBB258_53
; %bb.54:
	s_set_inst_prefetch_distance 0x2
	s_or_b32 exec_lo, exec_lo, s1
	v_cmp_ne_u32_e32 vcc_lo, 1, v2
	s_cbranch_vccnz .LBB258_66
.LBB258_55:
	s_waitcnt vmcnt(1) lgkmcnt(1)
	v_dual_mov_b32 v6, 0 :: v_dual_mov_b32 v11, s18
	v_dual_mov_b32 v7, 0 :: v_dual_mov_b32 v12, s19
	s_mov_b32 s1, 0
	s_set_inst_prefetch_distance 0x1
	.p2align	6
.LBB258_56:                             ; =>This Inner Loop Header: Depth=1
	s_delay_alu instid0(VALU_DEP_2) | instskip(NEXT) | instid1(VALU_DEP_2)
	v_sub_co_u32 v15, vcc_lo, v11, v6
	v_sub_co_ci_u32_e32 v16, vcc_lo, v12, v7, vcc_lo
	s_delay_alu instid0(VALU_DEP_1) | instskip(SKIP_1) | instid1(VALU_DEP_2)
	v_lshrrev_b64 v[19:20], 1, v[15:16]
	v_lshrrev_b64 v[15:16], 6, v[15:16]
	v_add_co_u32 v2, vcc_lo, v19, v6
	s_delay_alu instid0(VALU_DEP_3) | instskip(NEXT) | instid1(VALU_DEP_2)
	v_add_co_ci_u32_e32 v8, vcc_lo, v20, v7, vcc_lo
	v_add_co_u32 v15, vcc_lo, v2, v15
	s_delay_alu instid0(VALU_DEP_2) | instskip(NEXT) | instid1(VALU_DEP_2)
	v_add_co_ci_u32_e32 v16, vcc_lo, v8, v16, vcc_lo
	v_add_co_u32 v2, s0, v15, 1
	s_delay_alu instid0(VALU_DEP_2) | instskip(SKIP_1) | instid1(VALU_DEP_2)
	v_lshlrev_b64 v[19:20], 3, v[15:16]
	v_add_co_ci_u32_e64 v8, s0, 0, v16, s0
	v_add_co_u32 v19, vcc_lo, s16, v19
	s_delay_alu instid0(VALU_DEP_3)
	v_add_co_ci_u32_e32 v20, vcc_lo, s17, v20, vcc_lo
	global_load_b64 v[19:20], v[19:20], off
	s_waitcnt vmcnt(0) lgkmcnt(0)
	v_cmp_lt_f64_e32 vcc_lo, v[19:20], v[3:4]
	v_dual_cndmask_b32 v12, v16, v12 :: v_dual_cndmask_b32 v11, v15, v11
	v_dual_cndmask_b32 v7, v7, v8 :: v_dual_cndmask_b32 v6, v6, v2
	s_delay_alu instid0(VALU_DEP_1) | instskip(SKIP_1) | instid1(SALU_CYCLE_1)
	v_cmp_ge_u64_e32 vcc_lo, v[6:7], v[11:12]
	s_or_b32 s1, vcc_lo, s1
	s_and_not1_b32 exec_lo, exec_lo, s1
	s_cbranch_execnz .LBB258_56
; %bb.57:
	s_set_inst_prefetch_distance 0x2
	s_or_b32 exec_lo, exec_lo, s1
	s_branch .LBB258_67
.LBB258_58:
	s_mov_b32 s24, s21
                                        ; implicit-def: $vgpr6
                                        ; implicit-def: $vgpr2_vgpr3
	s_and_b32 vcc_lo, exec_lo, s0
	s_cbranch_vccnz .LBB258_68
	s_branch .LBB258_197
.LBB258_59:
	s_waitcnt vmcnt(8) lgkmcnt(8)
	v_mov_b32_e32 v33, 0
	v_cmp_ne_u32_e32 vcc_lo, 1, v2
	s_cbranch_vccz .LBB258_37
.LBB258_60:
	v_mov_b32_e32 v30, 0
	v_cmp_ne_u32_e32 vcc_lo, 1, v2
	s_cbranch_vccz .LBB258_40
.LBB258_61:
	v_mov_b32_e32 v26, 0
	v_cmp_ne_u32_e32 vcc_lo, 1, v2
	s_cbranch_vccz .LBB258_43
.LBB258_62:
	v_mov_b32_e32 v22, 0
	v_cmp_ne_u32_e32 vcc_lo, 1, v2
	s_cbranch_vccz .LBB258_46
.LBB258_63:
	v_mov_b32_e32 v18, 0
	v_cmp_ne_u32_e32 vcc_lo, 1, v2
	s_cbranch_vccz .LBB258_49
.LBB258_64:
	v_mov_b32_e32 v14, 0
	v_cmp_ne_u32_e32 vcc_lo, 1, v2
	s_cbranch_vccz .LBB258_52
.LBB258_65:
	v_mov_b32_e32 v10, 0
	v_cmp_ne_u32_e32 vcc_lo, 1, v2
	s_cbranch_vccz .LBB258_55
.LBB258_66:
	v_mov_b32_e32 v6, 0
.LBB258_67:
	v_lshlrev_b32_e32 v2, 2, v0
	s_lshl_b64 s[0:1], s[20:21], 2
	s_mov_b32 s24, -1
	s_add_u32 s0, s22, s0
	s_addc_u32 s1, s23, s1
	v_add_co_u32 v2, s0, s0, v2
	s_waitcnt vmcnt(0) lgkmcnt(0)
	v_add_co_ci_u32_e64 v3, null, s1, 0, s0
	s_delay_alu instid0(VALU_DEP_2) | instskip(NEXT) | instid1(VALU_DEP_2)
	v_add_co_u32 v7, vcc_lo, 0x1000, v2
	v_add_co_ci_u32_e32 v8, vcc_lo, 0, v3, vcc_lo
	v_add_co_u32 v4, vcc_lo, 0x2000, v2
	s_clause 0x2
	flat_store_b32 v[2:3], v5 offset:1024
	flat_store_b32 v[2:3], v9 offset:2048
	;; [unrolled: 1-line block ×3, first 2 shown]
	v_add_co_ci_u32_e32 v5, vcc_lo, 0, v3, vcc_lo
	v_add_co_u32 v11, vcc_lo, 0x3000, v2
	v_add_co_ci_u32_e32 v12, vcc_lo, 0, v3, vcc_lo
	s_clause 0xb
	flat_store_b32 v[7:8], v17
	flat_store_b32 v[7:8], v21 offset:1024
	flat_store_b32 v[7:8], v25 offset:2048
	;; [unrolled: 1-line block ×3, first 2 shown]
	flat_store_b32 v[4:5], v33
	flat_store_b32 v[4:5], v30 offset:1024
	flat_store_b32 v[4:5], v26 offset:2048
	;; [unrolled: 1-line block ×3, first 2 shown]
	flat_store_b32 v[11:12], v18
	flat_store_b32 v[11:12], v14 offset:1024
	flat_store_b32 v[2:3], v1
	flat_store_b32 v[11:12], v10 offset:2048
	s_branch .LBB258_197
.LBB258_68:
	s_sub_i32 s15, s8, s20
                                        ; implicit-def: $vgpr5_vgpr6
	s_delay_alu instid0(SALU_CYCLE_1) | instskip(NEXT) | instid1(VALU_DEP_1)
	v_cmp_gt_u32_e64 s0, s15, v0
	s_and_saveexec_b32 s1, s0
	s_cbranch_execz .LBB258_70
; %bb.69:
	v_lshlrev_b32_e32 v1, 3, v0
	s_delay_alu instid0(VALU_DEP_1) | instskip(NEXT) | instid1(VALU_DEP_1)
	v_add_co_u32 v1, s2, s25, v1
	v_add_co_ci_u32_e64 v2, null, s26, 0, s2
	flat_load_b64 v[5:6], v[1:2]
.LBB258_70:
	s_or_b32 exec_lo, exec_lo, s1
	v_or_b32_e32 v1, 0x100, v0
                                        ; implicit-def: $vgpr11_vgpr12
	s_delay_alu instid0(VALU_DEP_1) | instskip(NEXT) | instid1(VALU_DEP_1)
	v_cmp_gt_u32_e64 s1, s15, v1
	s_and_saveexec_b32 s2, s1
	s_cbranch_execz .LBB258_72
; %bb.71:
	v_lshlrev_b32_e32 v1, 3, v0
	s_delay_alu instid0(VALU_DEP_1) | instskip(NEXT) | instid1(VALU_DEP_1)
	v_add_co_u32 v1, s3, s25, v1
	v_add_co_ci_u32_e64 v2, null, s26, 0, s3
	flat_load_b64 v[11:12], v[1:2] offset:2048
.LBB258_72:
	s_or_b32 exec_lo, exec_lo, s2
	v_or_b32_e32 v1, 0x200, v0
                                        ; implicit-def: $vgpr15_vgpr16
	s_delay_alu instid0(VALU_DEP_1) | instskip(NEXT) | instid1(VALU_DEP_1)
	v_cmp_gt_u32_e64 s2, s15, v1
	s_and_saveexec_b32 s3, s2
	s_cbranch_execz .LBB258_74
; %bb.73:
	v_lshlrev_b32_e32 v1, 3, v1
	s_delay_alu instid0(VALU_DEP_1) | instskip(NEXT) | instid1(VALU_DEP_1)
	v_add_co_u32 v1, s4, s25, v1
	v_add_co_ci_u32_e64 v2, null, s26, 0, s4
	flat_load_b64 v[15:16], v[1:2]
.LBB258_74:
	s_or_b32 exec_lo, exec_lo, s3
	v_or_b32_e32 v1, 0x300, v0
                                        ; implicit-def: $vgpr19_vgpr20
	s_delay_alu instid0(VALU_DEP_1) | instskip(NEXT) | instid1(VALU_DEP_1)
	v_cmp_gt_u32_e64 s3, s15, v1
	s_and_saveexec_b32 s4, s3
	s_cbranch_execz .LBB258_76
; %bb.75:
	v_lshlrev_b32_e32 v1, 3, v1
	s_delay_alu instid0(VALU_DEP_1) | instskip(NEXT) | instid1(VALU_DEP_1)
	v_add_co_u32 v1, s5, s25, v1
	v_add_co_ci_u32_e64 v2, null, s26, 0, s5
	flat_load_b64 v[19:20], v[1:2]
.LBB258_76:
	s_or_b32 exec_lo, exec_lo, s4
	v_or_b32_e32 v1, 0x400, v0
                                        ; implicit-def: $vgpr23_vgpr24
	s_delay_alu instid0(VALU_DEP_1) | instskip(NEXT) | instid1(VALU_DEP_1)
	v_cmp_gt_u32_e64 s4, s15, v1
	s_and_saveexec_b32 s5, s4
	s_cbranch_execz .LBB258_78
; %bb.77:
	v_lshlrev_b32_e32 v1, 3, v1
	s_delay_alu instid0(VALU_DEP_1) | instskip(NEXT) | instid1(VALU_DEP_1)
	v_add_co_u32 v1, s6, s25, v1
	v_add_co_ci_u32_e64 v2, null, s26, 0, s6
	flat_load_b64 v[23:24], v[1:2]
.LBB258_78:
	s_or_b32 exec_lo, exec_lo, s5
	v_or_b32_e32 v1, 0x500, v0
                                        ; implicit-def: $vgpr27_vgpr28
	s_delay_alu instid0(VALU_DEP_1) | instskip(NEXT) | instid1(VALU_DEP_1)
	v_cmp_gt_u32_e64 s5, s15, v1
	s_and_saveexec_b32 s6, s5
	s_cbranch_execz .LBB258_80
; %bb.79:
	v_lshlrev_b32_e32 v1, 3, v1
	s_delay_alu instid0(VALU_DEP_1) | instskip(NEXT) | instid1(VALU_DEP_1)
	v_add_co_u32 v1, s7, s25, v1
	v_add_co_ci_u32_e64 v2, null, s26, 0, s7
	flat_load_b64 v[27:28], v[1:2]
.LBB258_80:
	s_or_b32 exec_lo, exec_lo, s6
	v_or_b32_e32 v1, 0x600, v0
                                        ; implicit-def: $vgpr31_vgpr32
	s_delay_alu instid0(VALU_DEP_1) | instskip(NEXT) | instid1(VALU_DEP_1)
	v_cmp_gt_u32_e64 s6, s15, v1
	s_and_saveexec_b32 s7, s6
	s_cbranch_execz .LBB258_82
; %bb.81:
	v_lshlrev_b32_e32 v1, 3, v1
	s_delay_alu instid0(VALU_DEP_1) | instskip(NEXT) | instid1(VALU_DEP_1)
	v_add_co_u32 v1, s8, s25, v1
	v_add_co_ci_u32_e64 v2, null, s26, 0, s8
	flat_load_b64 v[31:32], v[1:2]
.LBB258_82:
	s_or_b32 exec_lo, exec_lo, s7
	v_or_b32_e32 v1, 0x700, v0
                                        ; implicit-def: $vgpr33_vgpr34
	s_delay_alu instid0(VALU_DEP_1) | instskip(NEXT) | instid1(VALU_DEP_1)
	v_cmp_gt_u32_e64 s7, s15, v1
	s_and_saveexec_b32 s8, s7
	s_cbranch_execz .LBB258_84
; %bb.83:
	v_lshlrev_b32_e32 v1, 3, v1
	s_delay_alu instid0(VALU_DEP_1) | instskip(NEXT) | instid1(VALU_DEP_1)
	v_add_co_u32 v1, s9, s25, v1
	v_add_co_ci_u32_e64 v2, null, s26, 0, s9
	flat_load_b64 v[33:34], v[1:2]
.LBB258_84:
	s_or_b32 exec_lo, exec_lo, s8
	v_or_b32_e32 v1, 0x800, v0
                                        ; implicit-def: $vgpr29_vgpr30
	s_delay_alu instid0(VALU_DEP_1) | instskip(NEXT) | instid1(VALU_DEP_1)
	v_cmp_gt_u32_e64 s8, s15, v1
	s_and_saveexec_b32 s9, s8
	s_cbranch_execz .LBB258_86
; %bb.85:
	v_lshlrev_b32_e32 v1, 3, v1
	s_delay_alu instid0(VALU_DEP_1) | instskip(NEXT) | instid1(VALU_DEP_1)
	v_add_co_u32 v1, s10, s25, v1
	v_add_co_ci_u32_e64 v2, null, s26, 0, s10
	flat_load_b64 v[29:30], v[1:2]
.LBB258_86:
	s_or_b32 exec_lo, exec_lo, s9
	v_or_b32_e32 v1, 0x900, v0
                                        ; implicit-def: $vgpr25_vgpr26
	s_delay_alu instid0(VALU_DEP_1) | instskip(NEXT) | instid1(VALU_DEP_1)
	v_cmp_gt_u32_e64 s9, s15, v1
	s_and_saveexec_b32 s10, s9
	s_cbranch_execz .LBB258_88
; %bb.87:
	v_lshlrev_b32_e32 v1, 3, v1
	s_delay_alu instid0(VALU_DEP_1) | instskip(NEXT) | instid1(VALU_DEP_1)
	v_add_co_u32 v1, s11, s25, v1
	v_add_co_ci_u32_e64 v2, null, s26, 0, s11
	flat_load_b64 v[25:26], v[1:2]
.LBB258_88:
	s_or_b32 exec_lo, exec_lo, s10
	v_or_b32_e32 v1, 0xa00, v0
                                        ; implicit-def: $vgpr21_vgpr22
	s_delay_alu instid0(VALU_DEP_1) | instskip(NEXT) | instid1(VALU_DEP_1)
	v_cmp_gt_u32_e64 s10, s15, v1
	s_and_saveexec_b32 s11, s10
	s_cbranch_execz .LBB258_90
; %bb.89:
	v_lshlrev_b32_e32 v1, 3, v1
	s_delay_alu instid0(VALU_DEP_1) | instskip(NEXT) | instid1(VALU_DEP_1)
	v_add_co_u32 v1, s12, s25, v1
	v_add_co_ci_u32_e64 v2, null, s26, 0, s12
	flat_load_b64 v[21:22], v[1:2]
.LBB258_90:
	s_or_b32 exec_lo, exec_lo, s11
	v_or_b32_e32 v1, 0xb00, v0
                                        ; implicit-def: $vgpr17_vgpr18
	s_delay_alu instid0(VALU_DEP_1) | instskip(NEXT) | instid1(VALU_DEP_1)
	v_cmp_gt_u32_e64 s11, s15, v1
	s_and_saveexec_b32 s12, s11
	s_cbranch_execz .LBB258_92
; %bb.91:
	v_lshlrev_b32_e32 v1, 3, v1
	s_delay_alu instid0(VALU_DEP_1) | instskip(NEXT) | instid1(VALU_DEP_1)
	v_add_co_u32 v1, s13, s25, v1
	v_add_co_ci_u32_e64 v2, null, s26, 0, s13
	flat_load_b64 v[17:18], v[1:2]
.LBB258_92:
	s_or_b32 exec_lo, exec_lo, s12
	v_or_b32_e32 v1, 0xc00, v0
                                        ; implicit-def: $vgpr13_vgpr14
	s_delay_alu instid0(VALU_DEP_1) | instskip(NEXT) | instid1(VALU_DEP_1)
	v_cmp_gt_u32_e64 s12, s15, v1
	s_and_saveexec_b32 s13, s12
	s_cbranch_execz .LBB258_94
; %bb.93:
	v_lshlrev_b32_e32 v1, 3, v1
	s_delay_alu instid0(VALU_DEP_1) | instskip(NEXT) | instid1(VALU_DEP_1)
	v_add_co_u32 v1, s14, s25, v1
	v_add_co_ci_u32_e64 v2, null, s26, 0, s14
	flat_load_b64 v[13:14], v[1:2]
.LBB258_94:
	s_or_b32 exec_lo, exec_lo, s13
	v_or_b32_e32 v1, 0xd00, v0
                                        ; implicit-def: $vgpr9_vgpr10
	s_delay_alu instid0(VALU_DEP_1) | instskip(NEXT) | instid1(VALU_DEP_1)
	v_cmp_gt_u32_e64 s13, s15, v1
	s_and_saveexec_b32 s14, s13
	s_cbranch_execz .LBB258_96
; %bb.95:
	v_lshlrev_b32_e32 v1, 3, v1
	s_delay_alu instid0(VALU_DEP_1) | instskip(NEXT) | instid1(VALU_DEP_1)
	v_add_co_u32 v1, s24, s25, v1
	v_add_co_ci_u32_e64 v2, null, s26, 0, s24
	flat_load_b64 v[9:10], v[1:2]
.LBB258_96:
	s_or_b32 exec_lo, exec_lo, s14
	v_or_b32_e32 v1, 0xe00, v0
                                        ; implicit-def: $vgpr7_vgpr8
	s_delay_alu instid0(VALU_DEP_1) | instskip(NEXT) | instid1(VALU_DEP_1)
	v_cmp_gt_u32_e64 s14, s15, v1
	s_and_saveexec_b32 s24, s14
	s_cbranch_execz .LBB258_98
; %bb.97:
	v_lshlrev_b32_e32 v1, 3, v1
	s_delay_alu instid0(VALU_DEP_1) | instskip(NEXT) | instid1(VALU_DEP_1)
	v_add_co_u32 v1, s27, s25, v1
	v_add_co_ci_u32_e64 v2, null, s26, 0, s27
	flat_load_b64 v[7:8], v[1:2]
.LBB258_98:
	s_or_b32 exec_lo, exec_lo, s24
	v_or_b32_e32 v1, 0xf00, v0
                                        ; implicit-def: $vgpr3_vgpr4
	s_delay_alu instid0(VALU_DEP_1) | instskip(NEXT) | instid1(VALU_DEP_1)
	v_cmp_gt_u32_e64 s24, s15, v1
	s_and_saveexec_b32 s15, s24
	s_cbranch_execz .LBB258_100
; %bb.99:
	v_lshlrev_b32_e32 v1, 3, v1
	s_delay_alu instid0(VALU_DEP_1) | instskip(NEXT) | instid1(VALU_DEP_1)
	v_add_co_u32 v1, s25, s25, v1
	v_add_co_ci_u32_e64 v2, null, s26, 0, s25
	flat_load_b64 v[3:4], v[1:2]
.LBB258_100:
	s_or_b32 exec_lo, exec_lo, s15
	s_cmp_lg_u64 s[18:19], 0
                                        ; implicit-def: $vgpr1
	s_cselect_b32 s25, -1, 0
	s_and_saveexec_b32 s26, s0
	s_cbranch_execz .LBB258_105
; %bb.101:
	v_mov_b32_e32 v1, 0
	v_mov_b32_e32 v2, 0
	s_and_not1_b32 vcc_lo, exec_lo, s25
	s_cbranch_vccnz .LBB258_105
; %bb.102:
	v_dual_mov_b32 v36, s19 :: v_dual_mov_b32 v35, s18
	s_mov_b32 s27, 0
	s_set_inst_prefetch_distance 0x1
	.p2align	6
.LBB258_103:                            ; =>This Inner Loop Header: Depth=1
	s_delay_alu instid0(VALU_DEP_1) | instskip(NEXT) | instid1(VALU_DEP_2)
	v_sub_co_u32 v37, vcc_lo, v35, v1
	v_sub_co_ci_u32_e32 v38, vcc_lo, v36, v2, vcc_lo
	s_delay_alu instid0(VALU_DEP_1) | instskip(SKIP_1) | instid1(VALU_DEP_2)
	v_lshrrev_b64 v[39:40], 1, v[37:38]
	v_lshrrev_b64 v[37:38], 6, v[37:38]
	v_add_co_u32 v39, vcc_lo, v39, v1
	s_delay_alu instid0(VALU_DEP_3) | instskip(NEXT) | instid1(VALU_DEP_2)
	v_add_co_ci_u32_e32 v40, vcc_lo, v40, v2, vcc_lo
	v_add_co_u32 v37, vcc_lo, v39, v37
	s_delay_alu instid0(VALU_DEP_2) | instskip(NEXT) | instid1(VALU_DEP_1)
	v_add_co_ci_u32_e32 v38, vcc_lo, v40, v38, vcc_lo
	v_lshlrev_b64 v[39:40], 3, v[37:38]
	s_delay_alu instid0(VALU_DEP_1) | instskip(NEXT) | instid1(VALU_DEP_2)
	v_add_co_u32 v39, vcc_lo, s16, v39
	v_add_co_ci_u32_e32 v40, vcc_lo, s17, v40, vcc_lo
	global_load_b64 v[39:40], v[39:40], off
	s_waitcnt vmcnt(0) lgkmcnt(0)
	v_cmp_lt_f64_e32 vcc_lo, v[39:40], v[5:6]
	v_add_co_u32 v39, s15, v37, 1
	s_delay_alu instid0(VALU_DEP_1) | instskip(SKIP_1) | instid1(VALU_DEP_2)
	v_add_co_ci_u32_e64 v40, s15, 0, v38, s15
	v_dual_cndmask_b32 v36, v38, v36 :: v_dual_cndmask_b32 v35, v37, v35
	v_dual_cndmask_b32 v2, v2, v40 :: v_dual_cndmask_b32 v1, v1, v39
	s_delay_alu instid0(VALU_DEP_1) | instskip(SKIP_1) | instid1(SALU_CYCLE_1)
	v_cmp_ge_u64_e32 vcc_lo, v[1:2], v[35:36]
	s_or_b32 s27, vcc_lo, s27
	s_and_not1_b32 exec_lo, exec_lo, s27
	s_cbranch_execnz .LBB258_103
; %bb.104:
	s_set_inst_prefetch_distance 0x2
	s_or_b32 exec_lo, exec_lo, s27
.LBB258_105:
	s_delay_alu instid0(SALU_CYCLE_1)
	s_or_b32 exec_lo, exec_lo, s26
                                        ; implicit-def: $vgpr5
	s_and_saveexec_b32 s26, s1
	s_cbranch_execz .LBB258_110
; %bb.106:
	s_waitcnt vmcnt(0) lgkmcnt(0)
	v_mov_b32_e32 v5, 0
	v_mov_b32_e32 v6, 0
	s_and_not1_b32 vcc_lo, exec_lo, s25
	s_cbranch_vccnz .LBB258_110
; %bb.107:
	v_dual_mov_b32 v36, s19 :: v_dual_mov_b32 v35, s18
	s_mov_b32 s27, 0
	s_set_inst_prefetch_distance 0x1
	.p2align	6
.LBB258_108:                            ; =>This Inner Loop Header: Depth=1
	s_delay_alu instid0(VALU_DEP_1) | instskip(NEXT) | instid1(VALU_DEP_2)
	v_sub_co_u32 v37, vcc_lo, v35, v5
	v_sub_co_ci_u32_e32 v38, vcc_lo, v36, v6, vcc_lo
	s_delay_alu instid0(VALU_DEP_1) | instskip(SKIP_1) | instid1(VALU_DEP_2)
	v_lshrrev_b64 v[39:40], 1, v[37:38]
	v_lshrrev_b64 v[37:38], 6, v[37:38]
	v_add_co_u32 v2, vcc_lo, v39, v5
	s_delay_alu instid0(VALU_DEP_3) | instskip(NEXT) | instid1(VALU_DEP_2)
	v_add_co_ci_u32_e32 v39, vcc_lo, v40, v6, vcc_lo
	v_add_co_u32 v37, vcc_lo, v2, v37
	s_delay_alu instid0(VALU_DEP_2) | instskip(NEXT) | instid1(VALU_DEP_2)
	v_add_co_ci_u32_e32 v38, vcc_lo, v39, v38, vcc_lo
	v_add_co_u32 v2, s15, v37, 1
	s_delay_alu instid0(VALU_DEP_2) | instskip(NEXT) | instid1(VALU_DEP_1)
	v_lshlrev_b64 v[39:40], 3, v[37:38]
	v_add_co_u32 v39, vcc_lo, s16, v39
	s_delay_alu instid0(VALU_DEP_2)
	v_add_co_ci_u32_e32 v40, vcc_lo, s17, v40, vcc_lo
	global_load_b64 v[39:40], v[39:40], off
	s_waitcnt vmcnt(0)
	v_cmp_lt_f64_e32 vcc_lo, v[39:40], v[11:12]
	v_add_co_ci_u32_e64 v39, s15, 0, v38, s15
	v_dual_cndmask_b32 v36, v38, v36 :: v_dual_cndmask_b32 v35, v37, v35
	s_delay_alu instid0(VALU_DEP_2) | instskip(NEXT) | instid1(VALU_DEP_1)
	v_dual_cndmask_b32 v6, v6, v39 :: v_dual_cndmask_b32 v5, v5, v2
	v_cmp_ge_u64_e32 vcc_lo, v[5:6], v[35:36]
	s_or_b32 s27, vcc_lo, s27
	s_delay_alu instid0(SALU_CYCLE_1)
	s_and_not1_b32 exec_lo, exec_lo, s27
	s_cbranch_execnz .LBB258_108
; %bb.109:
	s_set_inst_prefetch_distance 0x2
	s_or_b32 exec_lo, exec_lo, s27
.LBB258_110:
	s_delay_alu instid0(SALU_CYCLE_1)
	s_or_b32 exec_lo, exec_lo, s26
                                        ; implicit-def: $vgpr11
	s_and_saveexec_b32 s26, s2
	s_cbranch_execz .LBB258_115
; %bb.111:
	s_waitcnt vmcnt(0) lgkmcnt(0)
	v_mov_b32_e32 v11, 0
	v_mov_b32_e32 v12, 0
	s_and_not1_b32 vcc_lo, exec_lo, s25
	s_cbranch_vccnz .LBB258_115
; %bb.112:
	v_dual_mov_b32 v36, s19 :: v_dual_mov_b32 v35, s18
	s_mov_b32 s27, 0
	s_set_inst_prefetch_distance 0x1
	.p2align	6
.LBB258_113:                            ; =>This Inner Loop Header: Depth=1
	s_delay_alu instid0(VALU_DEP_1) | instskip(NEXT) | instid1(VALU_DEP_2)
	v_sub_co_u32 v37, vcc_lo, v35, v11
	v_sub_co_ci_u32_e32 v38, vcc_lo, v36, v12, vcc_lo
	s_delay_alu instid0(VALU_DEP_1) | instskip(SKIP_1) | instid1(VALU_DEP_2)
	v_lshrrev_b64 v[39:40], 1, v[37:38]
	v_lshrrev_b64 v[37:38], 6, v[37:38]
	v_add_co_u32 v2, vcc_lo, v39, v11
	s_delay_alu instid0(VALU_DEP_3) | instskip(NEXT) | instid1(VALU_DEP_2)
	v_add_co_ci_u32_e32 v6, vcc_lo, v40, v12, vcc_lo
	v_add_co_u32 v37, vcc_lo, v2, v37
	s_delay_alu instid0(VALU_DEP_2) | instskip(NEXT) | instid1(VALU_DEP_2)
	v_add_co_ci_u32_e32 v38, vcc_lo, v6, v38, vcc_lo
	v_add_co_u32 v2, s15, v37, 1
	s_delay_alu instid0(VALU_DEP_2) | instskip(SKIP_1) | instid1(VALU_DEP_2)
	v_lshlrev_b64 v[39:40], 3, v[37:38]
	v_add_co_ci_u32_e64 v6, s15, 0, v38, s15
	v_add_co_u32 v39, vcc_lo, s16, v39
	s_delay_alu instid0(VALU_DEP_3)
	v_add_co_ci_u32_e32 v40, vcc_lo, s17, v40, vcc_lo
	global_load_b64 v[39:40], v[39:40], off
	s_waitcnt vmcnt(0)
	v_cmp_lt_f64_e32 vcc_lo, v[39:40], v[15:16]
	v_dual_cndmask_b32 v36, v38, v36 :: v_dual_cndmask_b32 v35, v37, v35
	v_cndmask_b32_e32 v12, v12, v6, vcc_lo
	v_cndmask_b32_e32 v11, v11, v2, vcc_lo
	s_delay_alu instid0(VALU_DEP_1) | instskip(SKIP_1) | instid1(SALU_CYCLE_1)
	v_cmp_ge_u64_e32 vcc_lo, v[11:12], v[35:36]
	s_or_b32 s27, vcc_lo, s27
	s_and_not1_b32 exec_lo, exec_lo, s27
	s_cbranch_execnz .LBB258_113
; %bb.114:
	s_set_inst_prefetch_distance 0x2
	s_or_b32 exec_lo, exec_lo, s27
.LBB258_115:
	s_delay_alu instid0(SALU_CYCLE_1)
	s_or_b32 exec_lo, exec_lo, s26
                                        ; implicit-def: $vgpr15
	s_and_saveexec_b32 s26, s3
	s_cbranch_execz .LBB258_120
; %bb.116:
	s_waitcnt vmcnt(0) lgkmcnt(0)
	v_mov_b32_e32 v15, 0
	v_mov_b32_e32 v16, 0
	s_and_not1_b32 vcc_lo, exec_lo, s25
	s_cbranch_vccnz .LBB258_120
; %bb.117:
	v_dual_mov_b32 v36, s19 :: v_dual_mov_b32 v35, s18
	s_mov_b32 s27, 0
	s_set_inst_prefetch_distance 0x1
	.p2align	6
.LBB258_118:                            ; =>This Inner Loop Header: Depth=1
	s_delay_alu instid0(VALU_DEP_1) | instskip(NEXT) | instid1(VALU_DEP_2)
	v_sub_co_u32 v37, vcc_lo, v35, v15
	v_sub_co_ci_u32_e32 v38, vcc_lo, v36, v16, vcc_lo
	s_delay_alu instid0(VALU_DEP_1) | instskip(SKIP_1) | instid1(VALU_DEP_2)
	v_lshrrev_b64 v[39:40], 1, v[37:38]
	v_lshrrev_b64 v[37:38], 6, v[37:38]
	v_add_co_u32 v2, vcc_lo, v39, v15
	s_delay_alu instid0(VALU_DEP_3) | instskip(NEXT) | instid1(VALU_DEP_2)
	v_add_co_ci_u32_e32 v6, vcc_lo, v40, v16, vcc_lo
	v_add_co_u32 v37, vcc_lo, v2, v37
	s_delay_alu instid0(VALU_DEP_2) | instskip(NEXT) | instid1(VALU_DEP_2)
	v_add_co_ci_u32_e32 v38, vcc_lo, v6, v38, vcc_lo
	v_add_co_u32 v2, s15, v37, 1
	s_delay_alu instid0(VALU_DEP_2) | instskip(SKIP_1) | instid1(VALU_DEP_2)
	v_lshlrev_b64 v[39:40], 3, v[37:38]
	v_add_co_ci_u32_e64 v6, s15, 0, v38, s15
	v_add_co_u32 v39, vcc_lo, s16, v39
	s_delay_alu instid0(VALU_DEP_3)
	v_add_co_ci_u32_e32 v40, vcc_lo, s17, v40, vcc_lo
	global_load_b64 v[39:40], v[39:40], off
	s_waitcnt vmcnt(0)
	v_cmp_lt_f64_e32 vcc_lo, v[39:40], v[19:20]
	v_dual_cndmask_b32 v36, v38, v36 :: v_dual_cndmask_b32 v35, v37, v35
	v_cndmask_b32_e32 v16, v16, v6, vcc_lo
	v_cndmask_b32_e32 v15, v15, v2, vcc_lo
	s_delay_alu instid0(VALU_DEP_1) | instskip(SKIP_1) | instid1(SALU_CYCLE_1)
	v_cmp_ge_u64_e32 vcc_lo, v[15:16], v[35:36]
	s_or_b32 s27, vcc_lo, s27
	s_and_not1_b32 exec_lo, exec_lo, s27
	s_cbranch_execnz .LBB258_118
; %bb.119:
	s_set_inst_prefetch_distance 0x2
	s_or_b32 exec_lo, exec_lo, s27
.LBB258_120:
	s_delay_alu instid0(SALU_CYCLE_1)
	s_or_b32 exec_lo, exec_lo, s26
                                        ; implicit-def: $vgpr19
	s_and_saveexec_b32 s26, s4
	s_cbranch_execz .LBB258_125
; %bb.121:
	s_waitcnt vmcnt(0) lgkmcnt(0)
	v_mov_b32_e32 v19, 0
	v_mov_b32_e32 v20, 0
	s_and_not1_b32 vcc_lo, exec_lo, s25
	s_cbranch_vccnz .LBB258_125
; %bb.122:
	v_dual_mov_b32 v36, s19 :: v_dual_mov_b32 v35, s18
	s_mov_b32 s27, 0
	s_set_inst_prefetch_distance 0x1
	.p2align	6
.LBB258_123:                            ; =>This Inner Loop Header: Depth=1
	s_delay_alu instid0(VALU_DEP_1) | instskip(NEXT) | instid1(VALU_DEP_2)
	v_sub_co_u32 v37, vcc_lo, v35, v19
	v_sub_co_ci_u32_e32 v38, vcc_lo, v36, v20, vcc_lo
	s_delay_alu instid0(VALU_DEP_1) | instskip(SKIP_1) | instid1(VALU_DEP_2)
	v_lshrrev_b64 v[39:40], 1, v[37:38]
	v_lshrrev_b64 v[37:38], 6, v[37:38]
	v_add_co_u32 v2, vcc_lo, v39, v19
	s_delay_alu instid0(VALU_DEP_3) | instskip(NEXT) | instid1(VALU_DEP_2)
	v_add_co_ci_u32_e32 v6, vcc_lo, v40, v20, vcc_lo
	v_add_co_u32 v37, vcc_lo, v2, v37
	s_delay_alu instid0(VALU_DEP_2) | instskip(NEXT) | instid1(VALU_DEP_2)
	v_add_co_ci_u32_e32 v38, vcc_lo, v6, v38, vcc_lo
	v_add_co_u32 v2, s15, v37, 1
	s_delay_alu instid0(VALU_DEP_2) | instskip(SKIP_1) | instid1(VALU_DEP_2)
	v_lshlrev_b64 v[39:40], 3, v[37:38]
	v_add_co_ci_u32_e64 v6, s15, 0, v38, s15
	v_add_co_u32 v39, vcc_lo, s16, v39
	s_delay_alu instid0(VALU_DEP_3)
	v_add_co_ci_u32_e32 v40, vcc_lo, s17, v40, vcc_lo
	global_load_b64 v[39:40], v[39:40], off
	s_waitcnt vmcnt(0)
	v_cmp_lt_f64_e32 vcc_lo, v[39:40], v[23:24]
	v_dual_cndmask_b32 v36, v38, v36 :: v_dual_cndmask_b32 v35, v37, v35
	v_cndmask_b32_e32 v20, v20, v6, vcc_lo
	v_cndmask_b32_e32 v19, v19, v2, vcc_lo
	s_delay_alu instid0(VALU_DEP_1) | instskip(SKIP_1) | instid1(SALU_CYCLE_1)
	v_cmp_ge_u64_e32 vcc_lo, v[19:20], v[35:36]
	s_or_b32 s27, vcc_lo, s27
	s_and_not1_b32 exec_lo, exec_lo, s27
	s_cbranch_execnz .LBB258_123
; %bb.124:
	s_set_inst_prefetch_distance 0x2
	s_or_b32 exec_lo, exec_lo, s27
.LBB258_125:
	s_delay_alu instid0(SALU_CYCLE_1)
	s_or_b32 exec_lo, exec_lo, s26
                                        ; implicit-def: $vgpr23
	s_and_saveexec_b32 s26, s5
	s_cbranch_execz .LBB258_130
; %bb.126:
	s_waitcnt vmcnt(0) lgkmcnt(0)
	v_mov_b32_e32 v23, 0
	v_mov_b32_e32 v24, 0
	s_and_not1_b32 vcc_lo, exec_lo, s25
	s_cbranch_vccnz .LBB258_130
; %bb.127:
	v_dual_mov_b32 v36, s19 :: v_dual_mov_b32 v35, s18
	s_mov_b32 s27, 0
	s_set_inst_prefetch_distance 0x1
	.p2align	6
.LBB258_128:                            ; =>This Inner Loop Header: Depth=1
	s_delay_alu instid0(VALU_DEP_1) | instskip(NEXT) | instid1(VALU_DEP_2)
	v_sub_co_u32 v37, vcc_lo, v35, v23
	v_sub_co_ci_u32_e32 v38, vcc_lo, v36, v24, vcc_lo
	s_delay_alu instid0(VALU_DEP_1) | instskip(SKIP_1) | instid1(VALU_DEP_2)
	v_lshrrev_b64 v[39:40], 1, v[37:38]
	v_lshrrev_b64 v[37:38], 6, v[37:38]
	v_add_co_u32 v2, vcc_lo, v39, v23
	s_delay_alu instid0(VALU_DEP_3) | instskip(NEXT) | instid1(VALU_DEP_2)
	v_add_co_ci_u32_e32 v6, vcc_lo, v40, v24, vcc_lo
	v_add_co_u32 v37, vcc_lo, v2, v37
	s_delay_alu instid0(VALU_DEP_2) | instskip(NEXT) | instid1(VALU_DEP_2)
	v_add_co_ci_u32_e32 v38, vcc_lo, v6, v38, vcc_lo
	v_add_co_u32 v2, s15, v37, 1
	s_delay_alu instid0(VALU_DEP_2) | instskip(SKIP_1) | instid1(VALU_DEP_2)
	v_lshlrev_b64 v[39:40], 3, v[37:38]
	v_add_co_ci_u32_e64 v6, s15, 0, v38, s15
	v_add_co_u32 v39, vcc_lo, s16, v39
	s_delay_alu instid0(VALU_DEP_3)
	v_add_co_ci_u32_e32 v40, vcc_lo, s17, v40, vcc_lo
	global_load_b64 v[39:40], v[39:40], off
	s_waitcnt vmcnt(0)
	v_cmp_lt_f64_e32 vcc_lo, v[39:40], v[27:28]
	v_dual_cndmask_b32 v36, v38, v36 :: v_dual_cndmask_b32 v35, v37, v35
	v_cndmask_b32_e32 v24, v24, v6, vcc_lo
	v_cndmask_b32_e32 v23, v23, v2, vcc_lo
	s_delay_alu instid0(VALU_DEP_1) | instskip(SKIP_1) | instid1(SALU_CYCLE_1)
	v_cmp_ge_u64_e32 vcc_lo, v[23:24], v[35:36]
	s_or_b32 s27, vcc_lo, s27
	s_and_not1_b32 exec_lo, exec_lo, s27
	s_cbranch_execnz .LBB258_128
; %bb.129:
	s_set_inst_prefetch_distance 0x2
	s_or_b32 exec_lo, exec_lo, s27
.LBB258_130:
	s_delay_alu instid0(SALU_CYCLE_1)
	s_or_b32 exec_lo, exec_lo, s26
                                        ; implicit-def: $vgpr27
	s_and_saveexec_b32 s26, s6
	s_cbranch_execz .LBB258_135
; %bb.131:
	s_waitcnt vmcnt(0) lgkmcnt(0)
	v_mov_b32_e32 v27, 0
	v_mov_b32_e32 v28, 0
	s_and_not1_b32 vcc_lo, exec_lo, s25
	s_cbranch_vccnz .LBB258_135
; %bb.132:
	v_dual_mov_b32 v36, s19 :: v_dual_mov_b32 v35, s18
	s_mov_b32 s27, 0
	s_set_inst_prefetch_distance 0x1
	.p2align	6
.LBB258_133:                            ; =>This Inner Loop Header: Depth=1
	s_delay_alu instid0(VALU_DEP_1) | instskip(NEXT) | instid1(VALU_DEP_2)
	v_sub_co_u32 v37, vcc_lo, v35, v27
	v_sub_co_ci_u32_e32 v38, vcc_lo, v36, v28, vcc_lo
	s_delay_alu instid0(VALU_DEP_1) | instskip(SKIP_1) | instid1(VALU_DEP_2)
	v_lshrrev_b64 v[39:40], 1, v[37:38]
	v_lshrrev_b64 v[37:38], 6, v[37:38]
	v_add_co_u32 v2, vcc_lo, v39, v27
	s_delay_alu instid0(VALU_DEP_3) | instskip(NEXT) | instid1(VALU_DEP_2)
	v_add_co_ci_u32_e32 v6, vcc_lo, v40, v28, vcc_lo
	v_add_co_u32 v37, vcc_lo, v2, v37
	s_delay_alu instid0(VALU_DEP_2) | instskip(NEXT) | instid1(VALU_DEP_2)
	v_add_co_ci_u32_e32 v38, vcc_lo, v6, v38, vcc_lo
	v_add_co_u32 v2, s15, v37, 1
	s_delay_alu instid0(VALU_DEP_2) | instskip(SKIP_1) | instid1(VALU_DEP_2)
	v_lshlrev_b64 v[39:40], 3, v[37:38]
	v_add_co_ci_u32_e64 v6, s15, 0, v38, s15
	v_add_co_u32 v39, vcc_lo, s16, v39
	s_delay_alu instid0(VALU_DEP_3)
	v_add_co_ci_u32_e32 v40, vcc_lo, s17, v40, vcc_lo
	global_load_b64 v[39:40], v[39:40], off
	s_waitcnt vmcnt(0)
	v_cmp_lt_f64_e32 vcc_lo, v[39:40], v[31:32]
	v_dual_cndmask_b32 v36, v38, v36 :: v_dual_cndmask_b32 v35, v37, v35
	v_cndmask_b32_e32 v28, v28, v6, vcc_lo
	v_cndmask_b32_e32 v27, v27, v2, vcc_lo
	s_delay_alu instid0(VALU_DEP_1) | instskip(SKIP_1) | instid1(SALU_CYCLE_1)
	v_cmp_ge_u64_e32 vcc_lo, v[27:28], v[35:36]
	s_or_b32 s27, vcc_lo, s27
	s_and_not1_b32 exec_lo, exec_lo, s27
	s_cbranch_execnz .LBB258_133
; %bb.134:
	s_set_inst_prefetch_distance 0x2
	s_or_b32 exec_lo, exec_lo, s27
.LBB258_135:
	s_delay_alu instid0(SALU_CYCLE_1)
	s_or_b32 exec_lo, exec_lo, s26
                                        ; implicit-def: $vgpr31
	s_and_saveexec_b32 s26, s7
	s_cbranch_execz .LBB258_140
; %bb.136:
	s_waitcnt vmcnt(0) lgkmcnt(0)
	v_mov_b32_e32 v31, 0
	v_mov_b32_e32 v32, 0
	s_and_not1_b32 vcc_lo, exec_lo, s25
	s_cbranch_vccnz .LBB258_140
; %bb.137:
	v_dual_mov_b32 v36, s19 :: v_dual_mov_b32 v35, s18
	s_mov_b32 s27, 0
	s_set_inst_prefetch_distance 0x1
	.p2align	6
.LBB258_138:                            ; =>This Inner Loop Header: Depth=1
	s_delay_alu instid0(VALU_DEP_1) | instskip(NEXT) | instid1(VALU_DEP_2)
	v_sub_co_u32 v37, vcc_lo, v35, v31
	v_sub_co_ci_u32_e32 v38, vcc_lo, v36, v32, vcc_lo
	s_delay_alu instid0(VALU_DEP_1) | instskip(SKIP_1) | instid1(VALU_DEP_2)
	v_lshrrev_b64 v[39:40], 1, v[37:38]
	v_lshrrev_b64 v[37:38], 6, v[37:38]
	v_add_co_u32 v2, vcc_lo, v39, v31
	s_delay_alu instid0(VALU_DEP_3) | instskip(NEXT) | instid1(VALU_DEP_2)
	v_add_co_ci_u32_e32 v6, vcc_lo, v40, v32, vcc_lo
	v_add_co_u32 v37, vcc_lo, v2, v37
	s_delay_alu instid0(VALU_DEP_2) | instskip(NEXT) | instid1(VALU_DEP_2)
	v_add_co_ci_u32_e32 v38, vcc_lo, v6, v38, vcc_lo
	v_add_co_u32 v2, s15, v37, 1
	s_delay_alu instid0(VALU_DEP_2) | instskip(SKIP_1) | instid1(VALU_DEP_2)
	v_lshlrev_b64 v[39:40], 3, v[37:38]
	v_add_co_ci_u32_e64 v6, s15, 0, v38, s15
	v_add_co_u32 v39, vcc_lo, s16, v39
	s_delay_alu instid0(VALU_DEP_3)
	v_add_co_ci_u32_e32 v40, vcc_lo, s17, v40, vcc_lo
	global_load_b64 v[39:40], v[39:40], off
	s_waitcnt vmcnt(0)
	v_cmp_lt_f64_e32 vcc_lo, v[39:40], v[33:34]
	v_dual_cndmask_b32 v36, v38, v36 :: v_dual_cndmask_b32 v35, v37, v35
	v_cndmask_b32_e32 v32, v32, v6, vcc_lo
	v_cndmask_b32_e32 v31, v31, v2, vcc_lo
	s_delay_alu instid0(VALU_DEP_1) | instskip(SKIP_1) | instid1(SALU_CYCLE_1)
	v_cmp_ge_u64_e32 vcc_lo, v[31:32], v[35:36]
	s_or_b32 s27, vcc_lo, s27
	s_and_not1_b32 exec_lo, exec_lo, s27
	s_cbranch_execnz .LBB258_138
; %bb.139:
	s_set_inst_prefetch_distance 0x2
	s_or_b32 exec_lo, exec_lo, s27
.LBB258_140:
	s_delay_alu instid0(SALU_CYCLE_1)
	s_or_b32 exec_lo, exec_lo, s26
                                        ; implicit-def: $vgpr32
	s_and_saveexec_b32 s26, s8
	s_cbranch_execz .LBB258_145
; %bb.141:
	s_waitcnt vmcnt(0) lgkmcnt(0)
	v_mov_b32_e32 v32, 0
	v_mov_b32_e32 v33, 0
	s_and_not1_b32 vcc_lo, exec_lo, s25
	s_cbranch_vccnz .LBB258_145
; %bb.142:
	v_dual_mov_b32 v35, s19 :: v_dual_mov_b32 v34, s18
	s_mov_b32 s27, 0
	s_set_inst_prefetch_distance 0x1
	.p2align	6
.LBB258_143:                            ; =>This Inner Loop Header: Depth=1
	s_delay_alu instid0(VALU_DEP_1) | instskip(NEXT) | instid1(VALU_DEP_2)
	v_sub_co_u32 v36, vcc_lo, v34, v32
	v_sub_co_ci_u32_e32 v37, vcc_lo, v35, v33, vcc_lo
	s_delay_alu instid0(VALU_DEP_1) | instskip(SKIP_1) | instid1(VALU_DEP_2)
	v_lshrrev_b64 v[38:39], 1, v[36:37]
	v_lshrrev_b64 v[36:37], 6, v[36:37]
	v_add_co_u32 v2, vcc_lo, v38, v32
	s_delay_alu instid0(VALU_DEP_3) | instskip(NEXT) | instid1(VALU_DEP_2)
	v_add_co_ci_u32_e32 v6, vcc_lo, v39, v33, vcc_lo
	v_add_co_u32 v36, vcc_lo, v2, v36
	s_delay_alu instid0(VALU_DEP_2) | instskip(NEXT) | instid1(VALU_DEP_2)
	v_add_co_ci_u32_e32 v37, vcc_lo, v6, v37, vcc_lo
	v_add_co_u32 v2, s15, v36, 1
	s_delay_alu instid0(VALU_DEP_2) | instskip(SKIP_1) | instid1(VALU_DEP_2)
	v_lshlrev_b64 v[38:39], 3, v[36:37]
	v_add_co_ci_u32_e64 v6, s15, 0, v37, s15
	v_add_co_u32 v38, vcc_lo, s16, v38
	s_delay_alu instid0(VALU_DEP_3)
	v_add_co_ci_u32_e32 v39, vcc_lo, s17, v39, vcc_lo
	global_load_b64 v[38:39], v[38:39], off
	s_waitcnt vmcnt(0)
	v_cmp_lt_f64_e32 vcc_lo, v[38:39], v[29:30]
	v_dual_cndmask_b32 v35, v37, v35 :: v_dual_cndmask_b32 v34, v36, v34
	v_cndmask_b32_e32 v33, v33, v6, vcc_lo
	v_cndmask_b32_e32 v32, v32, v2, vcc_lo
	s_delay_alu instid0(VALU_DEP_1) | instskip(SKIP_1) | instid1(SALU_CYCLE_1)
	v_cmp_ge_u64_e32 vcc_lo, v[32:33], v[34:35]
	s_or_b32 s27, vcc_lo, s27
	s_and_not1_b32 exec_lo, exec_lo, s27
	s_cbranch_execnz .LBB258_143
; %bb.144:
	s_set_inst_prefetch_distance 0x2
	s_or_b32 exec_lo, exec_lo, s27
.LBB258_145:
	s_delay_alu instid0(SALU_CYCLE_1)
	s_or_b32 exec_lo, exec_lo, s26
                                        ; implicit-def: $vgpr28
	s_and_saveexec_b32 s26, s9
	s_cbranch_execz .LBB258_150
; %bb.146:
	s_waitcnt vmcnt(0) lgkmcnt(0)
	v_mov_b32_e32 v28, 0
	v_mov_b32_e32 v29, 0
	s_and_not1_b32 vcc_lo, exec_lo, s25
	s_cbranch_vccnz .LBB258_150
; %bb.147:
	v_dual_mov_b32 v34, s19 :: v_dual_mov_b32 v33, s18
	s_mov_b32 s27, 0
	s_set_inst_prefetch_distance 0x1
	.p2align	6
.LBB258_148:                            ; =>This Inner Loop Header: Depth=1
	s_delay_alu instid0(VALU_DEP_1) | instskip(NEXT) | instid1(VALU_DEP_2)
	v_sub_co_u32 v35, vcc_lo, v33, v28
	v_sub_co_ci_u32_e32 v36, vcc_lo, v34, v29, vcc_lo
	s_delay_alu instid0(VALU_DEP_1) | instskip(SKIP_1) | instid1(VALU_DEP_2)
	v_lshrrev_b64 v[37:38], 1, v[35:36]
	v_lshrrev_b64 v[35:36], 6, v[35:36]
	v_add_co_u32 v2, vcc_lo, v37, v28
	s_delay_alu instid0(VALU_DEP_3) | instskip(NEXT) | instid1(VALU_DEP_2)
	v_add_co_ci_u32_e32 v6, vcc_lo, v38, v29, vcc_lo
	v_add_co_u32 v35, vcc_lo, v2, v35
	s_delay_alu instid0(VALU_DEP_2) | instskip(NEXT) | instid1(VALU_DEP_2)
	v_add_co_ci_u32_e32 v36, vcc_lo, v6, v36, vcc_lo
	v_add_co_u32 v2, s15, v35, 1
	s_delay_alu instid0(VALU_DEP_2) | instskip(SKIP_1) | instid1(VALU_DEP_2)
	v_lshlrev_b64 v[37:38], 3, v[35:36]
	v_add_co_ci_u32_e64 v6, s15, 0, v36, s15
	v_add_co_u32 v37, vcc_lo, s16, v37
	s_delay_alu instid0(VALU_DEP_3)
	v_add_co_ci_u32_e32 v38, vcc_lo, s17, v38, vcc_lo
	global_load_b64 v[37:38], v[37:38], off
	s_waitcnt vmcnt(0)
	v_cmp_lt_f64_e32 vcc_lo, v[37:38], v[25:26]
	v_dual_cndmask_b32 v34, v36, v34 :: v_dual_cndmask_b32 v33, v35, v33
	v_cndmask_b32_e32 v29, v29, v6, vcc_lo
	v_cndmask_b32_e32 v28, v28, v2, vcc_lo
	s_delay_alu instid0(VALU_DEP_1) | instskip(SKIP_1) | instid1(SALU_CYCLE_1)
	v_cmp_ge_u64_e32 vcc_lo, v[28:29], v[33:34]
	s_or_b32 s27, vcc_lo, s27
	s_and_not1_b32 exec_lo, exec_lo, s27
	s_cbranch_execnz .LBB258_148
; %bb.149:
	s_set_inst_prefetch_distance 0x2
	s_or_b32 exec_lo, exec_lo, s27
.LBB258_150:
	s_delay_alu instid0(SALU_CYCLE_1)
	s_or_b32 exec_lo, exec_lo, s26
                                        ; implicit-def: $vgpr24
	s_and_saveexec_b32 s26, s10
	s_cbranch_execz .LBB258_155
; %bb.151:
	s_waitcnt vmcnt(0) lgkmcnt(0)
	v_mov_b32_e32 v24, 0
	v_mov_b32_e32 v25, 0
	s_and_not1_b32 vcc_lo, exec_lo, s25
	s_cbranch_vccnz .LBB258_155
; %bb.152:
	v_dual_mov_b32 v30, s19 :: v_dual_mov_b32 v29, s18
	s_mov_b32 s27, 0
	s_set_inst_prefetch_distance 0x1
	.p2align	6
.LBB258_153:                            ; =>This Inner Loop Header: Depth=1
	s_delay_alu instid0(VALU_DEP_1) | instskip(NEXT) | instid1(VALU_DEP_2)
	v_sub_co_u32 v33, vcc_lo, v29, v24
	v_sub_co_ci_u32_e32 v34, vcc_lo, v30, v25, vcc_lo
	s_delay_alu instid0(VALU_DEP_1) | instskip(SKIP_1) | instid1(VALU_DEP_2)
	v_lshrrev_b64 v[35:36], 1, v[33:34]
	v_lshrrev_b64 v[33:34], 6, v[33:34]
	v_add_co_u32 v2, vcc_lo, v35, v24
	s_delay_alu instid0(VALU_DEP_3) | instskip(NEXT) | instid1(VALU_DEP_2)
	v_add_co_ci_u32_e32 v6, vcc_lo, v36, v25, vcc_lo
	v_add_co_u32 v33, vcc_lo, v2, v33
	s_delay_alu instid0(VALU_DEP_2) | instskip(NEXT) | instid1(VALU_DEP_2)
	v_add_co_ci_u32_e32 v34, vcc_lo, v6, v34, vcc_lo
	v_add_co_u32 v2, s15, v33, 1
	s_delay_alu instid0(VALU_DEP_2) | instskip(SKIP_1) | instid1(VALU_DEP_2)
	v_lshlrev_b64 v[35:36], 3, v[33:34]
	v_add_co_ci_u32_e64 v6, s15, 0, v34, s15
	v_add_co_u32 v35, vcc_lo, s16, v35
	s_delay_alu instid0(VALU_DEP_3)
	v_add_co_ci_u32_e32 v36, vcc_lo, s17, v36, vcc_lo
	global_load_b64 v[35:36], v[35:36], off
	s_waitcnt vmcnt(0)
	v_cmp_lt_f64_e32 vcc_lo, v[35:36], v[21:22]
	v_dual_cndmask_b32 v30, v34, v30 :: v_dual_cndmask_b32 v29, v33, v29
	v_cndmask_b32_e32 v25, v25, v6, vcc_lo
	v_cndmask_b32_e32 v24, v24, v2, vcc_lo
	s_delay_alu instid0(VALU_DEP_1) | instskip(SKIP_1) | instid1(SALU_CYCLE_1)
	v_cmp_ge_u64_e32 vcc_lo, v[24:25], v[29:30]
	s_or_b32 s27, vcc_lo, s27
	s_and_not1_b32 exec_lo, exec_lo, s27
	s_cbranch_execnz .LBB258_153
; %bb.154:
	s_set_inst_prefetch_distance 0x2
	s_or_b32 exec_lo, exec_lo, s27
.LBB258_155:
	s_delay_alu instid0(SALU_CYCLE_1)
	s_or_b32 exec_lo, exec_lo, s26
                                        ; implicit-def: $vgpr20
	s_and_saveexec_b32 s26, s11
	s_cbranch_execz .LBB258_160
; %bb.156:
	s_waitcnt vmcnt(0) lgkmcnt(0)
	v_mov_b32_e32 v20, 0
	v_mov_b32_e32 v21, 0
	s_and_not1_b32 vcc_lo, exec_lo, s25
	s_cbranch_vccnz .LBB258_160
; %bb.157:
	v_dual_mov_b32 v26, s19 :: v_dual_mov_b32 v25, s18
	s_mov_b32 s27, 0
	s_set_inst_prefetch_distance 0x1
	.p2align	6
.LBB258_158:                            ; =>This Inner Loop Header: Depth=1
	s_delay_alu instid0(VALU_DEP_1) | instskip(NEXT) | instid1(VALU_DEP_2)
	v_sub_co_u32 v29, vcc_lo, v25, v20
	v_sub_co_ci_u32_e32 v30, vcc_lo, v26, v21, vcc_lo
	s_delay_alu instid0(VALU_DEP_1) | instskip(SKIP_1) | instid1(VALU_DEP_2)
	v_lshrrev_b64 v[33:34], 1, v[29:30]
	v_lshrrev_b64 v[29:30], 6, v[29:30]
	v_add_co_u32 v2, vcc_lo, v33, v20
	s_delay_alu instid0(VALU_DEP_3) | instskip(NEXT) | instid1(VALU_DEP_2)
	v_add_co_ci_u32_e32 v6, vcc_lo, v34, v21, vcc_lo
	v_add_co_u32 v29, vcc_lo, v2, v29
	s_delay_alu instid0(VALU_DEP_2) | instskip(NEXT) | instid1(VALU_DEP_2)
	v_add_co_ci_u32_e32 v30, vcc_lo, v6, v30, vcc_lo
	v_add_co_u32 v2, s15, v29, 1
	s_delay_alu instid0(VALU_DEP_2) | instskip(SKIP_1) | instid1(VALU_DEP_2)
	v_lshlrev_b64 v[33:34], 3, v[29:30]
	v_add_co_ci_u32_e64 v6, s15, 0, v30, s15
	v_add_co_u32 v33, vcc_lo, s16, v33
	s_delay_alu instid0(VALU_DEP_3)
	v_add_co_ci_u32_e32 v34, vcc_lo, s17, v34, vcc_lo
	global_load_b64 v[33:34], v[33:34], off
	s_waitcnt vmcnt(0)
	v_cmp_lt_f64_e32 vcc_lo, v[33:34], v[17:18]
	v_dual_cndmask_b32 v26, v30, v26 :: v_dual_cndmask_b32 v25, v29, v25
	v_cndmask_b32_e32 v21, v21, v6, vcc_lo
	v_cndmask_b32_e32 v20, v20, v2, vcc_lo
	s_delay_alu instid0(VALU_DEP_1) | instskip(SKIP_1) | instid1(SALU_CYCLE_1)
	v_cmp_ge_u64_e32 vcc_lo, v[20:21], v[25:26]
	s_or_b32 s27, vcc_lo, s27
	s_and_not1_b32 exec_lo, exec_lo, s27
	s_cbranch_execnz .LBB258_158
; %bb.159:
	s_set_inst_prefetch_distance 0x2
	s_or_b32 exec_lo, exec_lo, s27
.LBB258_160:
	s_delay_alu instid0(SALU_CYCLE_1)
	s_or_b32 exec_lo, exec_lo, s26
                                        ; implicit-def: $vgpr16
	s_and_saveexec_b32 s26, s12
	s_cbranch_execz .LBB258_165
; %bb.161:
	s_waitcnt vmcnt(0) lgkmcnt(0)
	v_mov_b32_e32 v16, 0
	v_mov_b32_e32 v17, 0
	s_and_not1_b32 vcc_lo, exec_lo, s25
	s_cbranch_vccnz .LBB258_165
; %bb.162:
	v_dual_mov_b32 v22, s19 :: v_dual_mov_b32 v21, s18
	s_mov_b32 s27, 0
	s_set_inst_prefetch_distance 0x1
	.p2align	6
.LBB258_163:                            ; =>This Inner Loop Header: Depth=1
	s_delay_alu instid0(VALU_DEP_1) | instskip(NEXT) | instid1(VALU_DEP_2)
	v_sub_co_u32 v25, vcc_lo, v21, v16
	v_sub_co_ci_u32_e32 v26, vcc_lo, v22, v17, vcc_lo
	s_delay_alu instid0(VALU_DEP_1) | instskip(SKIP_1) | instid1(VALU_DEP_2)
	v_lshrrev_b64 v[29:30], 1, v[25:26]
	v_lshrrev_b64 v[25:26], 6, v[25:26]
	v_add_co_u32 v2, vcc_lo, v29, v16
	s_delay_alu instid0(VALU_DEP_3) | instskip(NEXT) | instid1(VALU_DEP_2)
	v_add_co_ci_u32_e32 v6, vcc_lo, v30, v17, vcc_lo
	v_add_co_u32 v25, vcc_lo, v2, v25
	s_delay_alu instid0(VALU_DEP_2) | instskip(NEXT) | instid1(VALU_DEP_2)
	v_add_co_ci_u32_e32 v26, vcc_lo, v6, v26, vcc_lo
	v_add_co_u32 v2, s15, v25, 1
	s_delay_alu instid0(VALU_DEP_2) | instskip(SKIP_1) | instid1(VALU_DEP_2)
	v_lshlrev_b64 v[29:30], 3, v[25:26]
	v_add_co_ci_u32_e64 v6, s15, 0, v26, s15
	v_add_co_u32 v29, vcc_lo, s16, v29
	s_delay_alu instid0(VALU_DEP_3)
	v_add_co_ci_u32_e32 v30, vcc_lo, s17, v30, vcc_lo
	global_load_b64 v[29:30], v[29:30], off
	s_waitcnt vmcnt(0)
	v_cmp_lt_f64_e32 vcc_lo, v[29:30], v[13:14]
	v_dual_cndmask_b32 v22, v26, v22 :: v_dual_cndmask_b32 v21, v25, v21
	v_cndmask_b32_e32 v17, v17, v6, vcc_lo
	v_cndmask_b32_e32 v16, v16, v2, vcc_lo
	s_delay_alu instid0(VALU_DEP_1) | instskip(SKIP_1) | instid1(SALU_CYCLE_1)
	v_cmp_ge_u64_e32 vcc_lo, v[16:17], v[21:22]
	s_or_b32 s27, vcc_lo, s27
	s_and_not1_b32 exec_lo, exec_lo, s27
	s_cbranch_execnz .LBB258_163
; %bb.164:
	s_set_inst_prefetch_distance 0x2
	s_or_b32 exec_lo, exec_lo, s27
.LBB258_165:
	s_delay_alu instid0(SALU_CYCLE_1)
	s_or_b32 exec_lo, exec_lo, s26
                                        ; implicit-def: $vgpr12
	s_and_saveexec_b32 s26, s13
	s_cbranch_execz .LBB258_170
; %bb.166:
	s_waitcnt vmcnt(0) lgkmcnt(0)
	v_mov_b32_e32 v12, 0
	v_mov_b32_e32 v13, 0
	s_and_not1_b32 vcc_lo, exec_lo, s25
	s_cbranch_vccnz .LBB258_170
; %bb.167:
	v_dual_mov_b32 v17, s18 :: v_dual_mov_b32 v18, s19
	s_mov_b32 s27, 0
	s_set_inst_prefetch_distance 0x1
	.p2align	6
.LBB258_168:                            ; =>This Inner Loop Header: Depth=1
	s_delay_alu instid0(VALU_DEP_1) | instskip(NEXT) | instid1(VALU_DEP_2)
	v_sub_co_u32 v21, vcc_lo, v17, v12
	v_sub_co_ci_u32_e32 v22, vcc_lo, v18, v13, vcc_lo
	s_delay_alu instid0(VALU_DEP_1) | instskip(SKIP_1) | instid1(VALU_DEP_2)
	v_lshrrev_b64 v[25:26], 1, v[21:22]
	v_lshrrev_b64 v[21:22], 6, v[21:22]
	v_add_co_u32 v2, vcc_lo, v25, v12
	s_delay_alu instid0(VALU_DEP_3) | instskip(NEXT) | instid1(VALU_DEP_2)
	v_add_co_ci_u32_e32 v6, vcc_lo, v26, v13, vcc_lo
	v_add_co_u32 v21, vcc_lo, v2, v21
	s_delay_alu instid0(VALU_DEP_2) | instskip(NEXT) | instid1(VALU_DEP_2)
	v_add_co_ci_u32_e32 v22, vcc_lo, v6, v22, vcc_lo
	v_add_co_u32 v2, s15, v21, 1
	s_delay_alu instid0(VALU_DEP_2) | instskip(SKIP_1) | instid1(VALU_DEP_2)
	v_lshlrev_b64 v[25:26], 3, v[21:22]
	v_add_co_ci_u32_e64 v6, s15, 0, v22, s15
	v_add_co_u32 v25, vcc_lo, s16, v25
	s_delay_alu instid0(VALU_DEP_3)
	v_add_co_ci_u32_e32 v26, vcc_lo, s17, v26, vcc_lo
	global_load_b64 v[25:26], v[25:26], off
	s_waitcnt vmcnt(0)
	v_cmp_lt_f64_e32 vcc_lo, v[25:26], v[9:10]
	v_dual_cndmask_b32 v18, v22, v18 :: v_dual_cndmask_b32 v17, v21, v17
	v_cndmask_b32_e32 v13, v13, v6, vcc_lo
	v_cndmask_b32_e32 v12, v12, v2, vcc_lo
	s_delay_alu instid0(VALU_DEP_1) | instskip(SKIP_1) | instid1(SALU_CYCLE_1)
	v_cmp_ge_u64_e32 vcc_lo, v[12:13], v[17:18]
	s_or_b32 s27, vcc_lo, s27
	s_and_not1_b32 exec_lo, exec_lo, s27
	s_cbranch_execnz .LBB258_168
; %bb.169:
	s_set_inst_prefetch_distance 0x2
	s_or_b32 exec_lo, exec_lo, s27
.LBB258_170:
	s_delay_alu instid0(SALU_CYCLE_1)
	s_or_b32 exec_lo, exec_lo, s26
                                        ; implicit-def: $vgpr9
	s_and_saveexec_b32 s26, s14
	s_cbranch_execz .LBB258_175
; %bb.171:
	s_waitcnt vmcnt(0) lgkmcnt(0)
	v_mov_b32_e32 v9, 0
	v_mov_b32_e32 v10, 0
	s_and_not1_b32 vcc_lo, exec_lo, s25
	s_cbranch_vccnz .LBB258_175
; %bb.172:
	v_dual_mov_b32 v13, s18 :: v_dual_mov_b32 v14, s19
	s_mov_b32 s27, 0
	s_set_inst_prefetch_distance 0x1
	.p2align	6
.LBB258_173:                            ; =>This Inner Loop Header: Depth=1
	s_delay_alu instid0(VALU_DEP_1) | instskip(NEXT) | instid1(VALU_DEP_2)
	v_sub_co_u32 v17, vcc_lo, v13, v9
	v_sub_co_ci_u32_e32 v18, vcc_lo, v14, v10, vcc_lo
	s_delay_alu instid0(VALU_DEP_1) | instskip(SKIP_1) | instid1(VALU_DEP_2)
	v_lshrrev_b64 v[21:22], 1, v[17:18]
	v_lshrrev_b64 v[17:18], 6, v[17:18]
	v_add_co_u32 v2, vcc_lo, v21, v9
	s_delay_alu instid0(VALU_DEP_3) | instskip(NEXT) | instid1(VALU_DEP_2)
	v_add_co_ci_u32_e32 v6, vcc_lo, v22, v10, vcc_lo
	v_add_co_u32 v17, vcc_lo, v2, v17
	s_delay_alu instid0(VALU_DEP_2) | instskip(NEXT) | instid1(VALU_DEP_2)
	v_add_co_ci_u32_e32 v18, vcc_lo, v6, v18, vcc_lo
	v_add_co_u32 v2, s15, v17, 1
	s_delay_alu instid0(VALU_DEP_2) | instskip(SKIP_1) | instid1(VALU_DEP_2)
	v_lshlrev_b64 v[21:22], 3, v[17:18]
	v_add_co_ci_u32_e64 v6, s15, 0, v18, s15
	v_add_co_u32 v21, vcc_lo, s16, v21
	s_delay_alu instid0(VALU_DEP_3)
	v_add_co_ci_u32_e32 v22, vcc_lo, s17, v22, vcc_lo
	global_load_b64 v[21:22], v[21:22], off
	s_waitcnt vmcnt(0)
	v_cmp_lt_f64_e32 vcc_lo, v[21:22], v[7:8]
	v_dual_cndmask_b32 v14, v18, v14 :: v_dual_cndmask_b32 v13, v17, v13
	v_cndmask_b32_e32 v10, v10, v6, vcc_lo
	v_cndmask_b32_e32 v9, v9, v2, vcc_lo
	s_delay_alu instid0(VALU_DEP_1) | instskip(SKIP_1) | instid1(SALU_CYCLE_1)
	v_cmp_ge_u64_e32 vcc_lo, v[9:10], v[13:14]
	s_or_b32 s27, vcc_lo, s27
	s_and_not1_b32 exec_lo, exec_lo, s27
	s_cbranch_execnz .LBB258_173
; %bb.174:
	s_set_inst_prefetch_distance 0x2
	s_or_b32 exec_lo, exec_lo, s27
.LBB258_175:
	s_delay_alu instid0(SALU_CYCLE_1)
	s_or_b32 exec_lo, exec_lo, s26
                                        ; implicit-def: $vgpr6
	s_and_saveexec_b32 s26, s24
	s_cbranch_execz .LBB258_180
; %bb.176:
	s_waitcnt vmcnt(0) lgkmcnt(0)
	v_mov_b32_e32 v6, 0
	v_mov_b32_e32 v7, 0
	s_and_not1_b32 vcc_lo, exec_lo, s25
	s_cbranch_vccnz .LBB258_180
; %bb.177:
	v_dual_mov_b32 v13, s18 :: v_dual_mov_b32 v14, s19
	s_mov_b32 s18, 0
	s_set_inst_prefetch_distance 0x1
	.p2align	6
.LBB258_178:                            ; =>This Inner Loop Header: Depth=1
	s_delay_alu instid0(VALU_DEP_1) | instskip(NEXT) | instid1(VALU_DEP_2)
	v_sub_co_u32 v17, vcc_lo, v13, v6
	v_sub_co_ci_u32_e32 v18, vcc_lo, v14, v7, vcc_lo
	s_delay_alu instid0(VALU_DEP_1) | instskip(SKIP_1) | instid1(VALU_DEP_2)
	v_lshrrev_b64 v[21:22], 1, v[17:18]
	v_lshrrev_b64 v[17:18], 6, v[17:18]
	v_add_co_u32 v2, vcc_lo, v21, v6
	s_delay_alu instid0(VALU_DEP_3) | instskip(NEXT) | instid1(VALU_DEP_2)
	v_add_co_ci_u32_e32 v8, vcc_lo, v22, v7, vcc_lo
	v_add_co_u32 v17, vcc_lo, v2, v17
	s_delay_alu instid0(VALU_DEP_2) | instskip(NEXT) | instid1(VALU_DEP_2)
	v_add_co_ci_u32_e32 v18, vcc_lo, v8, v18, vcc_lo
	v_add_co_u32 v2, s15, v17, 1
	s_delay_alu instid0(VALU_DEP_2) | instskip(SKIP_1) | instid1(VALU_DEP_2)
	v_lshlrev_b64 v[21:22], 3, v[17:18]
	v_add_co_ci_u32_e64 v8, s15, 0, v18, s15
	v_add_co_u32 v21, vcc_lo, s16, v21
	s_delay_alu instid0(VALU_DEP_3)
	v_add_co_ci_u32_e32 v22, vcc_lo, s17, v22, vcc_lo
	global_load_b64 v[21:22], v[21:22], off
	s_waitcnt vmcnt(0)
	v_cmp_lt_f64_e32 vcc_lo, v[21:22], v[3:4]
	v_dual_cndmask_b32 v14, v18, v14 :: v_dual_cndmask_b32 v13, v17, v13
	v_dual_cndmask_b32 v7, v7, v8 :: v_dual_cndmask_b32 v6, v6, v2
	s_delay_alu instid0(VALU_DEP_1) | instskip(SKIP_1) | instid1(SALU_CYCLE_1)
	v_cmp_ge_u64_e32 vcc_lo, v[6:7], v[13:14]
	s_or_b32 s18, vcc_lo, s18
	s_and_not1_b32 exec_lo, exec_lo, s18
	s_cbranch_execnz .LBB258_178
; %bb.179:
	s_set_inst_prefetch_distance 0x2
	s_or_b32 exec_lo, exec_lo, s18
.LBB258_180:
	s_delay_alu instid0(SALU_CYCLE_1) | instskip(SKIP_2) | instid1(SALU_CYCLE_1)
	s_or_b32 exec_lo, exec_lo, s26
	v_lshlrev_b32_e32 v0, 2, v0
	s_lshl_b64 s[16:17], s[20:21], 2
	s_add_u32 s15, s22, s16
	s_addc_u32 s16, s23, s17
	s_delay_alu instid0(VALU_DEP_1) | instskip(SKIP_3) | instid1(SALU_CYCLE_1)
	v_add_co_u32 v2, s15, s15, v0
	s_waitcnt vmcnt(0) lgkmcnt(0)
	v_add_co_ci_u32_e64 v3, null, s16, 0, s15
	s_and_saveexec_b32 s15, s0
	s_xor_b32 s0, exec_lo, s15
	s_cbranch_execnz .LBB258_200
; %bb.181:
	s_or_b32 exec_lo, exec_lo, s0
	s_and_saveexec_b32 s0, s1
	s_cbranch_execnz .LBB258_201
.LBB258_182:
	s_or_b32 exec_lo, exec_lo, s0
	s_and_saveexec_b32 s0, s2
	s_cbranch_execnz .LBB258_202
.LBB258_183:
	s_or_b32 exec_lo, exec_lo, s0
	s_and_saveexec_b32 s0, s3
	s_cbranch_execnz .LBB258_203
.LBB258_184:
	s_or_b32 exec_lo, exec_lo, s0
	s_and_saveexec_b32 s0, s4
	s_cbranch_execnz .LBB258_204
.LBB258_185:
	s_or_b32 exec_lo, exec_lo, s0
	s_and_saveexec_b32 s0, s5
	s_cbranch_execnz .LBB258_205
.LBB258_186:
	s_or_b32 exec_lo, exec_lo, s0
	s_and_saveexec_b32 s0, s6
	s_cbranch_execnz .LBB258_206
.LBB258_187:
	s_or_b32 exec_lo, exec_lo, s0
	s_and_saveexec_b32 s0, s7
	s_cbranch_execnz .LBB258_207
.LBB258_188:
	s_or_b32 exec_lo, exec_lo, s0
	s_and_saveexec_b32 s0, s8
	s_cbranch_execnz .LBB258_208
.LBB258_189:
	s_or_b32 exec_lo, exec_lo, s0
	s_and_saveexec_b32 s0, s9
	s_cbranch_execnz .LBB258_209
.LBB258_190:
	s_or_b32 exec_lo, exec_lo, s0
	s_and_saveexec_b32 s0, s10
	s_cbranch_execnz .LBB258_210
.LBB258_191:
	s_or_b32 exec_lo, exec_lo, s0
	s_and_saveexec_b32 s0, s11
	s_cbranch_execnz .LBB258_211
.LBB258_192:
	s_or_b32 exec_lo, exec_lo, s0
	s_and_saveexec_b32 s0, s12
	s_cbranch_execnz .LBB258_212
.LBB258_193:
	s_or_b32 exec_lo, exec_lo, s0
	s_and_saveexec_b32 s0, s13
	s_cbranch_execnz .LBB258_213
.LBB258_194:
	s_or_b32 exec_lo, exec_lo, s0
	s_and_saveexec_b32 s0, s14
	s_cbranch_execz .LBB258_196
.LBB258_195:
	v_add_co_u32 v0, vcc_lo, 0x3000, v2
	v_add_co_ci_u32_e32 v1, vcc_lo, 0, v3, vcc_lo
	flat_store_b32 v[0:1], v9 offset:2048
.LBB258_196:
	s_or_b32 exec_lo, exec_lo, s0
.LBB258_197:
	s_and_saveexec_b32 s0, s24
	s_cbranch_execnz .LBB258_199
; %bb.198:
	s_endpgm
.LBB258_199:
	v_add_co_u32 v0, vcc_lo, 0x3000, v2
	v_add_co_ci_u32_e32 v1, vcc_lo, 0, v3, vcc_lo
	flat_store_b32 v[0:1], v6 offset:3072
	s_endpgm
.LBB258_200:
	flat_store_b32 v[2:3], v1
	s_or_b32 exec_lo, exec_lo, s0
	s_and_saveexec_b32 s0, s1
	s_cbranch_execz .LBB258_182
.LBB258_201:
	flat_store_b32 v[2:3], v5 offset:1024
	s_or_b32 exec_lo, exec_lo, s0
	s_and_saveexec_b32 s0, s2
	s_cbranch_execz .LBB258_183
.LBB258_202:
	flat_store_b32 v[2:3], v11 offset:2048
	s_or_b32 exec_lo, exec_lo, s0
	s_and_saveexec_b32 s0, s3
	s_cbranch_execz .LBB258_184
.LBB258_203:
	flat_store_b32 v[2:3], v15 offset:3072
	s_or_b32 exec_lo, exec_lo, s0
	s_and_saveexec_b32 s0, s4
	s_cbranch_execz .LBB258_185
.LBB258_204:
	v_add_co_u32 v0, vcc_lo, 0x1000, v2
	v_add_co_ci_u32_e32 v1, vcc_lo, 0, v3, vcc_lo
	flat_store_b32 v[0:1], v19
	s_or_b32 exec_lo, exec_lo, s0
	s_and_saveexec_b32 s0, s5
	s_cbranch_execz .LBB258_186
.LBB258_205:
	v_add_co_u32 v0, vcc_lo, 0x1000, v2
	v_add_co_ci_u32_e32 v1, vcc_lo, 0, v3, vcc_lo
	flat_store_b32 v[0:1], v23 offset:1024
	s_or_b32 exec_lo, exec_lo, s0
	s_and_saveexec_b32 s0, s6
	s_cbranch_execz .LBB258_187
.LBB258_206:
	v_add_co_u32 v0, vcc_lo, 0x1000, v2
	v_add_co_ci_u32_e32 v1, vcc_lo, 0, v3, vcc_lo
	flat_store_b32 v[0:1], v27 offset:2048
	s_or_b32 exec_lo, exec_lo, s0
	s_and_saveexec_b32 s0, s7
	s_cbranch_execz .LBB258_188
.LBB258_207:
	v_add_co_u32 v0, vcc_lo, 0x1000, v2
	v_add_co_ci_u32_e32 v1, vcc_lo, 0, v3, vcc_lo
	flat_store_b32 v[0:1], v31 offset:3072
	s_or_b32 exec_lo, exec_lo, s0
	s_and_saveexec_b32 s0, s8
	s_cbranch_execz .LBB258_189
.LBB258_208:
	v_add_co_u32 v0, vcc_lo, 0x2000, v2
	v_add_co_ci_u32_e32 v1, vcc_lo, 0, v3, vcc_lo
	flat_store_b32 v[0:1], v32
	s_or_b32 exec_lo, exec_lo, s0
	s_and_saveexec_b32 s0, s9
	s_cbranch_execz .LBB258_190
.LBB258_209:
	v_add_co_u32 v0, vcc_lo, 0x2000, v2
	v_add_co_ci_u32_e32 v1, vcc_lo, 0, v3, vcc_lo
	flat_store_b32 v[0:1], v28 offset:1024
	s_or_b32 exec_lo, exec_lo, s0
	s_and_saveexec_b32 s0, s10
	s_cbranch_execz .LBB258_191
.LBB258_210:
	v_add_co_u32 v0, vcc_lo, 0x2000, v2
	v_add_co_ci_u32_e32 v1, vcc_lo, 0, v3, vcc_lo
	flat_store_b32 v[0:1], v24 offset:2048
	s_or_b32 exec_lo, exec_lo, s0
	s_and_saveexec_b32 s0, s11
	s_cbranch_execz .LBB258_192
.LBB258_211:
	v_add_co_u32 v0, vcc_lo, 0x2000, v2
	v_add_co_ci_u32_e32 v1, vcc_lo, 0, v3, vcc_lo
	flat_store_b32 v[0:1], v20 offset:3072
	s_or_b32 exec_lo, exec_lo, s0
	s_and_saveexec_b32 s0, s12
	s_cbranch_execz .LBB258_193
.LBB258_212:
	v_add_co_u32 v0, vcc_lo, 0x3000, v2
	v_add_co_ci_u32_e32 v1, vcc_lo, 0, v3, vcc_lo
	flat_store_b32 v[0:1], v16
	s_or_b32 exec_lo, exec_lo, s0
	s_and_saveexec_b32 s0, s13
	s_cbranch_execz .LBB258_194
.LBB258_213:
	v_add_co_u32 v0, vcc_lo, 0x3000, v2
	v_add_co_ci_u32_e32 v1, vcc_lo, 0, v3, vcc_lo
	flat_store_b32 v[0:1], v12 offset:1024
	s_or_b32 exec_lo, exec_lo, s0
	s_and_saveexec_b32 s0, s14
	s_cbranch_execnz .LBB258_195
	s_branch .LBB258_196
	.section	.rodata,"a",@progbits
	.p2align	6, 0x0
	.amdhsa_kernel _ZN7rocprim17ROCPRIM_400000_NS6detail17trampoline_kernelINS0_14default_configENS1_27lower_bound_config_selectorIdiEEZNS1_14transform_implILb0ES3_S5_N6thrust23THRUST_200600_302600_NS6detail15normal_iteratorINS8_10device_ptrIdEEEENSA_INSB_IiEEEEZNS1_13binary_searchIS3_S5_SD_SD_SF_NS1_21lower_bound_search_opENS9_16wrapped_functionINS0_4lessIvEEbEEEE10hipError_tPvRmT1_T2_T3_mmT4_T5_P12ihipStream_tbEUlRKdE_EESM_SQ_SR_mSS_SV_bEUlT_E_NS1_11comp_targetILNS1_3genE9ELNS1_11target_archE1100ELNS1_3gpuE3ELNS1_3repE0EEENS1_30default_config_static_selectorELNS0_4arch9wavefront6targetE0EEEvSP_
		.amdhsa_group_segment_fixed_size 0
		.amdhsa_private_segment_fixed_size 0
		.amdhsa_kernarg_size 312
		.amdhsa_user_sgpr_count 15
		.amdhsa_user_sgpr_dispatch_ptr 0
		.amdhsa_user_sgpr_queue_ptr 0
		.amdhsa_user_sgpr_kernarg_segment_ptr 1
		.amdhsa_user_sgpr_dispatch_id 0
		.amdhsa_user_sgpr_private_segment_size 0
		.amdhsa_wavefront_size32 1
		.amdhsa_uses_dynamic_stack 0
		.amdhsa_enable_private_segment 0
		.amdhsa_system_sgpr_workgroup_id_x 1
		.amdhsa_system_sgpr_workgroup_id_y 0
		.amdhsa_system_sgpr_workgroup_id_z 0
		.amdhsa_system_sgpr_workgroup_info 0
		.amdhsa_system_vgpr_workitem_id 0
		.amdhsa_next_free_vgpr 41
		.amdhsa_next_free_sgpr 28
		.amdhsa_reserve_vcc 1
		.amdhsa_float_round_mode_32 0
		.amdhsa_float_round_mode_16_64 0
		.amdhsa_float_denorm_mode_32 3
		.amdhsa_float_denorm_mode_16_64 3
		.amdhsa_dx10_clamp 1
		.amdhsa_ieee_mode 1
		.amdhsa_fp16_overflow 0
		.amdhsa_workgroup_processor_mode 1
		.amdhsa_memory_ordered 1
		.amdhsa_forward_progress 0
		.amdhsa_shared_vgpr_count 0
		.amdhsa_exception_fp_ieee_invalid_op 0
		.amdhsa_exception_fp_denorm_src 0
		.amdhsa_exception_fp_ieee_div_zero 0
		.amdhsa_exception_fp_ieee_overflow 0
		.amdhsa_exception_fp_ieee_underflow 0
		.amdhsa_exception_fp_ieee_inexact 0
		.amdhsa_exception_int_div_zero 0
	.end_amdhsa_kernel
	.section	.text._ZN7rocprim17ROCPRIM_400000_NS6detail17trampoline_kernelINS0_14default_configENS1_27lower_bound_config_selectorIdiEEZNS1_14transform_implILb0ES3_S5_N6thrust23THRUST_200600_302600_NS6detail15normal_iteratorINS8_10device_ptrIdEEEENSA_INSB_IiEEEEZNS1_13binary_searchIS3_S5_SD_SD_SF_NS1_21lower_bound_search_opENS9_16wrapped_functionINS0_4lessIvEEbEEEE10hipError_tPvRmT1_T2_T3_mmT4_T5_P12ihipStream_tbEUlRKdE_EESM_SQ_SR_mSS_SV_bEUlT_E_NS1_11comp_targetILNS1_3genE9ELNS1_11target_archE1100ELNS1_3gpuE3ELNS1_3repE0EEENS1_30default_config_static_selectorELNS0_4arch9wavefront6targetE0EEEvSP_,"axG",@progbits,_ZN7rocprim17ROCPRIM_400000_NS6detail17trampoline_kernelINS0_14default_configENS1_27lower_bound_config_selectorIdiEEZNS1_14transform_implILb0ES3_S5_N6thrust23THRUST_200600_302600_NS6detail15normal_iteratorINS8_10device_ptrIdEEEENSA_INSB_IiEEEEZNS1_13binary_searchIS3_S5_SD_SD_SF_NS1_21lower_bound_search_opENS9_16wrapped_functionINS0_4lessIvEEbEEEE10hipError_tPvRmT1_T2_T3_mmT4_T5_P12ihipStream_tbEUlRKdE_EESM_SQ_SR_mSS_SV_bEUlT_E_NS1_11comp_targetILNS1_3genE9ELNS1_11target_archE1100ELNS1_3gpuE3ELNS1_3repE0EEENS1_30default_config_static_selectorELNS0_4arch9wavefront6targetE0EEEvSP_,comdat
.Lfunc_end258:
	.size	_ZN7rocprim17ROCPRIM_400000_NS6detail17trampoline_kernelINS0_14default_configENS1_27lower_bound_config_selectorIdiEEZNS1_14transform_implILb0ES3_S5_N6thrust23THRUST_200600_302600_NS6detail15normal_iteratorINS8_10device_ptrIdEEEENSA_INSB_IiEEEEZNS1_13binary_searchIS3_S5_SD_SD_SF_NS1_21lower_bound_search_opENS9_16wrapped_functionINS0_4lessIvEEbEEEE10hipError_tPvRmT1_T2_T3_mmT4_T5_P12ihipStream_tbEUlRKdE_EESM_SQ_SR_mSS_SV_bEUlT_E_NS1_11comp_targetILNS1_3genE9ELNS1_11target_archE1100ELNS1_3gpuE3ELNS1_3repE0EEENS1_30default_config_static_selectorELNS0_4arch9wavefront6targetE0EEEvSP_, .Lfunc_end258-_ZN7rocprim17ROCPRIM_400000_NS6detail17trampoline_kernelINS0_14default_configENS1_27lower_bound_config_selectorIdiEEZNS1_14transform_implILb0ES3_S5_N6thrust23THRUST_200600_302600_NS6detail15normal_iteratorINS8_10device_ptrIdEEEENSA_INSB_IiEEEEZNS1_13binary_searchIS3_S5_SD_SD_SF_NS1_21lower_bound_search_opENS9_16wrapped_functionINS0_4lessIvEEbEEEE10hipError_tPvRmT1_T2_T3_mmT4_T5_P12ihipStream_tbEUlRKdE_EESM_SQ_SR_mSS_SV_bEUlT_E_NS1_11comp_targetILNS1_3genE9ELNS1_11target_archE1100ELNS1_3gpuE3ELNS1_3repE0EEENS1_30default_config_static_selectorELNS0_4arch9wavefront6targetE0EEEvSP_
                                        ; -- End function
	.section	.AMDGPU.csdata,"",@progbits
; Kernel info:
; codeLenInByte = 9392
; NumSgprs: 30
; NumVgprs: 41
; ScratchSize: 0
; MemoryBound: 0
; FloatMode: 240
; IeeeMode: 1
; LDSByteSize: 0 bytes/workgroup (compile time only)
; SGPRBlocks: 3
; VGPRBlocks: 5
; NumSGPRsForWavesPerEU: 30
; NumVGPRsForWavesPerEU: 41
; Occupancy: 16
; WaveLimiterHint : 1
; COMPUTE_PGM_RSRC2:SCRATCH_EN: 0
; COMPUTE_PGM_RSRC2:USER_SGPR: 15
; COMPUTE_PGM_RSRC2:TRAP_HANDLER: 0
; COMPUTE_PGM_RSRC2:TGID_X_EN: 1
; COMPUTE_PGM_RSRC2:TGID_Y_EN: 0
; COMPUTE_PGM_RSRC2:TGID_Z_EN: 0
; COMPUTE_PGM_RSRC2:TIDIG_COMP_CNT: 0
	.section	.text._ZN7rocprim17ROCPRIM_400000_NS6detail17trampoline_kernelINS0_14default_configENS1_27lower_bound_config_selectorIdiEEZNS1_14transform_implILb0ES3_S5_N6thrust23THRUST_200600_302600_NS6detail15normal_iteratorINS8_10device_ptrIdEEEENSA_INSB_IiEEEEZNS1_13binary_searchIS3_S5_SD_SD_SF_NS1_21lower_bound_search_opENS9_16wrapped_functionINS0_4lessIvEEbEEEE10hipError_tPvRmT1_T2_T3_mmT4_T5_P12ihipStream_tbEUlRKdE_EESM_SQ_SR_mSS_SV_bEUlT_E_NS1_11comp_targetILNS1_3genE8ELNS1_11target_archE1030ELNS1_3gpuE2ELNS1_3repE0EEENS1_30default_config_static_selectorELNS0_4arch9wavefront6targetE0EEEvSP_,"axG",@progbits,_ZN7rocprim17ROCPRIM_400000_NS6detail17trampoline_kernelINS0_14default_configENS1_27lower_bound_config_selectorIdiEEZNS1_14transform_implILb0ES3_S5_N6thrust23THRUST_200600_302600_NS6detail15normal_iteratorINS8_10device_ptrIdEEEENSA_INSB_IiEEEEZNS1_13binary_searchIS3_S5_SD_SD_SF_NS1_21lower_bound_search_opENS9_16wrapped_functionINS0_4lessIvEEbEEEE10hipError_tPvRmT1_T2_T3_mmT4_T5_P12ihipStream_tbEUlRKdE_EESM_SQ_SR_mSS_SV_bEUlT_E_NS1_11comp_targetILNS1_3genE8ELNS1_11target_archE1030ELNS1_3gpuE2ELNS1_3repE0EEENS1_30default_config_static_selectorELNS0_4arch9wavefront6targetE0EEEvSP_,comdat
	.protected	_ZN7rocprim17ROCPRIM_400000_NS6detail17trampoline_kernelINS0_14default_configENS1_27lower_bound_config_selectorIdiEEZNS1_14transform_implILb0ES3_S5_N6thrust23THRUST_200600_302600_NS6detail15normal_iteratorINS8_10device_ptrIdEEEENSA_INSB_IiEEEEZNS1_13binary_searchIS3_S5_SD_SD_SF_NS1_21lower_bound_search_opENS9_16wrapped_functionINS0_4lessIvEEbEEEE10hipError_tPvRmT1_T2_T3_mmT4_T5_P12ihipStream_tbEUlRKdE_EESM_SQ_SR_mSS_SV_bEUlT_E_NS1_11comp_targetILNS1_3genE8ELNS1_11target_archE1030ELNS1_3gpuE2ELNS1_3repE0EEENS1_30default_config_static_selectorELNS0_4arch9wavefront6targetE0EEEvSP_ ; -- Begin function _ZN7rocprim17ROCPRIM_400000_NS6detail17trampoline_kernelINS0_14default_configENS1_27lower_bound_config_selectorIdiEEZNS1_14transform_implILb0ES3_S5_N6thrust23THRUST_200600_302600_NS6detail15normal_iteratorINS8_10device_ptrIdEEEENSA_INSB_IiEEEEZNS1_13binary_searchIS3_S5_SD_SD_SF_NS1_21lower_bound_search_opENS9_16wrapped_functionINS0_4lessIvEEbEEEE10hipError_tPvRmT1_T2_T3_mmT4_T5_P12ihipStream_tbEUlRKdE_EESM_SQ_SR_mSS_SV_bEUlT_E_NS1_11comp_targetILNS1_3genE8ELNS1_11target_archE1030ELNS1_3gpuE2ELNS1_3repE0EEENS1_30default_config_static_selectorELNS0_4arch9wavefront6targetE0EEEvSP_
	.globl	_ZN7rocprim17ROCPRIM_400000_NS6detail17trampoline_kernelINS0_14default_configENS1_27lower_bound_config_selectorIdiEEZNS1_14transform_implILb0ES3_S5_N6thrust23THRUST_200600_302600_NS6detail15normal_iteratorINS8_10device_ptrIdEEEENSA_INSB_IiEEEEZNS1_13binary_searchIS3_S5_SD_SD_SF_NS1_21lower_bound_search_opENS9_16wrapped_functionINS0_4lessIvEEbEEEE10hipError_tPvRmT1_T2_T3_mmT4_T5_P12ihipStream_tbEUlRKdE_EESM_SQ_SR_mSS_SV_bEUlT_E_NS1_11comp_targetILNS1_3genE8ELNS1_11target_archE1030ELNS1_3gpuE2ELNS1_3repE0EEENS1_30default_config_static_selectorELNS0_4arch9wavefront6targetE0EEEvSP_
	.p2align	8
	.type	_ZN7rocprim17ROCPRIM_400000_NS6detail17trampoline_kernelINS0_14default_configENS1_27lower_bound_config_selectorIdiEEZNS1_14transform_implILb0ES3_S5_N6thrust23THRUST_200600_302600_NS6detail15normal_iteratorINS8_10device_ptrIdEEEENSA_INSB_IiEEEEZNS1_13binary_searchIS3_S5_SD_SD_SF_NS1_21lower_bound_search_opENS9_16wrapped_functionINS0_4lessIvEEbEEEE10hipError_tPvRmT1_T2_T3_mmT4_T5_P12ihipStream_tbEUlRKdE_EESM_SQ_SR_mSS_SV_bEUlT_E_NS1_11comp_targetILNS1_3genE8ELNS1_11target_archE1030ELNS1_3gpuE2ELNS1_3repE0EEENS1_30default_config_static_selectorELNS0_4arch9wavefront6targetE0EEEvSP_,@function
_ZN7rocprim17ROCPRIM_400000_NS6detail17trampoline_kernelINS0_14default_configENS1_27lower_bound_config_selectorIdiEEZNS1_14transform_implILb0ES3_S5_N6thrust23THRUST_200600_302600_NS6detail15normal_iteratorINS8_10device_ptrIdEEEENSA_INSB_IiEEEEZNS1_13binary_searchIS3_S5_SD_SD_SF_NS1_21lower_bound_search_opENS9_16wrapped_functionINS0_4lessIvEEbEEEE10hipError_tPvRmT1_T2_T3_mmT4_T5_P12ihipStream_tbEUlRKdE_EESM_SQ_SR_mSS_SV_bEUlT_E_NS1_11comp_targetILNS1_3genE8ELNS1_11target_archE1030ELNS1_3gpuE2ELNS1_3repE0EEENS1_30default_config_static_selectorELNS0_4arch9wavefront6targetE0EEEvSP_: ; @_ZN7rocprim17ROCPRIM_400000_NS6detail17trampoline_kernelINS0_14default_configENS1_27lower_bound_config_selectorIdiEEZNS1_14transform_implILb0ES3_S5_N6thrust23THRUST_200600_302600_NS6detail15normal_iteratorINS8_10device_ptrIdEEEENSA_INSB_IiEEEEZNS1_13binary_searchIS3_S5_SD_SD_SF_NS1_21lower_bound_search_opENS9_16wrapped_functionINS0_4lessIvEEbEEEE10hipError_tPvRmT1_T2_T3_mmT4_T5_P12ihipStream_tbEUlRKdE_EESM_SQ_SR_mSS_SV_bEUlT_E_NS1_11comp_targetILNS1_3genE8ELNS1_11target_archE1030ELNS1_3gpuE2ELNS1_3repE0EEENS1_30default_config_static_selectorELNS0_4arch9wavefront6targetE0EEEvSP_
; %bb.0:
	.section	.rodata,"a",@progbits
	.p2align	6, 0x0
	.amdhsa_kernel _ZN7rocprim17ROCPRIM_400000_NS6detail17trampoline_kernelINS0_14default_configENS1_27lower_bound_config_selectorIdiEEZNS1_14transform_implILb0ES3_S5_N6thrust23THRUST_200600_302600_NS6detail15normal_iteratorINS8_10device_ptrIdEEEENSA_INSB_IiEEEEZNS1_13binary_searchIS3_S5_SD_SD_SF_NS1_21lower_bound_search_opENS9_16wrapped_functionINS0_4lessIvEEbEEEE10hipError_tPvRmT1_T2_T3_mmT4_T5_P12ihipStream_tbEUlRKdE_EESM_SQ_SR_mSS_SV_bEUlT_E_NS1_11comp_targetILNS1_3genE8ELNS1_11target_archE1030ELNS1_3gpuE2ELNS1_3repE0EEENS1_30default_config_static_selectorELNS0_4arch9wavefront6targetE0EEEvSP_
		.amdhsa_group_segment_fixed_size 0
		.amdhsa_private_segment_fixed_size 0
		.amdhsa_kernarg_size 56
		.amdhsa_user_sgpr_count 15
		.amdhsa_user_sgpr_dispatch_ptr 0
		.amdhsa_user_sgpr_queue_ptr 0
		.amdhsa_user_sgpr_kernarg_segment_ptr 1
		.amdhsa_user_sgpr_dispatch_id 0
		.amdhsa_user_sgpr_private_segment_size 0
		.amdhsa_wavefront_size32 1
		.amdhsa_uses_dynamic_stack 0
		.amdhsa_enable_private_segment 0
		.amdhsa_system_sgpr_workgroup_id_x 1
		.amdhsa_system_sgpr_workgroup_id_y 0
		.amdhsa_system_sgpr_workgroup_id_z 0
		.amdhsa_system_sgpr_workgroup_info 0
		.amdhsa_system_vgpr_workitem_id 0
		.amdhsa_next_free_vgpr 1
		.amdhsa_next_free_sgpr 1
		.amdhsa_reserve_vcc 0
		.amdhsa_float_round_mode_32 0
		.amdhsa_float_round_mode_16_64 0
		.amdhsa_float_denorm_mode_32 3
		.amdhsa_float_denorm_mode_16_64 3
		.amdhsa_dx10_clamp 1
		.amdhsa_ieee_mode 1
		.amdhsa_fp16_overflow 0
		.amdhsa_workgroup_processor_mode 1
		.amdhsa_memory_ordered 1
		.amdhsa_forward_progress 0
		.amdhsa_shared_vgpr_count 0
		.amdhsa_exception_fp_ieee_invalid_op 0
		.amdhsa_exception_fp_denorm_src 0
		.amdhsa_exception_fp_ieee_div_zero 0
		.amdhsa_exception_fp_ieee_overflow 0
		.amdhsa_exception_fp_ieee_underflow 0
		.amdhsa_exception_fp_ieee_inexact 0
		.amdhsa_exception_int_div_zero 0
	.end_amdhsa_kernel
	.section	.text._ZN7rocprim17ROCPRIM_400000_NS6detail17trampoline_kernelINS0_14default_configENS1_27lower_bound_config_selectorIdiEEZNS1_14transform_implILb0ES3_S5_N6thrust23THRUST_200600_302600_NS6detail15normal_iteratorINS8_10device_ptrIdEEEENSA_INSB_IiEEEEZNS1_13binary_searchIS3_S5_SD_SD_SF_NS1_21lower_bound_search_opENS9_16wrapped_functionINS0_4lessIvEEbEEEE10hipError_tPvRmT1_T2_T3_mmT4_T5_P12ihipStream_tbEUlRKdE_EESM_SQ_SR_mSS_SV_bEUlT_E_NS1_11comp_targetILNS1_3genE8ELNS1_11target_archE1030ELNS1_3gpuE2ELNS1_3repE0EEENS1_30default_config_static_selectorELNS0_4arch9wavefront6targetE0EEEvSP_,"axG",@progbits,_ZN7rocprim17ROCPRIM_400000_NS6detail17trampoline_kernelINS0_14default_configENS1_27lower_bound_config_selectorIdiEEZNS1_14transform_implILb0ES3_S5_N6thrust23THRUST_200600_302600_NS6detail15normal_iteratorINS8_10device_ptrIdEEEENSA_INSB_IiEEEEZNS1_13binary_searchIS3_S5_SD_SD_SF_NS1_21lower_bound_search_opENS9_16wrapped_functionINS0_4lessIvEEbEEEE10hipError_tPvRmT1_T2_T3_mmT4_T5_P12ihipStream_tbEUlRKdE_EESM_SQ_SR_mSS_SV_bEUlT_E_NS1_11comp_targetILNS1_3genE8ELNS1_11target_archE1030ELNS1_3gpuE2ELNS1_3repE0EEENS1_30default_config_static_selectorELNS0_4arch9wavefront6targetE0EEEvSP_,comdat
.Lfunc_end259:
	.size	_ZN7rocprim17ROCPRIM_400000_NS6detail17trampoline_kernelINS0_14default_configENS1_27lower_bound_config_selectorIdiEEZNS1_14transform_implILb0ES3_S5_N6thrust23THRUST_200600_302600_NS6detail15normal_iteratorINS8_10device_ptrIdEEEENSA_INSB_IiEEEEZNS1_13binary_searchIS3_S5_SD_SD_SF_NS1_21lower_bound_search_opENS9_16wrapped_functionINS0_4lessIvEEbEEEE10hipError_tPvRmT1_T2_T3_mmT4_T5_P12ihipStream_tbEUlRKdE_EESM_SQ_SR_mSS_SV_bEUlT_E_NS1_11comp_targetILNS1_3genE8ELNS1_11target_archE1030ELNS1_3gpuE2ELNS1_3repE0EEENS1_30default_config_static_selectorELNS0_4arch9wavefront6targetE0EEEvSP_, .Lfunc_end259-_ZN7rocprim17ROCPRIM_400000_NS6detail17trampoline_kernelINS0_14default_configENS1_27lower_bound_config_selectorIdiEEZNS1_14transform_implILb0ES3_S5_N6thrust23THRUST_200600_302600_NS6detail15normal_iteratorINS8_10device_ptrIdEEEENSA_INSB_IiEEEEZNS1_13binary_searchIS3_S5_SD_SD_SF_NS1_21lower_bound_search_opENS9_16wrapped_functionINS0_4lessIvEEbEEEE10hipError_tPvRmT1_T2_T3_mmT4_T5_P12ihipStream_tbEUlRKdE_EESM_SQ_SR_mSS_SV_bEUlT_E_NS1_11comp_targetILNS1_3genE8ELNS1_11target_archE1030ELNS1_3gpuE2ELNS1_3repE0EEENS1_30default_config_static_selectorELNS0_4arch9wavefront6targetE0EEEvSP_
                                        ; -- End function
	.section	.AMDGPU.csdata,"",@progbits
; Kernel info:
; codeLenInByte = 0
; NumSgprs: 0
; NumVgprs: 0
; ScratchSize: 0
; MemoryBound: 0
; FloatMode: 240
; IeeeMode: 1
; LDSByteSize: 0 bytes/workgroup (compile time only)
; SGPRBlocks: 0
; VGPRBlocks: 0
; NumSGPRsForWavesPerEU: 1
; NumVGPRsForWavesPerEU: 1
; Occupancy: 16
; WaveLimiterHint : 0
; COMPUTE_PGM_RSRC2:SCRATCH_EN: 0
; COMPUTE_PGM_RSRC2:USER_SGPR: 15
; COMPUTE_PGM_RSRC2:TRAP_HANDLER: 0
; COMPUTE_PGM_RSRC2:TGID_X_EN: 1
; COMPUTE_PGM_RSRC2:TGID_Y_EN: 0
; COMPUTE_PGM_RSRC2:TGID_Z_EN: 0
; COMPUTE_PGM_RSRC2:TIDIG_COMP_CNT: 0
	.section	.text._ZN6thrust23THRUST_200600_302600_NS11hip_rocprim14__parallel_for6kernelILj256ENS1_10__tabulate7functorINS0_6detail15normal_iteratorINS0_10device_ptrIfEEEENS0_6system6detail7generic6detail22compute_sequence_valueIfvEElEElLj1EEEvT0_T1_SJ_,"axG",@progbits,_ZN6thrust23THRUST_200600_302600_NS11hip_rocprim14__parallel_for6kernelILj256ENS1_10__tabulate7functorINS0_6detail15normal_iteratorINS0_10device_ptrIfEEEENS0_6system6detail7generic6detail22compute_sequence_valueIfvEElEElLj1EEEvT0_T1_SJ_,comdat
	.protected	_ZN6thrust23THRUST_200600_302600_NS11hip_rocprim14__parallel_for6kernelILj256ENS1_10__tabulate7functorINS0_6detail15normal_iteratorINS0_10device_ptrIfEEEENS0_6system6detail7generic6detail22compute_sequence_valueIfvEElEElLj1EEEvT0_T1_SJ_ ; -- Begin function _ZN6thrust23THRUST_200600_302600_NS11hip_rocprim14__parallel_for6kernelILj256ENS1_10__tabulate7functorINS0_6detail15normal_iteratorINS0_10device_ptrIfEEEENS0_6system6detail7generic6detail22compute_sequence_valueIfvEElEElLj1EEEvT0_T1_SJ_
	.globl	_ZN6thrust23THRUST_200600_302600_NS11hip_rocprim14__parallel_for6kernelILj256ENS1_10__tabulate7functorINS0_6detail15normal_iteratorINS0_10device_ptrIfEEEENS0_6system6detail7generic6detail22compute_sequence_valueIfvEElEElLj1EEEvT0_T1_SJ_
	.p2align	8
	.type	_ZN6thrust23THRUST_200600_302600_NS11hip_rocprim14__parallel_for6kernelILj256ENS1_10__tabulate7functorINS0_6detail15normal_iteratorINS0_10device_ptrIfEEEENS0_6system6detail7generic6detail22compute_sequence_valueIfvEElEElLj1EEEvT0_T1_SJ_,@function
_ZN6thrust23THRUST_200600_302600_NS11hip_rocprim14__parallel_for6kernelILj256ENS1_10__tabulate7functorINS0_6detail15normal_iteratorINS0_10device_ptrIfEEEENS0_6system6detail7generic6detail22compute_sequence_valueIfvEElEElLj1EEEvT0_T1_SJ_: ; @_ZN6thrust23THRUST_200600_302600_NS11hip_rocprim14__parallel_for6kernelILj256ENS1_10__tabulate7functorINS0_6detail15normal_iteratorINS0_10device_ptrIfEEEENS0_6system6detail7generic6detail22compute_sequence_valueIfvEElEElLj1EEEvT0_T1_SJ_
; %bb.0:
	s_load_b256 s[0:7], s[0:1], 0x0
	s_lshl_b32 s8, s15, 8
	s_waitcnt lgkmcnt(0)
	s_add_u32 s6, s8, s6
	s_addc_u32 s7, 0, s7
	s_sub_u32 s4, s4, s6
	s_subb_u32 s5, s5, s7
	s_delay_alu instid0(SALU_CYCLE_1) | instskip(NEXT) | instid1(VALU_DEP_1)
	v_cmp_gt_i64_e64 s5, 0x100, s[4:5]
	s_and_b32 s5, s5, exec_lo
	s_cselect_b32 s5, s4, 0x100
	s_mov_b32 s4, -1
	s_cmpk_lg_i32 s5, 0x100
	s_cbranch_scc1 .LBB260_3
; %bb.1:
	s_and_not1_b32 vcc_lo, exec_lo, s4
	s_cbranch_vccz .LBB260_6
.LBB260_2:
	s_endpgm
.LBB260_3:
	s_mov_b32 s4, exec_lo
	v_cmpx_gt_u32_e64 s5, v0
	s_cbranch_execz .LBB260_5
; %bb.4:
	v_add_co_u32 v1, s5, s6, v0
	s_delay_alu instid0(VALU_DEP_1) | instskip(NEXT) | instid1(VALU_DEP_1)
	v_add_co_ci_u32_e64 v2, null, s7, 0, s5
	v_clz_i32_u32_e32 v3, v2
	s_delay_alu instid0(VALU_DEP_1) | instskip(NEXT) | instid1(VALU_DEP_1)
	v_min_u32_e32 v5, 32, v3
	v_lshlrev_b64 v[3:4], v5, v[1:2]
	v_lshlrev_b64 v[1:2], 2, v[1:2]
	s_delay_alu instid0(VALU_DEP_2) | instskip(NEXT) | instid1(VALU_DEP_2)
	v_min_u32_e32 v3, 1, v3
	v_add_co_u32 v1, vcc_lo, s0, v1
	s_delay_alu instid0(VALU_DEP_3) | instskip(NEXT) | instid1(VALU_DEP_3)
	v_add_co_ci_u32_e32 v2, vcc_lo, s1, v2, vcc_lo
	v_or_b32_e32 v3, v4, v3
	v_sub_nc_u32_e32 v4, 32, v5
	s_delay_alu instid0(VALU_DEP_2) | instskip(NEXT) | instid1(VALU_DEP_1)
	v_cvt_f32_u32_e32 v3, v3
	v_ldexp_f32 v3, v3, v4
	s_delay_alu instid0(VALU_DEP_1)
	v_fma_f32 v3, s3, v3, s2
	flat_store_b32 v[1:2], v3
.LBB260_5:
	s_or_b32 exec_lo, exec_lo, s4
	s_cbranch_execnz .LBB260_2
.LBB260_6:
	v_add_co_u32 v0, s4, s6, v0
	s_delay_alu instid0(VALU_DEP_1) | instskip(NEXT) | instid1(VALU_DEP_1)
	v_add_co_ci_u32_e64 v1, null, s7, 0, s4
	v_clz_i32_u32_e32 v2, v1
	s_delay_alu instid0(VALU_DEP_1) | instskip(NEXT) | instid1(VALU_DEP_1)
	v_min_u32_e32 v4, 32, v2
	v_lshlrev_b64 v[2:3], v4, v[0:1]
	v_lshlrev_b64 v[0:1], 2, v[0:1]
	s_delay_alu instid0(VALU_DEP_2) | instskip(NEXT) | instid1(VALU_DEP_2)
	v_min_u32_e32 v2, 1, v2
	v_add_co_u32 v0, vcc_lo, s0, v0
	s_delay_alu instid0(VALU_DEP_3) | instskip(NEXT) | instid1(VALU_DEP_3)
	v_add_co_ci_u32_e32 v1, vcc_lo, s1, v1, vcc_lo
	v_or_b32_e32 v2, v3, v2
	v_sub_nc_u32_e32 v3, 32, v4
	s_delay_alu instid0(VALU_DEP_2) | instskip(NEXT) | instid1(VALU_DEP_1)
	v_cvt_f32_u32_e32 v2, v2
	v_ldexp_f32 v2, v2, v3
	s_delay_alu instid0(VALU_DEP_1)
	v_fma_f32 v2, s3, v2, s2
	flat_store_b32 v[0:1], v2
	s_endpgm
	.section	.rodata,"a",@progbits
	.p2align	6, 0x0
	.amdhsa_kernel _ZN6thrust23THRUST_200600_302600_NS11hip_rocprim14__parallel_for6kernelILj256ENS1_10__tabulate7functorINS0_6detail15normal_iteratorINS0_10device_ptrIfEEEENS0_6system6detail7generic6detail22compute_sequence_valueIfvEElEElLj1EEEvT0_T1_SJ_
		.amdhsa_group_segment_fixed_size 0
		.amdhsa_private_segment_fixed_size 0
		.amdhsa_kernarg_size 32
		.amdhsa_user_sgpr_count 15
		.amdhsa_user_sgpr_dispatch_ptr 0
		.amdhsa_user_sgpr_queue_ptr 0
		.amdhsa_user_sgpr_kernarg_segment_ptr 1
		.amdhsa_user_sgpr_dispatch_id 0
		.amdhsa_user_sgpr_private_segment_size 0
		.amdhsa_wavefront_size32 1
		.amdhsa_uses_dynamic_stack 0
		.amdhsa_enable_private_segment 0
		.amdhsa_system_sgpr_workgroup_id_x 1
		.amdhsa_system_sgpr_workgroup_id_y 0
		.amdhsa_system_sgpr_workgroup_id_z 0
		.amdhsa_system_sgpr_workgroup_info 0
		.amdhsa_system_vgpr_workitem_id 0
		.amdhsa_next_free_vgpr 6
		.amdhsa_next_free_sgpr 16
		.amdhsa_reserve_vcc 1
		.amdhsa_float_round_mode_32 0
		.amdhsa_float_round_mode_16_64 0
		.amdhsa_float_denorm_mode_32 3
		.amdhsa_float_denorm_mode_16_64 3
		.amdhsa_dx10_clamp 1
		.amdhsa_ieee_mode 1
		.amdhsa_fp16_overflow 0
		.amdhsa_workgroup_processor_mode 1
		.amdhsa_memory_ordered 1
		.amdhsa_forward_progress 0
		.amdhsa_shared_vgpr_count 0
		.amdhsa_exception_fp_ieee_invalid_op 0
		.amdhsa_exception_fp_denorm_src 0
		.amdhsa_exception_fp_ieee_div_zero 0
		.amdhsa_exception_fp_ieee_overflow 0
		.amdhsa_exception_fp_ieee_underflow 0
		.amdhsa_exception_fp_ieee_inexact 0
		.amdhsa_exception_int_div_zero 0
	.end_amdhsa_kernel
	.section	.text._ZN6thrust23THRUST_200600_302600_NS11hip_rocprim14__parallel_for6kernelILj256ENS1_10__tabulate7functorINS0_6detail15normal_iteratorINS0_10device_ptrIfEEEENS0_6system6detail7generic6detail22compute_sequence_valueIfvEElEElLj1EEEvT0_T1_SJ_,"axG",@progbits,_ZN6thrust23THRUST_200600_302600_NS11hip_rocprim14__parallel_for6kernelILj256ENS1_10__tabulate7functorINS0_6detail15normal_iteratorINS0_10device_ptrIfEEEENS0_6system6detail7generic6detail22compute_sequence_valueIfvEElEElLj1EEEvT0_T1_SJ_,comdat
.Lfunc_end260:
	.size	_ZN6thrust23THRUST_200600_302600_NS11hip_rocprim14__parallel_for6kernelILj256ENS1_10__tabulate7functorINS0_6detail15normal_iteratorINS0_10device_ptrIfEEEENS0_6system6detail7generic6detail22compute_sequence_valueIfvEElEElLj1EEEvT0_T1_SJ_, .Lfunc_end260-_ZN6thrust23THRUST_200600_302600_NS11hip_rocprim14__parallel_for6kernelILj256ENS1_10__tabulate7functorINS0_6detail15normal_iteratorINS0_10device_ptrIfEEEENS0_6system6detail7generic6detail22compute_sequence_valueIfvEElEElLj1EEEvT0_T1_SJ_
                                        ; -- End function
	.section	.AMDGPU.csdata,"",@progbits
; Kernel info:
; codeLenInByte = 344
; NumSgprs: 18
; NumVgprs: 6
; ScratchSize: 0
; MemoryBound: 0
; FloatMode: 240
; IeeeMode: 1
; LDSByteSize: 0 bytes/workgroup (compile time only)
; SGPRBlocks: 2
; VGPRBlocks: 0
; NumSGPRsForWavesPerEU: 18
; NumVGPRsForWavesPerEU: 6
; Occupancy: 16
; WaveLimiterHint : 0
; COMPUTE_PGM_RSRC2:SCRATCH_EN: 0
; COMPUTE_PGM_RSRC2:USER_SGPR: 15
; COMPUTE_PGM_RSRC2:TRAP_HANDLER: 0
; COMPUTE_PGM_RSRC2:TGID_X_EN: 1
; COMPUTE_PGM_RSRC2:TGID_Y_EN: 0
; COMPUTE_PGM_RSRC2:TGID_Z_EN: 0
; COMPUTE_PGM_RSRC2:TIDIG_COMP_CNT: 0
	.section	.text._ZN7rocprim17ROCPRIM_400000_NS6detail17trampoline_kernelINS0_14default_configENS1_27lower_bound_config_selectorIfiEEZNS1_14transform_implILb0ES3_S5_N6thrust23THRUST_200600_302600_NS6detail15normal_iteratorINS8_10device_ptrIfEEEENSA_INSB_IiEEEEZNS1_13binary_searchIS3_S5_SD_SD_SF_NS1_21lower_bound_search_opENS9_16wrapped_functionINS0_4lessIvEEbEEEE10hipError_tPvRmT1_T2_T3_mmT4_T5_P12ihipStream_tbEUlRKfE_EESM_SQ_SR_mSS_SV_bEUlT_E_NS1_11comp_targetILNS1_3genE0ELNS1_11target_archE4294967295ELNS1_3gpuE0ELNS1_3repE0EEENS1_30default_config_static_selectorELNS0_4arch9wavefront6targetE0EEEvSP_,"axG",@progbits,_ZN7rocprim17ROCPRIM_400000_NS6detail17trampoline_kernelINS0_14default_configENS1_27lower_bound_config_selectorIfiEEZNS1_14transform_implILb0ES3_S5_N6thrust23THRUST_200600_302600_NS6detail15normal_iteratorINS8_10device_ptrIfEEEENSA_INSB_IiEEEEZNS1_13binary_searchIS3_S5_SD_SD_SF_NS1_21lower_bound_search_opENS9_16wrapped_functionINS0_4lessIvEEbEEEE10hipError_tPvRmT1_T2_T3_mmT4_T5_P12ihipStream_tbEUlRKfE_EESM_SQ_SR_mSS_SV_bEUlT_E_NS1_11comp_targetILNS1_3genE0ELNS1_11target_archE4294967295ELNS1_3gpuE0ELNS1_3repE0EEENS1_30default_config_static_selectorELNS0_4arch9wavefront6targetE0EEEvSP_,comdat
	.protected	_ZN7rocprim17ROCPRIM_400000_NS6detail17trampoline_kernelINS0_14default_configENS1_27lower_bound_config_selectorIfiEEZNS1_14transform_implILb0ES3_S5_N6thrust23THRUST_200600_302600_NS6detail15normal_iteratorINS8_10device_ptrIfEEEENSA_INSB_IiEEEEZNS1_13binary_searchIS3_S5_SD_SD_SF_NS1_21lower_bound_search_opENS9_16wrapped_functionINS0_4lessIvEEbEEEE10hipError_tPvRmT1_T2_T3_mmT4_T5_P12ihipStream_tbEUlRKfE_EESM_SQ_SR_mSS_SV_bEUlT_E_NS1_11comp_targetILNS1_3genE0ELNS1_11target_archE4294967295ELNS1_3gpuE0ELNS1_3repE0EEENS1_30default_config_static_selectorELNS0_4arch9wavefront6targetE0EEEvSP_ ; -- Begin function _ZN7rocprim17ROCPRIM_400000_NS6detail17trampoline_kernelINS0_14default_configENS1_27lower_bound_config_selectorIfiEEZNS1_14transform_implILb0ES3_S5_N6thrust23THRUST_200600_302600_NS6detail15normal_iteratorINS8_10device_ptrIfEEEENSA_INSB_IiEEEEZNS1_13binary_searchIS3_S5_SD_SD_SF_NS1_21lower_bound_search_opENS9_16wrapped_functionINS0_4lessIvEEbEEEE10hipError_tPvRmT1_T2_T3_mmT4_T5_P12ihipStream_tbEUlRKfE_EESM_SQ_SR_mSS_SV_bEUlT_E_NS1_11comp_targetILNS1_3genE0ELNS1_11target_archE4294967295ELNS1_3gpuE0ELNS1_3repE0EEENS1_30default_config_static_selectorELNS0_4arch9wavefront6targetE0EEEvSP_
	.globl	_ZN7rocprim17ROCPRIM_400000_NS6detail17trampoline_kernelINS0_14default_configENS1_27lower_bound_config_selectorIfiEEZNS1_14transform_implILb0ES3_S5_N6thrust23THRUST_200600_302600_NS6detail15normal_iteratorINS8_10device_ptrIfEEEENSA_INSB_IiEEEEZNS1_13binary_searchIS3_S5_SD_SD_SF_NS1_21lower_bound_search_opENS9_16wrapped_functionINS0_4lessIvEEbEEEE10hipError_tPvRmT1_T2_T3_mmT4_T5_P12ihipStream_tbEUlRKfE_EESM_SQ_SR_mSS_SV_bEUlT_E_NS1_11comp_targetILNS1_3genE0ELNS1_11target_archE4294967295ELNS1_3gpuE0ELNS1_3repE0EEENS1_30default_config_static_selectorELNS0_4arch9wavefront6targetE0EEEvSP_
	.p2align	8
	.type	_ZN7rocprim17ROCPRIM_400000_NS6detail17trampoline_kernelINS0_14default_configENS1_27lower_bound_config_selectorIfiEEZNS1_14transform_implILb0ES3_S5_N6thrust23THRUST_200600_302600_NS6detail15normal_iteratorINS8_10device_ptrIfEEEENSA_INSB_IiEEEEZNS1_13binary_searchIS3_S5_SD_SD_SF_NS1_21lower_bound_search_opENS9_16wrapped_functionINS0_4lessIvEEbEEEE10hipError_tPvRmT1_T2_T3_mmT4_T5_P12ihipStream_tbEUlRKfE_EESM_SQ_SR_mSS_SV_bEUlT_E_NS1_11comp_targetILNS1_3genE0ELNS1_11target_archE4294967295ELNS1_3gpuE0ELNS1_3repE0EEENS1_30default_config_static_selectorELNS0_4arch9wavefront6targetE0EEEvSP_,@function
_ZN7rocprim17ROCPRIM_400000_NS6detail17trampoline_kernelINS0_14default_configENS1_27lower_bound_config_selectorIfiEEZNS1_14transform_implILb0ES3_S5_N6thrust23THRUST_200600_302600_NS6detail15normal_iteratorINS8_10device_ptrIfEEEENSA_INSB_IiEEEEZNS1_13binary_searchIS3_S5_SD_SD_SF_NS1_21lower_bound_search_opENS9_16wrapped_functionINS0_4lessIvEEbEEEE10hipError_tPvRmT1_T2_T3_mmT4_T5_P12ihipStream_tbEUlRKfE_EESM_SQ_SR_mSS_SV_bEUlT_E_NS1_11comp_targetILNS1_3genE0ELNS1_11target_archE4294967295ELNS1_3gpuE0ELNS1_3repE0EEENS1_30default_config_static_selectorELNS0_4arch9wavefront6targetE0EEEvSP_: ; @_ZN7rocprim17ROCPRIM_400000_NS6detail17trampoline_kernelINS0_14default_configENS1_27lower_bound_config_selectorIfiEEZNS1_14transform_implILb0ES3_S5_N6thrust23THRUST_200600_302600_NS6detail15normal_iteratorINS8_10device_ptrIfEEEENSA_INSB_IiEEEEZNS1_13binary_searchIS3_S5_SD_SD_SF_NS1_21lower_bound_search_opENS9_16wrapped_functionINS0_4lessIvEEbEEEE10hipError_tPvRmT1_T2_T3_mmT4_T5_P12ihipStream_tbEUlRKfE_EESM_SQ_SR_mSS_SV_bEUlT_E_NS1_11comp_targetILNS1_3genE0ELNS1_11target_archE4294967295ELNS1_3gpuE0ELNS1_3repE0EEENS1_30default_config_static_selectorELNS0_4arch9wavefront6targetE0EEEvSP_
; %bb.0:
	.section	.rodata,"a",@progbits
	.p2align	6, 0x0
	.amdhsa_kernel _ZN7rocprim17ROCPRIM_400000_NS6detail17trampoline_kernelINS0_14default_configENS1_27lower_bound_config_selectorIfiEEZNS1_14transform_implILb0ES3_S5_N6thrust23THRUST_200600_302600_NS6detail15normal_iteratorINS8_10device_ptrIfEEEENSA_INSB_IiEEEEZNS1_13binary_searchIS3_S5_SD_SD_SF_NS1_21lower_bound_search_opENS9_16wrapped_functionINS0_4lessIvEEbEEEE10hipError_tPvRmT1_T2_T3_mmT4_T5_P12ihipStream_tbEUlRKfE_EESM_SQ_SR_mSS_SV_bEUlT_E_NS1_11comp_targetILNS1_3genE0ELNS1_11target_archE4294967295ELNS1_3gpuE0ELNS1_3repE0EEENS1_30default_config_static_selectorELNS0_4arch9wavefront6targetE0EEEvSP_
		.amdhsa_group_segment_fixed_size 0
		.amdhsa_private_segment_fixed_size 0
		.amdhsa_kernarg_size 56
		.amdhsa_user_sgpr_count 15
		.amdhsa_user_sgpr_dispatch_ptr 0
		.amdhsa_user_sgpr_queue_ptr 0
		.amdhsa_user_sgpr_kernarg_segment_ptr 1
		.amdhsa_user_sgpr_dispatch_id 0
		.amdhsa_user_sgpr_private_segment_size 0
		.amdhsa_wavefront_size32 1
		.amdhsa_uses_dynamic_stack 0
		.amdhsa_enable_private_segment 0
		.amdhsa_system_sgpr_workgroup_id_x 1
		.amdhsa_system_sgpr_workgroup_id_y 0
		.amdhsa_system_sgpr_workgroup_id_z 0
		.amdhsa_system_sgpr_workgroup_info 0
		.amdhsa_system_vgpr_workitem_id 0
		.amdhsa_next_free_vgpr 1
		.amdhsa_next_free_sgpr 1
		.amdhsa_reserve_vcc 0
		.amdhsa_float_round_mode_32 0
		.amdhsa_float_round_mode_16_64 0
		.amdhsa_float_denorm_mode_32 3
		.amdhsa_float_denorm_mode_16_64 3
		.amdhsa_dx10_clamp 1
		.amdhsa_ieee_mode 1
		.amdhsa_fp16_overflow 0
		.amdhsa_workgroup_processor_mode 1
		.amdhsa_memory_ordered 1
		.amdhsa_forward_progress 0
		.amdhsa_shared_vgpr_count 0
		.amdhsa_exception_fp_ieee_invalid_op 0
		.amdhsa_exception_fp_denorm_src 0
		.amdhsa_exception_fp_ieee_div_zero 0
		.amdhsa_exception_fp_ieee_overflow 0
		.amdhsa_exception_fp_ieee_underflow 0
		.amdhsa_exception_fp_ieee_inexact 0
		.amdhsa_exception_int_div_zero 0
	.end_amdhsa_kernel
	.section	.text._ZN7rocprim17ROCPRIM_400000_NS6detail17trampoline_kernelINS0_14default_configENS1_27lower_bound_config_selectorIfiEEZNS1_14transform_implILb0ES3_S5_N6thrust23THRUST_200600_302600_NS6detail15normal_iteratorINS8_10device_ptrIfEEEENSA_INSB_IiEEEEZNS1_13binary_searchIS3_S5_SD_SD_SF_NS1_21lower_bound_search_opENS9_16wrapped_functionINS0_4lessIvEEbEEEE10hipError_tPvRmT1_T2_T3_mmT4_T5_P12ihipStream_tbEUlRKfE_EESM_SQ_SR_mSS_SV_bEUlT_E_NS1_11comp_targetILNS1_3genE0ELNS1_11target_archE4294967295ELNS1_3gpuE0ELNS1_3repE0EEENS1_30default_config_static_selectorELNS0_4arch9wavefront6targetE0EEEvSP_,"axG",@progbits,_ZN7rocprim17ROCPRIM_400000_NS6detail17trampoline_kernelINS0_14default_configENS1_27lower_bound_config_selectorIfiEEZNS1_14transform_implILb0ES3_S5_N6thrust23THRUST_200600_302600_NS6detail15normal_iteratorINS8_10device_ptrIfEEEENSA_INSB_IiEEEEZNS1_13binary_searchIS3_S5_SD_SD_SF_NS1_21lower_bound_search_opENS9_16wrapped_functionINS0_4lessIvEEbEEEE10hipError_tPvRmT1_T2_T3_mmT4_T5_P12ihipStream_tbEUlRKfE_EESM_SQ_SR_mSS_SV_bEUlT_E_NS1_11comp_targetILNS1_3genE0ELNS1_11target_archE4294967295ELNS1_3gpuE0ELNS1_3repE0EEENS1_30default_config_static_selectorELNS0_4arch9wavefront6targetE0EEEvSP_,comdat
.Lfunc_end261:
	.size	_ZN7rocprim17ROCPRIM_400000_NS6detail17trampoline_kernelINS0_14default_configENS1_27lower_bound_config_selectorIfiEEZNS1_14transform_implILb0ES3_S5_N6thrust23THRUST_200600_302600_NS6detail15normal_iteratorINS8_10device_ptrIfEEEENSA_INSB_IiEEEEZNS1_13binary_searchIS3_S5_SD_SD_SF_NS1_21lower_bound_search_opENS9_16wrapped_functionINS0_4lessIvEEbEEEE10hipError_tPvRmT1_T2_T3_mmT4_T5_P12ihipStream_tbEUlRKfE_EESM_SQ_SR_mSS_SV_bEUlT_E_NS1_11comp_targetILNS1_3genE0ELNS1_11target_archE4294967295ELNS1_3gpuE0ELNS1_3repE0EEENS1_30default_config_static_selectorELNS0_4arch9wavefront6targetE0EEEvSP_, .Lfunc_end261-_ZN7rocprim17ROCPRIM_400000_NS6detail17trampoline_kernelINS0_14default_configENS1_27lower_bound_config_selectorIfiEEZNS1_14transform_implILb0ES3_S5_N6thrust23THRUST_200600_302600_NS6detail15normal_iteratorINS8_10device_ptrIfEEEENSA_INSB_IiEEEEZNS1_13binary_searchIS3_S5_SD_SD_SF_NS1_21lower_bound_search_opENS9_16wrapped_functionINS0_4lessIvEEbEEEE10hipError_tPvRmT1_T2_T3_mmT4_T5_P12ihipStream_tbEUlRKfE_EESM_SQ_SR_mSS_SV_bEUlT_E_NS1_11comp_targetILNS1_3genE0ELNS1_11target_archE4294967295ELNS1_3gpuE0ELNS1_3repE0EEENS1_30default_config_static_selectorELNS0_4arch9wavefront6targetE0EEEvSP_
                                        ; -- End function
	.section	.AMDGPU.csdata,"",@progbits
; Kernel info:
; codeLenInByte = 0
; NumSgprs: 0
; NumVgprs: 0
; ScratchSize: 0
; MemoryBound: 0
; FloatMode: 240
; IeeeMode: 1
; LDSByteSize: 0 bytes/workgroup (compile time only)
; SGPRBlocks: 0
; VGPRBlocks: 0
; NumSGPRsForWavesPerEU: 1
; NumVGPRsForWavesPerEU: 1
; Occupancy: 16
; WaveLimiterHint : 0
; COMPUTE_PGM_RSRC2:SCRATCH_EN: 0
; COMPUTE_PGM_RSRC2:USER_SGPR: 15
; COMPUTE_PGM_RSRC2:TRAP_HANDLER: 0
; COMPUTE_PGM_RSRC2:TGID_X_EN: 1
; COMPUTE_PGM_RSRC2:TGID_Y_EN: 0
; COMPUTE_PGM_RSRC2:TGID_Z_EN: 0
; COMPUTE_PGM_RSRC2:TIDIG_COMP_CNT: 0
	.section	.text._ZN7rocprim17ROCPRIM_400000_NS6detail17trampoline_kernelINS0_14default_configENS1_27lower_bound_config_selectorIfiEEZNS1_14transform_implILb0ES3_S5_N6thrust23THRUST_200600_302600_NS6detail15normal_iteratorINS8_10device_ptrIfEEEENSA_INSB_IiEEEEZNS1_13binary_searchIS3_S5_SD_SD_SF_NS1_21lower_bound_search_opENS9_16wrapped_functionINS0_4lessIvEEbEEEE10hipError_tPvRmT1_T2_T3_mmT4_T5_P12ihipStream_tbEUlRKfE_EESM_SQ_SR_mSS_SV_bEUlT_E_NS1_11comp_targetILNS1_3genE5ELNS1_11target_archE942ELNS1_3gpuE9ELNS1_3repE0EEENS1_30default_config_static_selectorELNS0_4arch9wavefront6targetE0EEEvSP_,"axG",@progbits,_ZN7rocprim17ROCPRIM_400000_NS6detail17trampoline_kernelINS0_14default_configENS1_27lower_bound_config_selectorIfiEEZNS1_14transform_implILb0ES3_S5_N6thrust23THRUST_200600_302600_NS6detail15normal_iteratorINS8_10device_ptrIfEEEENSA_INSB_IiEEEEZNS1_13binary_searchIS3_S5_SD_SD_SF_NS1_21lower_bound_search_opENS9_16wrapped_functionINS0_4lessIvEEbEEEE10hipError_tPvRmT1_T2_T3_mmT4_T5_P12ihipStream_tbEUlRKfE_EESM_SQ_SR_mSS_SV_bEUlT_E_NS1_11comp_targetILNS1_3genE5ELNS1_11target_archE942ELNS1_3gpuE9ELNS1_3repE0EEENS1_30default_config_static_selectorELNS0_4arch9wavefront6targetE0EEEvSP_,comdat
	.protected	_ZN7rocprim17ROCPRIM_400000_NS6detail17trampoline_kernelINS0_14default_configENS1_27lower_bound_config_selectorIfiEEZNS1_14transform_implILb0ES3_S5_N6thrust23THRUST_200600_302600_NS6detail15normal_iteratorINS8_10device_ptrIfEEEENSA_INSB_IiEEEEZNS1_13binary_searchIS3_S5_SD_SD_SF_NS1_21lower_bound_search_opENS9_16wrapped_functionINS0_4lessIvEEbEEEE10hipError_tPvRmT1_T2_T3_mmT4_T5_P12ihipStream_tbEUlRKfE_EESM_SQ_SR_mSS_SV_bEUlT_E_NS1_11comp_targetILNS1_3genE5ELNS1_11target_archE942ELNS1_3gpuE9ELNS1_3repE0EEENS1_30default_config_static_selectorELNS0_4arch9wavefront6targetE0EEEvSP_ ; -- Begin function _ZN7rocprim17ROCPRIM_400000_NS6detail17trampoline_kernelINS0_14default_configENS1_27lower_bound_config_selectorIfiEEZNS1_14transform_implILb0ES3_S5_N6thrust23THRUST_200600_302600_NS6detail15normal_iteratorINS8_10device_ptrIfEEEENSA_INSB_IiEEEEZNS1_13binary_searchIS3_S5_SD_SD_SF_NS1_21lower_bound_search_opENS9_16wrapped_functionINS0_4lessIvEEbEEEE10hipError_tPvRmT1_T2_T3_mmT4_T5_P12ihipStream_tbEUlRKfE_EESM_SQ_SR_mSS_SV_bEUlT_E_NS1_11comp_targetILNS1_3genE5ELNS1_11target_archE942ELNS1_3gpuE9ELNS1_3repE0EEENS1_30default_config_static_selectorELNS0_4arch9wavefront6targetE0EEEvSP_
	.globl	_ZN7rocprim17ROCPRIM_400000_NS6detail17trampoline_kernelINS0_14default_configENS1_27lower_bound_config_selectorIfiEEZNS1_14transform_implILb0ES3_S5_N6thrust23THRUST_200600_302600_NS6detail15normal_iteratorINS8_10device_ptrIfEEEENSA_INSB_IiEEEEZNS1_13binary_searchIS3_S5_SD_SD_SF_NS1_21lower_bound_search_opENS9_16wrapped_functionINS0_4lessIvEEbEEEE10hipError_tPvRmT1_T2_T3_mmT4_T5_P12ihipStream_tbEUlRKfE_EESM_SQ_SR_mSS_SV_bEUlT_E_NS1_11comp_targetILNS1_3genE5ELNS1_11target_archE942ELNS1_3gpuE9ELNS1_3repE0EEENS1_30default_config_static_selectorELNS0_4arch9wavefront6targetE0EEEvSP_
	.p2align	8
	.type	_ZN7rocprim17ROCPRIM_400000_NS6detail17trampoline_kernelINS0_14default_configENS1_27lower_bound_config_selectorIfiEEZNS1_14transform_implILb0ES3_S5_N6thrust23THRUST_200600_302600_NS6detail15normal_iteratorINS8_10device_ptrIfEEEENSA_INSB_IiEEEEZNS1_13binary_searchIS3_S5_SD_SD_SF_NS1_21lower_bound_search_opENS9_16wrapped_functionINS0_4lessIvEEbEEEE10hipError_tPvRmT1_T2_T3_mmT4_T5_P12ihipStream_tbEUlRKfE_EESM_SQ_SR_mSS_SV_bEUlT_E_NS1_11comp_targetILNS1_3genE5ELNS1_11target_archE942ELNS1_3gpuE9ELNS1_3repE0EEENS1_30default_config_static_selectorELNS0_4arch9wavefront6targetE0EEEvSP_,@function
_ZN7rocprim17ROCPRIM_400000_NS6detail17trampoline_kernelINS0_14default_configENS1_27lower_bound_config_selectorIfiEEZNS1_14transform_implILb0ES3_S5_N6thrust23THRUST_200600_302600_NS6detail15normal_iteratorINS8_10device_ptrIfEEEENSA_INSB_IiEEEEZNS1_13binary_searchIS3_S5_SD_SD_SF_NS1_21lower_bound_search_opENS9_16wrapped_functionINS0_4lessIvEEbEEEE10hipError_tPvRmT1_T2_T3_mmT4_T5_P12ihipStream_tbEUlRKfE_EESM_SQ_SR_mSS_SV_bEUlT_E_NS1_11comp_targetILNS1_3genE5ELNS1_11target_archE942ELNS1_3gpuE9ELNS1_3repE0EEENS1_30default_config_static_selectorELNS0_4arch9wavefront6targetE0EEEvSP_: ; @_ZN7rocprim17ROCPRIM_400000_NS6detail17trampoline_kernelINS0_14default_configENS1_27lower_bound_config_selectorIfiEEZNS1_14transform_implILb0ES3_S5_N6thrust23THRUST_200600_302600_NS6detail15normal_iteratorINS8_10device_ptrIfEEEENSA_INSB_IiEEEEZNS1_13binary_searchIS3_S5_SD_SD_SF_NS1_21lower_bound_search_opENS9_16wrapped_functionINS0_4lessIvEEbEEEE10hipError_tPvRmT1_T2_T3_mmT4_T5_P12ihipStream_tbEUlRKfE_EESM_SQ_SR_mSS_SV_bEUlT_E_NS1_11comp_targetILNS1_3genE5ELNS1_11target_archE942ELNS1_3gpuE9ELNS1_3repE0EEENS1_30default_config_static_selectorELNS0_4arch9wavefront6targetE0EEEvSP_
; %bb.0:
	.section	.rodata,"a",@progbits
	.p2align	6, 0x0
	.amdhsa_kernel _ZN7rocprim17ROCPRIM_400000_NS6detail17trampoline_kernelINS0_14default_configENS1_27lower_bound_config_selectorIfiEEZNS1_14transform_implILb0ES3_S5_N6thrust23THRUST_200600_302600_NS6detail15normal_iteratorINS8_10device_ptrIfEEEENSA_INSB_IiEEEEZNS1_13binary_searchIS3_S5_SD_SD_SF_NS1_21lower_bound_search_opENS9_16wrapped_functionINS0_4lessIvEEbEEEE10hipError_tPvRmT1_T2_T3_mmT4_T5_P12ihipStream_tbEUlRKfE_EESM_SQ_SR_mSS_SV_bEUlT_E_NS1_11comp_targetILNS1_3genE5ELNS1_11target_archE942ELNS1_3gpuE9ELNS1_3repE0EEENS1_30default_config_static_selectorELNS0_4arch9wavefront6targetE0EEEvSP_
		.amdhsa_group_segment_fixed_size 0
		.amdhsa_private_segment_fixed_size 0
		.amdhsa_kernarg_size 56
		.amdhsa_user_sgpr_count 15
		.amdhsa_user_sgpr_dispatch_ptr 0
		.amdhsa_user_sgpr_queue_ptr 0
		.amdhsa_user_sgpr_kernarg_segment_ptr 1
		.amdhsa_user_sgpr_dispatch_id 0
		.amdhsa_user_sgpr_private_segment_size 0
		.amdhsa_wavefront_size32 1
		.amdhsa_uses_dynamic_stack 0
		.amdhsa_enable_private_segment 0
		.amdhsa_system_sgpr_workgroup_id_x 1
		.amdhsa_system_sgpr_workgroup_id_y 0
		.amdhsa_system_sgpr_workgroup_id_z 0
		.amdhsa_system_sgpr_workgroup_info 0
		.amdhsa_system_vgpr_workitem_id 0
		.amdhsa_next_free_vgpr 1
		.amdhsa_next_free_sgpr 1
		.amdhsa_reserve_vcc 0
		.amdhsa_float_round_mode_32 0
		.amdhsa_float_round_mode_16_64 0
		.amdhsa_float_denorm_mode_32 3
		.amdhsa_float_denorm_mode_16_64 3
		.amdhsa_dx10_clamp 1
		.amdhsa_ieee_mode 1
		.amdhsa_fp16_overflow 0
		.amdhsa_workgroup_processor_mode 1
		.amdhsa_memory_ordered 1
		.amdhsa_forward_progress 0
		.amdhsa_shared_vgpr_count 0
		.amdhsa_exception_fp_ieee_invalid_op 0
		.amdhsa_exception_fp_denorm_src 0
		.amdhsa_exception_fp_ieee_div_zero 0
		.amdhsa_exception_fp_ieee_overflow 0
		.amdhsa_exception_fp_ieee_underflow 0
		.amdhsa_exception_fp_ieee_inexact 0
		.amdhsa_exception_int_div_zero 0
	.end_amdhsa_kernel
	.section	.text._ZN7rocprim17ROCPRIM_400000_NS6detail17trampoline_kernelINS0_14default_configENS1_27lower_bound_config_selectorIfiEEZNS1_14transform_implILb0ES3_S5_N6thrust23THRUST_200600_302600_NS6detail15normal_iteratorINS8_10device_ptrIfEEEENSA_INSB_IiEEEEZNS1_13binary_searchIS3_S5_SD_SD_SF_NS1_21lower_bound_search_opENS9_16wrapped_functionINS0_4lessIvEEbEEEE10hipError_tPvRmT1_T2_T3_mmT4_T5_P12ihipStream_tbEUlRKfE_EESM_SQ_SR_mSS_SV_bEUlT_E_NS1_11comp_targetILNS1_3genE5ELNS1_11target_archE942ELNS1_3gpuE9ELNS1_3repE0EEENS1_30default_config_static_selectorELNS0_4arch9wavefront6targetE0EEEvSP_,"axG",@progbits,_ZN7rocprim17ROCPRIM_400000_NS6detail17trampoline_kernelINS0_14default_configENS1_27lower_bound_config_selectorIfiEEZNS1_14transform_implILb0ES3_S5_N6thrust23THRUST_200600_302600_NS6detail15normal_iteratorINS8_10device_ptrIfEEEENSA_INSB_IiEEEEZNS1_13binary_searchIS3_S5_SD_SD_SF_NS1_21lower_bound_search_opENS9_16wrapped_functionINS0_4lessIvEEbEEEE10hipError_tPvRmT1_T2_T3_mmT4_T5_P12ihipStream_tbEUlRKfE_EESM_SQ_SR_mSS_SV_bEUlT_E_NS1_11comp_targetILNS1_3genE5ELNS1_11target_archE942ELNS1_3gpuE9ELNS1_3repE0EEENS1_30default_config_static_selectorELNS0_4arch9wavefront6targetE0EEEvSP_,comdat
.Lfunc_end262:
	.size	_ZN7rocprim17ROCPRIM_400000_NS6detail17trampoline_kernelINS0_14default_configENS1_27lower_bound_config_selectorIfiEEZNS1_14transform_implILb0ES3_S5_N6thrust23THRUST_200600_302600_NS6detail15normal_iteratorINS8_10device_ptrIfEEEENSA_INSB_IiEEEEZNS1_13binary_searchIS3_S5_SD_SD_SF_NS1_21lower_bound_search_opENS9_16wrapped_functionINS0_4lessIvEEbEEEE10hipError_tPvRmT1_T2_T3_mmT4_T5_P12ihipStream_tbEUlRKfE_EESM_SQ_SR_mSS_SV_bEUlT_E_NS1_11comp_targetILNS1_3genE5ELNS1_11target_archE942ELNS1_3gpuE9ELNS1_3repE0EEENS1_30default_config_static_selectorELNS0_4arch9wavefront6targetE0EEEvSP_, .Lfunc_end262-_ZN7rocprim17ROCPRIM_400000_NS6detail17trampoline_kernelINS0_14default_configENS1_27lower_bound_config_selectorIfiEEZNS1_14transform_implILb0ES3_S5_N6thrust23THRUST_200600_302600_NS6detail15normal_iteratorINS8_10device_ptrIfEEEENSA_INSB_IiEEEEZNS1_13binary_searchIS3_S5_SD_SD_SF_NS1_21lower_bound_search_opENS9_16wrapped_functionINS0_4lessIvEEbEEEE10hipError_tPvRmT1_T2_T3_mmT4_T5_P12ihipStream_tbEUlRKfE_EESM_SQ_SR_mSS_SV_bEUlT_E_NS1_11comp_targetILNS1_3genE5ELNS1_11target_archE942ELNS1_3gpuE9ELNS1_3repE0EEENS1_30default_config_static_selectorELNS0_4arch9wavefront6targetE0EEEvSP_
                                        ; -- End function
	.section	.AMDGPU.csdata,"",@progbits
; Kernel info:
; codeLenInByte = 0
; NumSgprs: 0
; NumVgprs: 0
; ScratchSize: 0
; MemoryBound: 0
; FloatMode: 240
; IeeeMode: 1
; LDSByteSize: 0 bytes/workgroup (compile time only)
; SGPRBlocks: 0
; VGPRBlocks: 0
; NumSGPRsForWavesPerEU: 1
; NumVGPRsForWavesPerEU: 1
; Occupancy: 16
; WaveLimiterHint : 0
; COMPUTE_PGM_RSRC2:SCRATCH_EN: 0
; COMPUTE_PGM_RSRC2:USER_SGPR: 15
; COMPUTE_PGM_RSRC2:TRAP_HANDLER: 0
; COMPUTE_PGM_RSRC2:TGID_X_EN: 1
; COMPUTE_PGM_RSRC2:TGID_Y_EN: 0
; COMPUTE_PGM_RSRC2:TGID_Z_EN: 0
; COMPUTE_PGM_RSRC2:TIDIG_COMP_CNT: 0
	.section	.text._ZN7rocprim17ROCPRIM_400000_NS6detail17trampoline_kernelINS0_14default_configENS1_27lower_bound_config_selectorIfiEEZNS1_14transform_implILb0ES3_S5_N6thrust23THRUST_200600_302600_NS6detail15normal_iteratorINS8_10device_ptrIfEEEENSA_INSB_IiEEEEZNS1_13binary_searchIS3_S5_SD_SD_SF_NS1_21lower_bound_search_opENS9_16wrapped_functionINS0_4lessIvEEbEEEE10hipError_tPvRmT1_T2_T3_mmT4_T5_P12ihipStream_tbEUlRKfE_EESM_SQ_SR_mSS_SV_bEUlT_E_NS1_11comp_targetILNS1_3genE4ELNS1_11target_archE910ELNS1_3gpuE8ELNS1_3repE0EEENS1_30default_config_static_selectorELNS0_4arch9wavefront6targetE0EEEvSP_,"axG",@progbits,_ZN7rocprim17ROCPRIM_400000_NS6detail17trampoline_kernelINS0_14default_configENS1_27lower_bound_config_selectorIfiEEZNS1_14transform_implILb0ES3_S5_N6thrust23THRUST_200600_302600_NS6detail15normal_iteratorINS8_10device_ptrIfEEEENSA_INSB_IiEEEEZNS1_13binary_searchIS3_S5_SD_SD_SF_NS1_21lower_bound_search_opENS9_16wrapped_functionINS0_4lessIvEEbEEEE10hipError_tPvRmT1_T2_T3_mmT4_T5_P12ihipStream_tbEUlRKfE_EESM_SQ_SR_mSS_SV_bEUlT_E_NS1_11comp_targetILNS1_3genE4ELNS1_11target_archE910ELNS1_3gpuE8ELNS1_3repE0EEENS1_30default_config_static_selectorELNS0_4arch9wavefront6targetE0EEEvSP_,comdat
	.protected	_ZN7rocprim17ROCPRIM_400000_NS6detail17trampoline_kernelINS0_14default_configENS1_27lower_bound_config_selectorIfiEEZNS1_14transform_implILb0ES3_S5_N6thrust23THRUST_200600_302600_NS6detail15normal_iteratorINS8_10device_ptrIfEEEENSA_INSB_IiEEEEZNS1_13binary_searchIS3_S5_SD_SD_SF_NS1_21lower_bound_search_opENS9_16wrapped_functionINS0_4lessIvEEbEEEE10hipError_tPvRmT1_T2_T3_mmT4_T5_P12ihipStream_tbEUlRKfE_EESM_SQ_SR_mSS_SV_bEUlT_E_NS1_11comp_targetILNS1_3genE4ELNS1_11target_archE910ELNS1_3gpuE8ELNS1_3repE0EEENS1_30default_config_static_selectorELNS0_4arch9wavefront6targetE0EEEvSP_ ; -- Begin function _ZN7rocprim17ROCPRIM_400000_NS6detail17trampoline_kernelINS0_14default_configENS1_27lower_bound_config_selectorIfiEEZNS1_14transform_implILb0ES3_S5_N6thrust23THRUST_200600_302600_NS6detail15normal_iteratorINS8_10device_ptrIfEEEENSA_INSB_IiEEEEZNS1_13binary_searchIS3_S5_SD_SD_SF_NS1_21lower_bound_search_opENS9_16wrapped_functionINS0_4lessIvEEbEEEE10hipError_tPvRmT1_T2_T3_mmT4_T5_P12ihipStream_tbEUlRKfE_EESM_SQ_SR_mSS_SV_bEUlT_E_NS1_11comp_targetILNS1_3genE4ELNS1_11target_archE910ELNS1_3gpuE8ELNS1_3repE0EEENS1_30default_config_static_selectorELNS0_4arch9wavefront6targetE0EEEvSP_
	.globl	_ZN7rocprim17ROCPRIM_400000_NS6detail17trampoline_kernelINS0_14default_configENS1_27lower_bound_config_selectorIfiEEZNS1_14transform_implILb0ES3_S5_N6thrust23THRUST_200600_302600_NS6detail15normal_iteratorINS8_10device_ptrIfEEEENSA_INSB_IiEEEEZNS1_13binary_searchIS3_S5_SD_SD_SF_NS1_21lower_bound_search_opENS9_16wrapped_functionINS0_4lessIvEEbEEEE10hipError_tPvRmT1_T2_T3_mmT4_T5_P12ihipStream_tbEUlRKfE_EESM_SQ_SR_mSS_SV_bEUlT_E_NS1_11comp_targetILNS1_3genE4ELNS1_11target_archE910ELNS1_3gpuE8ELNS1_3repE0EEENS1_30default_config_static_selectorELNS0_4arch9wavefront6targetE0EEEvSP_
	.p2align	8
	.type	_ZN7rocprim17ROCPRIM_400000_NS6detail17trampoline_kernelINS0_14default_configENS1_27lower_bound_config_selectorIfiEEZNS1_14transform_implILb0ES3_S5_N6thrust23THRUST_200600_302600_NS6detail15normal_iteratorINS8_10device_ptrIfEEEENSA_INSB_IiEEEEZNS1_13binary_searchIS3_S5_SD_SD_SF_NS1_21lower_bound_search_opENS9_16wrapped_functionINS0_4lessIvEEbEEEE10hipError_tPvRmT1_T2_T3_mmT4_T5_P12ihipStream_tbEUlRKfE_EESM_SQ_SR_mSS_SV_bEUlT_E_NS1_11comp_targetILNS1_3genE4ELNS1_11target_archE910ELNS1_3gpuE8ELNS1_3repE0EEENS1_30default_config_static_selectorELNS0_4arch9wavefront6targetE0EEEvSP_,@function
_ZN7rocprim17ROCPRIM_400000_NS6detail17trampoline_kernelINS0_14default_configENS1_27lower_bound_config_selectorIfiEEZNS1_14transform_implILb0ES3_S5_N6thrust23THRUST_200600_302600_NS6detail15normal_iteratorINS8_10device_ptrIfEEEENSA_INSB_IiEEEEZNS1_13binary_searchIS3_S5_SD_SD_SF_NS1_21lower_bound_search_opENS9_16wrapped_functionINS0_4lessIvEEbEEEE10hipError_tPvRmT1_T2_T3_mmT4_T5_P12ihipStream_tbEUlRKfE_EESM_SQ_SR_mSS_SV_bEUlT_E_NS1_11comp_targetILNS1_3genE4ELNS1_11target_archE910ELNS1_3gpuE8ELNS1_3repE0EEENS1_30default_config_static_selectorELNS0_4arch9wavefront6targetE0EEEvSP_: ; @_ZN7rocprim17ROCPRIM_400000_NS6detail17trampoline_kernelINS0_14default_configENS1_27lower_bound_config_selectorIfiEEZNS1_14transform_implILb0ES3_S5_N6thrust23THRUST_200600_302600_NS6detail15normal_iteratorINS8_10device_ptrIfEEEENSA_INSB_IiEEEEZNS1_13binary_searchIS3_S5_SD_SD_SF_NS1_21lower_bound_search_opENS9_16wrapped_functionINS0_4lessIvEEbEEEE10hipError_tPvRmT1_T2_T3_mmT4_T5_P12ihipStream_tbEUlRKfE_EESM_SQ_SR_mSS_SV_bEUlT_E_NS1_11comp_targetILNS1_3genE4ELNS1_11target_archE910ELNS1_3gpuE8ELNS1_3repE0EEENS1_30default_config_static_selectorELNS0_4arch9wavefront6targetE0EEEvSP_
; %bb.0:
	.section	.rodata,"a",@progbits
	.p2align	6, 0x0
	.amdhsa_kernel _ZN7rocprim17ROCPRIM_400000_NS6detail17trampoline_kernelINS0_14default_configENS1_27lower_bound_config_selectorIfiEEZNS1_14transform_implILb0ES3_S5_N6thrust23THRUST_200600_302600_NS6detail15normal_iteratorINS8_10device_ptrIfEEEENSA_INSB_IiEEEEZNS1_13binary_searchIS3_S5_SD_SD_SF_NS1_21lower_bound_search_opENS9_16wrapped_functionINS0_4lessIvEEbEEEE10hipError_tPvRmT1_T2_T3_mmT4_T5_P12ihipStream_tbEUlRKfE_EESM_SQ_SR_mSS_SV_bEUlT_E_NS1_11comp_targetILNS1_3genE4ELNS1_11target_archE910ELNS1_3gpuE8ELNS1_3repE0EEENS1_30default_config_static_selectorELNS0_4arch9wavefront6targetE0EEEvSP_
		.amdhsa_group_segment_fixed_size 0
		.amdhsa_private_segment_fixed_size 0
		.amdhsa_kernarg_size 56
		.amdhsa_user_sgpr_count 15
		.amdhsa_user_sgpr_dispatch_ptr 0
		.amdhsa_user_sgpr_queue_ptr 0
		.amdhsa_user_sgpr_kernarg_segment_ptr 1
		.amdhsa_user_sgpr_dispatch_id 0
		.amdhsa_user_sgpr_private_segment_size 0
		.amdhsa_wavefront_size32 1
		.amdhsa_uses_dynamic_stack 0
		.amdhsa_enable_private_segment 0
		.amdhsa_system_sgpr_workgroup_id_x 1
		.amdhsa_system_sgpr_workgroup_id_y 0
		.amdhsa_system_sgpr_workgroup_id_z 0
		.amdhsa_system_sgpr_workgroup_info 0
		.amdhsa_system_vgpr_workitem_id 0
		.amdhsa_next_free_vgpr 1
		.amdhsa_next_free_sgpr 1
		.amdhsa_reserve_vcc 0
		.amdhsa_float_round_mode_32 0
		.amdhsa_float_round_mode_16_64 0
		.amdhsa_float_denorm_mode_32 3
		.amdhsa_float_denorm_mode_16_64 3
		.amdhsa_dx10_clamp 1
		.amdhsa_ieee_mode 1
		.amdhsa_fp16_overflow 0
		.amdhsa_workgroup_processor_mode 1
		.amdhsa_memory_ordered 1
		.amdhsa_forward_progress 0
		.amdhsa_shared_vgpr_count 0
		.amdhsa_exception_fp_ieee_invalid_op 0
		.amdhsa_exception_fp_denorm_src 0
		.amdhsa_exception_fp_ieee_div_zero 0
		.amdhsa_exception_fp_ieee_overflow 0
		.amdhsa_exception_fp_ieee_underflow 0
		.amdhsa_exception_fp_ieee_inexact 0
		.amdhsa_exception_int_div_zero 0
	.end_amdhsa_kernel
	.section	.text._ZN7rocprim17ROCPRIM_400000_NS6detail17trampoline_kernelINS0_14default_configENS1_27lower_bound_config_selectorIfiEEZNS1_14transform_implILb0ES3_S5_N6thrust23THRUST_200600_302600_NS6detail15normal_iteratorINS8_10device_ptrIfEEEENSA_INSB_IiEEEEZNS1_13binary_searchIS3_S5_SD_SD_SF_NS1_21lower_bound_search_opENS9_16wrapped_functionINS0_4lessIvEEbEEEE10hipError_tPvRmT1_T2_T3_mmT4_T5_P12ihipStream_tbEUlRKfE_EESM_SQ_SR_mSS_SV_bEUlT_E_NS1_11comp_targetILNS1_3genE4ELNS1_11target_archE910ELNS1_3gpuE8ELNS1_3repE0EEENS1_30default_config_static_selectorELNS0_4arch9wavefront6targetE0EEEvSP_,"axG",@progbits,_ZN7rocprim17ROCPRIM_400000_NS6detail17trampoline_kernelINS0_14default_configENS1_27lower_bound_config_selectorIfiEEZNS1_14transform_implILb0ES3_S5_N6thrust23THRUST_200600_302600_NS6detail15normal_iteratorINS8_10device_ptrIfEEEENSA_INSB_IiEEEEZNS1_13binary_searchIS3_S5_SD_SD_SF_NS1_21lower_bound_search_opENS9_16wrapped_functionINS0_4lessIvEEbEEEE10hipError_tPvRmT1_T2_T3_mmT4_T5_P12ihipStream_tbEUlRKfE_EESM_SQ_SR_mSS_SV_bEUlT_E_NS1_11comp_targetILNS1_3genE4ELNS1_11target_archE910ELNS1_3gpuE8ELNS1_3repE0EEENS1_30default_config_static_selectorELNS0_4arch9wavefront6targetE0EEEvSP_,comdat
.Lfunc_end263:
	.size	_ZN7rocprim17ROCPRIM_400000_NS6detail17trampoline_kernelINS0_14default_configENS1_27lower_bound_config_selectorIfiEEZNS1_14transform_implILb0ES3_S5_N6thrust23THRUST_200600_302600_NS6detail15normal_iteratorINS8_10device_ptrIfEEEENSA_INSB_IiEEEEZNS1_13binary_searchIS3_S5_SD_SD_SF_NS1_21lower_bound_search_opENS9_16wrapped_functionINS0_4lessIvEEbEEEE10hipError_tPvRmT1_T2_T3_mmT4_T5_P12ihipStream_tbEUlRKfE_EESM_SQ_SR_mSS_SV_bEUlT_E_NS1_11comp_targetILNS1_3genE4ELNS1_11target_archE910ELNS1_3gpuE8ELNS1_3repE0EEENS1_30default_config_static_selectorELNS0_4arch9wavefront6targetE0EEEvSP_, .Lfunc_end263-_ZN7rocprim17ROCPRIM_400000_NS6detail17trampoline_kernelINS0_14default_configENS1_27lower_bound_config_selectorIfiEEZNS1_14transform_implILb0ES3_S5_N6thrust23THRUST_200600_302600_NS6detail15normal_iteratorINS8_10device_ptrIfEEEENSA_INSB_IiEEEEZNS1_13binary_searchIS3_S5_SD_SD_SF_NS1_21lower_bound_search_opENS9_16wrapped_functionINS0_4lessIvEEbEEEE10hipError_tPvRmT1_T2_T3_mmT4_T5_P12ihipStream_tbEUlRKfE_EESM_SQ_SR_mSS_SV_bEUlT_E_NS1_11comp_targetILNS1_3genE4ELNS1_11target_archE910ELNS1_3gpuE8ELNS1_3repE0EEENS1_30default_config_static_selectorELNS0_4arch9wavefront6targetE0EEEvSP_
                                        ; -- End function
	.section	.AMDGPU.csdata,"",@progbits
; Kernel info:
; codeLenInByte = 0
; NumSgprs: 0
; NumVgprs: 0
; ScratchSize: 0
; MemoryBound: 0
; FloatMode: 240
; IeeeMode: 1
; LDSByteSize: 0 bytes/workgroup (compile time only)
; SGPRBlocks: 0
; VGPRBlocks: 0
; NumSGPRsForWavesPerEU: 1
; NumVGPRsForWavesPerEU: 1
; Occupancy: 16
; WaveLimiterHint : 0
; COMPUTE_PGM_RSRC2:SCRATCH_EN: 0
; COMPUTE_PGM_RSRC2:USER_SGPR: 15
; COMPUTE_PGM_RSRC2:TRAP_HANDLER: 0
; COMPUTE_PGM_RSRC2:TGID_X_EN: 1
; COMPUTE_PGM_RSRC2:TGID_Y_EN: 0
; COMPUTE_PGM_RSRC2:TGID_Z_EN: 0
; COMPUTE_PGM_RSRC2:TIDIG_COMP_CNT: 0
	.section	.text._ZN7rocprim17ROCPRIM_400000_NS6detail17trampoline_kernelINS0_14default_configENS1_27lower_bound_config_selectorIfiEEZNS1_14transform_implILb0ES3_S5_N6thrust23THRUST_200600_302600_NS6detail15normal_iteratorINS8_10device_ptrIfEEEENSA_INSB_IiEEEEZNS1_13binary_searchIS3_S5_SD_SD_SF_NS1_21lower_bound_search_opENS9_16wrapped_functionINS0_4lessIvEEbEEEE10hipError_tPvRmT1_T2_T3_mmT4_T5_P12ihipStream_tbEUlRKfE_EESM_SQ_SR_mSS_SV_bEUlT_E_NS1_11comp_targetILNS1_3genE3ELNS1_11target_archE908ELNS1_3gpuE7ELNS1_3repE0EEENS1_30default_config_static_selectorELNS0_4arch9wavefront6targetE0EEEvSP_,"axG",@progbits,_ZN7rocprim17ROCPRIM_400000_NS6detail17trampoline_kernelINS0_14default_configENS1_27lower_bound_config_selectorIfiEEZNS1_14transform_implILb0ES3_S5_N6thrust23THRUST_200600_302600_NS6detail15normal_iteratorINS8_10device_ptrIfEEEENSA_INSB_IiEEEEZNS1_13binary_searchIS3_S5_SD_SD_SF_NS1_21lower_bound_search_opENS9_16wrapped_functionINS0_4lessIvEEbEEEE10hipError_tPvRmT1_T2_T3_mmT4_T5_P12ihipStream_tbEUlRKfE_EESM_SQ_SR_mSS_SV_bEUlT_E_NS1_11comp_targetILNS1_3genE3ELNS1_11target_archE908ELNS1_3gpuE7ELNS1_3repE0EEENS1_30default_config_static_selectorELNS0_4arch9wavefront6targetE0EEEvSP_,comdat
	.protected	_ZN7rocprim17ROCPRIM_400000_NS6detail17trampoline_kernelINS0_14default_configENS1_27lower_bound_config_selectorIfiEEZNS1_14transform_implILb0ES3_S5_N6thrust23THRUST_200600_302600_NS6detail15normal_iteratorINS8_10device_ptrIfEEEENSA_INSB_IiEEEEZNS1_13binary_searchIS3_S5_SD_SD_SF_NS1_21lower_bound_search_opENS9_16wrapped_functionINS0_4lessIvEEbEEEE10hipError_tPvRmT1_T2_T3_mmT4_T5_P12ihipStream_tbEUlRKfE_EESM_SQ_SR_mSS_SV_bEUlT_E_NS1_11comp_targetILNS1_3genE3ELNS1_11target_archE908ELNS1_3gpuE7ELNS1_3repE0EEENS1_30default_config_static_selectorELNS0_4arch9wavefront6targetE0EEEvSP_ ; -- Begin function _ZN7rocprim17ROCPRIM_400000_NS6detail17trampoline_kernelINS0_14default_configENS1_27lower_bound_config_selectorIfiEEZNS1_14transform_implILb0ES3_S5_N6thrust23THRUST_200600_302600_NS6detail15normal_iteratorINS8_10device_ptrIfEEEENSA_INSB_IiEEEEZNS1_13binary_searchIS3_S5_SD_SD_SF_NS1_21lower_bound_search_opENS9_16wrapped_functionINS0_4lessIvEEbEEEE10hipError_tPvRmT1_T2_T3_mmT4_T5_P12ihipStream_tbEUlRKfE_EESM_SQ_SR_mSS_SV_bEUlT_E_NS1_11comp_targetILNS1_3genE3ELNS1_11target_archE908ELNS1_3gpuE7ELNS1_3repE0EEENS1_30default_config_static_selectorELNS0_4arch9wavefront6targetE0EEEvSP_
	.globl	_ZN7rocprim17ROCPRIM_400000_NS6detail17trampoline_kernelINS0_14default_configENS1_27lower_bound_config_selectorIfiEEZNS1_14transform_implILb0ES3_S5_N6thrust23THRUST_200600_302600_NS6detail15normal_iteratorINS8_10device_ptrIfEEEENSA_INSB_IiEEEEZNS1_13binary_searchIS3_S5_SD_SD_SF_NS1_21lower_bound_search_opENS9_16wrapped_functionINS0_4lessIvEEbEEEE10hipError_tPvRmT1_T2_T3_mmT4_T5_P12ihipStream_tbEUlRKfE_EESM_SQ_SR_mSS_SV_bEUlT_E_NS1_11comp_targetILNS1_3genE3ELNS1_11target_archE908ELNS1_3gpuE7ELNS1_3repE0EEENS1_30default_config_static_selectorELNS0_4arch9wavefront6targetE0EEEvSP_
	.p2align	8
	.type	_ZN7rocprim17ROCPRIM_400000_NS6detail17trampoline_kernelINS0_14default_configENS1_27lower_bound_config_selectorIfiEEZNS1_14transform_implILb0ES3_S5_N6thrust23THRUST_200600_302600_NS6detail15normal_iteratorINS8_10device_ptrIfEEEENSA_INSB_IiEEEEZNS1_13binary_searchIS3_S5_SD_SD_SF_NS1_21lower_bound_search_opENS9_16wrapped_functionINS0_4lessIvEEbEEEE10hipError_tPvRmT1_T2_T3_mmT4_T5_P12ihipStream_tbEUlRKfE_EESM_SQ_SR_mSS_SV_bEUlT_E_NS1_11comp_targetILNS1_3genE3ELNS1_11target_archE908ELNS1_3gpuE7ELNS1_3repE0EEENS1_30default_config_static_selectorELNS0_4arch9wavefront6targetE0EEEvSP_,@function
_ZN7rocprim17ROCPRIM_400000_NS6detail17trampoline_kernelINS0_14default_configENS1_27lower_bound_config_selectorIfiEEZNS1_14transform_implILb0ES3_S5_N6thrust23THRUST_200600_302600_NS6detail15normal_iteratorINS8_10device_ptrIfEEEENSA_INSB_IiEEEEZNS1_13binary_searchIS3_S5_SD_SD_SF_NS1_21lower_bound_search_opENS9_16wrapped_functionINS0_4lessIvEEbEEEE10hipError_tPvRmT1_T2_T3_mmT4_T5_P12ihipStream_tbEUlRKfE_EESM_SQ_SR_mSS_SV_bEUlT_E_NS1_11comp_targetILNS1_3genE3ELNS1_11target_archE908ELNS1_3gpuE7ELNS1_3repE0EEENS1_30default_config_static_selectorELNS0_4arch9wavefront6targetE0EEEvSP_: ; @_ZN7rocprim17ROCPRIM_400000_NS6detail17trampoline_kernelINS0_14default_configENS1_27lower_bound_config_selectorIfiEEZNS1_14transform_implILb0ES3_S5_N6thrust23THRUST_200600_302600_NS6detail15normal_iteratorINS8_10device_ptrIfEEEENSA_INSB_IiEEEEZNS1_13binary_searchIS3_S5_SD_SD_SF_NS1_21lower_bound_search_opENS9_16wrapped_functionINS0_4lessIvEEbEEEE10hipError_tPvRmT1_T2_T3_mmT4_T5_P12ihipStream_tbEUlRKfE_EESM_SQ_SR_mSS_SV_bEUlT_E_NS1_11comp_targetILNS1_3genE3ELNS1_11target_archE908ELNS1_3gpuE7ELNS1_3repE0EEENS1_30default_config_static_selectorELNS0_4arch9wavefront6targetE0EEEvSP_
; %bb.0:
	.section	.rodata,"a",@progbits
	.p2align	6, 0x0
	.amdhsa_kernel _ZN7rocprim17ROCPRIM_400000_NS6detail17trampoline_kernelINS0_14default_configENS1_27lower_bound_config_selectorIfiEEZNS1_14transform_implILb0ES3_S5_N6thrust23THRUST_200600_302600_NS6detail15normal_iteratorINS8_10device_ptrIfEEEENSA_INSB_IiEEEEZNS1_13binary_searchIS3_S5_SD_SD_SF_NS1_21lower_bound_search_opENS9_16wrapped_functionINS0_4lessIvEEbEEEE10hipError_tPvRmT1_T2_T3_mmT4_T5_P12ihipStream_tbEUlRKfE_EESM_SQ_SR_mSS_SV_bEUlT_E_NS1_11comp_targetILNS1_3genE3ELNS1_11target_archE908ELNS1_3gpuE7ELNS1_3repE0EEENS1_30default_config_static_selectorELNS0_4arch9wavefront6targetE0EEEvSP_
		.amdhsa_group_segment_fixed_size 0
		.amdhsa_private_segment_fixed_size 0
		.amdhsa_kernarg_size 56
		.amdhsa_user_sgpr_count 15
		.amdhsa_user_sgpr_dispatch_ptr 0
		.amdhsa_user_sgpr_queue_ptr 0
		.amdhsa_user_sgpr_kernarg_segment_ptr 1
		.amdhsa_user_sgpr_dispatch_id 0
		.amdhsa_user_sgpr_private_segment_size 0
		.amdhsa_wavefront_size32 1
		.amdhsa_uses_dynamic_stack 0
		.amdhsa_enable_private_segment 0
		.amdhsa_system_sgpr_workgroup_id_x 1
		.amdhsa_system_sgpr_workgroup_id_y 0
		.amdhsa_system_sgpr_workgroup_id_z 0
		.amdhsa_system_sgpr_workgroup_info 0
		.amdhsa_system_vgpr_workitem_id 0
		.amdhsa_next_free_vgpr 1
		.amdhsa_next_free_sgpr 1
		.amdhsa_reserve_vcc 0
		.amdhsa_float_round_mode_32 0
		.amdhsa_float_round_mode_16_64 0
		.amdhsa_float_denorm_mode_32 3
		.amdhsa_float_denorm_mode_16_64 3
		.amdhsa_dx10_clamp 1
		.amdhsa_ieee_mode 1
		.amdhsa_fp16_overflow 0
		.amdhsa_workgroup_processor_mode 1
		.amdhsa_memory_ordered 1
		.amdhsa_forward_progress 0
		.amdhsa_shared_vgpr_count 0
		.amdhsa_exception_fp_ieee_invalid_op 0
		.amdhsa_exception_fp_denorm_src 0
		.amdhsa_exception_fp_ieee_div_zero 0
		.amdhsa_exception_fp_ieee_overflow 0
		.amdhsa_exception_fp_ieee_underflow 0
		.amdhsa_exception_fp_ieee_inexact 0
		.amdhsa_exception_int_div_zero 0
	.end_amdhsa_kernel
	.section	.text._ZN7rocprim17ROCPRIM_400000_NS6detail17trampoline_kernelINS0_14default_configENS1_27lower_bound_config_selectorIfiEEZNS1_14transform_implILb0ES3_S5_N6thrust23THRUST_200600_302600_NS6detail15normal_iteratorINS8_10device_ptrIfEEEENSA_INSB_IiEEEEZNS1_13binary_searchIS3_S5_SD_SD_SF_NS1_21lower_bound_search_opENS9_16wrapped_functionINS0_4lessIvEEbEEEE10hipError_tPvRmT1_T2_T3_mmT4_T5_P12ihipStream_tbEUlRKfE_EESM_SQ_SR_mSS_SV_bEUlT_E_NS1_11comp_targetILNS1_3genE3ELNS1_11target_archE908ELNS1_3gpuE7ELNS1_3repE0EEENS1_30default_config_static_selectorELNS0_4arch9wavefront6targetE0EEEvSP_,"axG",@progbits,_ZN7rocprim17ROCPRIM_400000_NS6detail17trampoline_kernelINS0_14default_configENS1_27lower_bound_config_selectorIfiEEZNS1_14transform_implILb0ES3_S5_N6thrust23THRUST_200600_302600_NS6detail15normal_iteratorINS8_10device_ptrIfEEEENSA_INSB_IiEEEEZNS1_13binary_searchIS3_S5_SD_SD_SF_NS1_21lower_bound_search_opENS9_16wrapped_functionINS0_4lessIvEEbEEEE10hipError_tPvRmT1_T2_T3_mmT4_T5_P12ihipStream_tbEUlRKfE_EESM_SQ_SR_mSS_SV_bEUlT_E_NS1_11comp_targetILNS1_3genE3ELNS1_11target_archE908ELNS1_3gpuE7ELNS1_3repE0EEENS1_30default_config_static_selectorELNS0_4arch9wavefront6targetE0EEEvSP_,comdat
.Lfunc_end264:
	.size	_ZN7rocprim17ROCPRIM_400000_NS6detail17trampoline_kernelINS0_14default_configENS1_27lower_bound_config_selectorIfiEEZNS1_14transform_implILb0ES3_S5_N6thrust23THRUST_200600_302600_NS6detail15normal_iteratorINS8_10device_ptrIfEEEENSA_INSB_IiEEEEZNS1_13binary_searchIS3_S5_SD_SD_SF_NS1_21lower_bound_search_opENS9_16wrapped_functionINS0_4lessIvEEbEEEE10hipError_tPvRmT1_T2_T3_mmT4_T5_P12ihipStream_tbEUlRKfE_EESM_SQ_SR_mSS_SV_bEUlT_E_NS1_11comp_targetILNS1_3genE3ELNS1_11target_archE908ELNS1_3gpuE7ELNS1_3repE0EEENS1_30default_config_static_selectorELNS0_4arch9wavefront6targetE0EEEvSP_, .Lfunc_end264-_ZN7rocprim17ROCPRIM_400000_NS6detail17trampoline_kernelINS0_14default_configENS1_27lower_bound_config_selectorIfiEEZNS1_14transform_implILb0ES3_S5_N6thrust23THRUST_200600_302600_NS6detail15normal_iteratorINS8_10device_ptrIfEEEENSA_INSB_IiEEEEZNS1_13binary_searchIS3_S5_SD_SD_SF_NS1_21lower_bound_search_opENS9_16wrapped_functionINS0_4lessIvEEbEEEE10hipError_tPvRmT1_T2_T3_mmT4_T5_P12ihipStream_tbEUlRKfE_EESM_SQ_SR_mSS_SV_bEUlT_E_NS1_11comp_targetILNS1_3genE3ELNS1_11target_archE908ELNS1_3gpuE7ELNS1_3repE0EEENS1_30default_config_static_selectorELNS0_4arch9wavefront6targetE0EEEvSP_
                                        ; -- End function
	.section	.AMDGPU.csdata,"",@progbits
; Kernel info:
; codeLenInByte = 0
; NumSgprs: 0
; NumVgprs: 0
; ScratchSize: 0
; MemoryBound: 0
; FloatMode: 240
; IeeeMode: 1
; LDSByteSize: 0 bytes/workgroup (compile time only)
; SGPRBlocks: 0
; VGPRBlocks: 0
; NumSGPRsForWavesPerEU: 1
; NumVGPRsForWavesPerEU: 1
; Occupancy: 16
; WaveLimiterHint : 0
; COMPUTE_PGM_RSRC2:SCRATCH_EN: 0
; COMPUTE_PGM_RSRC2:USER_SGPR: 15
; COMPUTE_PGM_RSRC2:TRAP_HANDLER: 0
; COMPUTE_PGM_RSRC2:TGID_X_EN: 1
; COMPUTE_PGM_RSRC2:TGID_Y_EN: 0
; COMPUTE_PGM_RSRC2:TGID_Z_EN: 0
; COMPUTE_PGM_RSRC2:TIDIG_COMP_CNT: 0
	.section	.text._ZN7rocprim17ROCPRIM_400000_NS6detail17trampoline_kernelINS0_14default_configENS1_27lower_bound_config_selectorIfiEEZNS1_14transform_implILb0ES3_S5_N6thrust23THRUST_200600_302600_NS6detail15normal_iteratorINS8_10device_ptrIfEEEENSA_INSB_IiEEEEZNS1_13binary_searchIS3_S5_SD_SD_SF_NS1_21lower_bound_search_opENS9_16wrapped_functionINS0_4lessIvEEbEEEE10hipError_tPvRmT1_T2_T3_mmT4_T5_P12ihipStream_tbEUlRKfE_EESM_SQ_SR_mSS_SV_bEUlT_E_NS1_11comp_targetILNS1_3genE2ELNS1_11target_archE906ELNS1_3gpuE6ELNS1_3repE0EEENS1_30default_config_static_selectorELNS0_4arch9wavefront6targetE0EEEvSP_,"axG",@progbits,_ZN7rocprim17ROCPRIM_400000_NS6detail17trampoline_kernelINS0_14default_configENS1_27lower_bound_config_selectorIfiEEZNS1_14transform_implILb0ES3_S5_N6thrust23THRUST_200600_302600_NS6detail15normal_iteratorINS8_10device_ptrIfEEEENSA_INSB_IiEEEEZNS1_13binary_searchIS3_S5_SD_SD_SF_NS1_21lower_bound_search_opENS9_16wrapped_functionINS0_4lessIvEEbEEEE10hipError_tPvRmT1_T2_T3_mmT4_T5_P12ihipStream_tbEUlRKfE_EESM_SQ_SR_mSS_SV_bEUlT_E_NS1_11comp_targetILNS1_3genE2ELNS1_11target_archE906ELNS1_3gpuE6ELNS1_3repE0EEENS1_30default_config_static_selectorELNS0_4arch9wavefront6targetE0EEEvSP_,comdat
	.protected	_ZN7rocprim17ROCPRIM_400000_NS6detail17trampoline_kernelINS0_14default_configENS1_27lower_bound_config_selectorIfiEEZNS1_14transform_implILb0ES3_S5_N6thrust23THRUST_200600_302600_NS6detail15normal_iteratorINS8_10device_ptrIfEEEENSA_INSB_IiEEEEZNS1_13binary_searchIS3_S5_SD_SD_SF_NS1_21lower_bound_search_opENS9_16wrapped_functionINS0_4lessIvEEbEEEE10hipError_tPvRmT1_T2_T3_mmT4_T5_P12ihipStream_tbEUlRKfE_EESM_SQ_SR_mSS_SV_bEUlT_E_NS1_11comp_targetILNS1_3genE2ELNS1_11target_archE906ELNS1_3gpuE6ELNS1_3repE0EEENS1_30default_config_static_selectorELNS0_4arch9wavefront6targetE0EEEvSP_ ; -- Begin function _ZN7rocprim17ROCPRIM_400000_NS6detail17trampoline_kernelINS0_14default_configENS1_27lower_bound_config_selectorIfiEEZNS1_14transform_implILb0ES3_S5_N6thrust23THRUST_200600_302600_NS6detail15normal_iteratorINS8_10device_ptrIfEEEENSA_INSB_IiEEEEZNS1_13binary_searchIS3_S5_SD_SD_SF_NS1_21lower_bound_search_opENS9_16wrapped_functionINS0_4lessIvEEbEEEE10hipError_tPvRmT1_T2_T3_mmT4_T5_P12ihipStream_tbEUlRKfE_EESM_SQ_SR_mSS_SV_bEUlT_E_NS1_11comp_targetILNS1_3genE2ELNS1_11target_archE906ELNS1_3gpuE6ELNS1_3repE0EEENS1_30default_config_static_selectorELNS0_4arch9wavefront6targetE0EEEvSP_
	.globl	_ZN7rocprim17ROCPRIM_400000_NS6detail17trampoline_kernelINS0_14default_configENS1_27lower_bound_config_selectorIfiEEZNS1_14transform_implILb0ES3_S5_N6thrust23THRUST_200600_302600_NS6detail15normal_iteratorINS8_10device_ptrIfEEEENSA_INSB_IiEEEEZNS1_13binary_searchIS3_S5_SD_SD_SF_NS1_21lower_bound_search_opENS9_16wrapped_functionINS0_4lessIvEEbEEEE10hipError_tPvRmT1_T2_T3_mmT4_T5_P12ihipStream_tbEUlRKfE_EESM_SQ_SR_mSS_SV_bEUlT_E_NS1_11comp_targetILNS1_3genE2ELNS1_11target_archE906ELNS1_3gpuE6ELNS1_3repE0EEENS1_30default_config_static_selectorELNS0_4arch9wavefront6targetE0EEEvSP_
	.p2align	8
	.type	_ZN7rocprim17ROCPRIM_400000_NS6detail17trampoline_kernelINS0_14default_configENS1_27lower_bound_config_selectorIfiEEZNS1_14transform_implILb0ES3_S5_N6thrust23THRUST_200600_302600_NS6detail15normal_iteratorINS8_10device_ptrIfEEEENSA_INSB_IiEEEEZNS1_13binary_searchIS3_S5_SD_SD_SF_NS1_21lower_bound_search_opENS9_16wrapped_functionINS0_4lessIvEEbEEEE10hipError_tPvRmT1_T2_T3_mmT4_T5_P12ihipStream_tbEUlRKfE_EESM_SQ_SR_mSS_SV_bEUlT_E_NS1_11comp_targetILNS1_3genE2ELNS1_11target_archE906ELNS1_3gpuE6ELNS1_3repE0EEENS1_30default_config_static_selectorELNS0_4arch9wavefront6targetE0EEEvSP_,@function
_ZN7rocprim17ROCPRIM_400000_NS6detail17trampoline_kernelINS0_14default_configENS1_27lower_bound_config_selectorIfiEEZNS1_14transform_implILb0ES3_S5_N6thrust23THRUST_200600_302600_NS6detail15normal_iteratorINS8_10device_ptrIfEEEENSA_INSB_IiEEEEZNS1_13binary_searchIS3_S5_SD_SD_SF_NS1_21lower_bound_search_opENS9_16wrapped_functionINS0_4lessIvEEbEEEE10hipError_tPvRmT1_T2_T3_mmT4_T5_P12ihipStream_tbEUlRKfE_EESM_SQ_SR_mSS_SV_bEUlT_E_NS1_11comp_targetILNS1_3genE2ELNS1_11target_archE906ELNS1_3gpuE6ELNS1_3repE0EEENS1_30default_config_static_selectorELNS0_4arch9wavefront6targetE0EEEvSP_: ; @_ZN7rocprim17ROCPRIM_400000_NS6detail17trampoline_kernelINS0_14default_configENS1_27lower_bound_config_selectorIfiEEZNS1_14transform_implILb0ES3_S5_N6thrust23THRUST_200600_302600_NS6detail15normal_iteratorINS8_10device_ptrIfEEEENSA_INSB_IiEEEEZNS1_13binary_searchIS3_S5_SD_SD_SF_NS1_21lower_bound_search_opENS9_16wrapped_functionINS0_4lessIvEEbEEEE10hipError_tPvRmT1_T2_T3_mmT4_T5_P12ihipStream_tbEUlRKfE_EESM_SQ_SR_mSS_SV_bEUlT_E_NS1_11comp_targetILNS1_3genE2ELNS1_11target_archE906ELNS1_3gpuE6ELNS1_3repE0EEENS1_30default_config_static_selectorELNS0_4arch9wavefront6targetE0EEEvSP_
; %bb.0:
	.section	.rodata,"a",@progbits
	.p2align	6, 0x0
	.amdhsa_kernel _ZN7rocprim17ROCPRIM_400000_NS6detail17trampoline_kernelINS0_14default_configENS1_27lower_bound_config_selectorIfiEEZNS1_14transform_implILb0ES3_S5_N6thrust23THRUST_200600_302600_NS6detail15normal_iteratorINS8_10device_ptrIfEEEENSA_INSB_IiEEEEZNS1_13binary_searchIS3_S5_SD_SD_SF_NS1_21lower_bound_search_opENS9_16wrapped_functionINS0_4lessIvEEbEEEE10hipError_tPvRmT1_T2_T3_mmT4_T5_P12ihipStream_tbEUlRKfE_EESM_SQ_SR_mSS_SV_bEUlT_E_NS1_11comp_targetILNS1_3genE2ELNS1_11target_archE906ELNS1_3gpuE6ELNS1_3repE0EEENS1_30default_config_static_selectorELNS0_4arch9wavefront6targetE0EEEvSP_
		.amdhsa_group_segment_fixed_size 0
		.amdhsa_private_segment_fixed_size 0
		.amdhsa_kernarg_size 56
		.amdhsa_user_sgpr_count 15
		.amdhsa_user_sgpr_dispatch_ptr 0
		.amdhsa_user_sgpr_queue_ptr 0
		.amdhsa_user_sgpr_kernarg_segment_ptr 1
		.amdhsa_user_sgpr_dispatch_id 0
		.amdhsa_user_sgpr_private_segment_size 0
		.amdhsa_wavefront_size32 1
		.amdhsa_uses_dynamic_stack 0
		.amdhsa_enable_private_segment 0
		.amdhsa_system_sgpr_workgroup_id_x 1
		.amdhsa_system_sgpr_workgroup_id_y 0
		.amdhsa_system_sgpr_workgroup_id_z 0
		.amdhsa_system_sgpr_workgroup_info 0
		.amdhsa_system_vgpr_workitem_id 0
		.amdhsa_next_free_vgpr 1
		.amdhsa_next_free_sgpr 1
		.amdhsa_reserve_vcc 0
		.amdhsa_float_round_mode_32 0
		.amdhsa_float_round_mode_16_64 0
		.amdhsa_float_denorm_mode_32 3
		.amdhsa_float_denorm_mode_16_64 3
		.amdhsa_dx10_clamp 1
		.amdhsa_ieee_mode 1
		.amdhsa_fp16_overflow 0
		.amdhsa_workgroup_processor_mode 1
		.amdhsa_memory_ordered 1
		.amdhsa_forward_progress 0
		.amdhsa_shared_vgpr_count 0
		.amdhsa_exception_fp_ieee_invalid_op 0
		.amdhsa_exception_fp_denorm_src 0
		.amdhsa_exception_fp_ieee_div_zero 0
		.amdhsa_exception_fp_ieee_overflow 0
		.amdhsa_exception_fp_ieee_underflow 0
		.amdhsa_exception_fp_ieee_inexact 0
		.amdhsa_exception_int_div_zero 0
	.end_amdhsa_kernel
	.section	.text._ZN7rocprim17ROCPRIM_400000_NS6detail17trampoline_kernelINS0_14default_configENS1_27lower_bound_config_selectorIfiEEZNS1_14transform_implILb0ES3_S5_N6thrust23THRUST_200600_302600_NS6detail15normal_iteratorINS8_10device_ptrIfEEEENSA_INSB_IiEEEEZNS1_13binary_searchIS3_S5_SD_SD_SF_NS1_21lower_bound_search_opENS9_16wrapped_functionINS0_4lessIvEEbEEEE10hipError_tPvRmT1_T2_T3_mmT4_T5_P12ihipStream_tbEUlRKfE_EESM_SQ_SR_mSS_SV_bEUlT_E_NS1_11comp_targetILNS1_3genE2ELNS1_11target_archE906ELNS1_3gpuE6ELNS1_3repE0EEENS1_30default_config_static_selectorELNS0_4arch9wavefront6targetE0EEEvSP_,"axG",@progbits,_ZN7rocprim17ROCPRIM_400000_NS6detail17trampoline_kernelINS0_14default_configENS1_27lower_bound_config_selectorIfiEEZNS1_14transform_implILb0ES3_S5_N6thrust23THRUST_200600_302600_NS6detail15normal_iteratorINS8_10device_ptrIfEEEENSA_INSB_IiEEEEZNS1_13binary_searchIS3_S5_SD_SD_SF_NS1_21lower_bound_search_opENS9_16wrapped_functionINS0_4lessIvEEbEEEE10hipError_tPvRmT1_T2_T3_mmT4_T5_P12ihipStream_tbEUlRKfE_EESM_SQ_SR_mSS_SV_bEUlT_E_NS1_11comp_targetILNS1_3genE2ELNS1_11target_archE906ELNS1_3gpuE6ELNS1_3repE0EEENS1_30default_config_static_selectorELNS0_4arch9wavefront6targetE0EEEvSP_,comdat
.Lfunc_end265:
	.size	_ZN7rocprim17ROCPRIM_400000_NS6detail17trampoline_kernelINS0_14default_configENS1_27lower_bound_config_selectorIfiEEZNS1_14transform_implILb0ES3_S5_N6thrust23THRUST_200600_302600_NS6detail15normal_iteratorINS8_10device_ptrIfEEEENSA_INSB_IiEEEEZNS1_13binary_searchIS3_S5_SD_SD_SF_NS1_21lower_bound_search_opENS9_16wrapped_functionINS0_4lessIvEEbEEEE10hipError_tPvRmT1_T2_T3_mmT4_T5_P12ihipStream_tbEUlRKfE_EESM_SQ_SR_mSS_SV_bEUlT_E_NS1_11comp_targetILNS1_3genE2ELNS1_11target_archE906ELNS1_3gpuE6ELNS1_3repE0EEENS1_30default_config_static_selectorELNS0_4arch9wavefront6targetE0EEEvSP_, .Lfunc_end265-_ZN7rocprim17ROCPRIM_400000_NS6detail17trampoline_kernelINS0_14default_configENS1_27lower_bound_config_selectorIfiEEZNS1_14transform_implILb0ES3_S5_N6thrust23THRUST_200600_302600_NS6detail15normal_iteratorINS8_10device_ptrIfEEEENSA_INSB_IiEEEEZNS1_13binary_searchIS3_S5_SD_SD_SF_NS1_21lower_bound_search_opENS9_16wrapped_functionINS0_4lessIvEEbEEEE10hipError_tPvRmT1_T2_T3_mmT4_T5_P12ihipStream_tbEUlRKfE_EESM_SQ_SR_mSS_SV_bEUlT_E_NS1_11comp_targetILNS1_3genE2ELNS1_11target_archE906ELNS1_3gpuE6ELNS1_3repE0EEENS1_30default_config_static_selectorELNS0_4arch9wavefront6targetE0EEEvSP_
                                        ; -- End function
	.section	.AMDGPU.csdata,"",@progbits
; Kernel info:
; codeLenInByte = 0
; NumSgprs: 0
; NumVgprs: 0
; ScratchSize: 0
; MemoryBound: 0
; FloatMode: 240
; IeeeMode: 1
; LDSByteSize: 0 bytes/workgroup (compile time only)
; SGPRBlocks: 0
; VGPRBlocks: 0
; NumSGPRsForWavesPerEU: 1
; NumVGPRsForWavesPerEU: 1
; Occupancy: 16
; WaveLimiterHint : 0
; COMPUTE_PGM_RSRC2:SCRATCH_EN: 0
; COMPUTE_PGM_RSRC2:USER_SGPR: 15
; COMPUTE_PGM_RSRC2:TRAP_HANDLER: 0
; COMPUTE_PGM_RSRC2:TGID_X_EN: 1
; COMPUTE_PGM_RSRC2:TGID_Y_EN: 0
; COMPUTE_PGM_RSRC2:TGID_Z_EN: 0
; COMPUTE_PGM_RSRC2:TIDIG_COMP_CNT: 0
	.section	.text._ZN7rocprim17ROCPRIM_400000_NS6detail17trampoline_kernelINS0_14default_configENS1_27lower_bound_config_selectorIfiEEZNS1_14transform_implILb0ES3_S5_N6thrust23THRUST_200600_302600_NS6detail15normal_iteratorINS8_10device_ptrIfEEEENSA_INSB_IiEEEEZNS1_13binary_searchIS3_S5_SD_SD_SF_NS1_21lower_bound_search_opENS9_16wrapped_functionINS0_4lessIvEEbEEEE10hipError_tPvRmT1_T2_T3_mmT4_T5_P12ihipStream_tbEUlRKfE_EESM_SQ_SR_mSS_SV_bEUlT_E_NS1_11comp_targetILNS1_3genE10ELNS1_11target_archE1201ELNS1_3gpuE5ELNS1_3repE0EEENS1_30default_config_static_selectorELNS0_4arch9wavefront6targetE0EEEvSP_,"axG",@progbits,_ZN7rocprim17ROCPRIM_400000_NS6detail17trampoline_kernelINS0_14default_configENS1_27lower_bound_config_selectorIfiEEZNS1_14transform_implILb0ES3_S5_N6thrust23THRUST_200600_302600_NS6detail15normal_iteratorINS8_10device_ptrIfEEEENSA_INSB_IiEEEEZNS1_13binary_searchIS3_S5_SD_SD_SF_NS1_21lower_bound_search_opENS9_16wrapped_functionINS0_4lessIvEEbEEEE10hipError_tPvRmT1_T2_T3_mmT4_T5_P12ihipStream_tbEUlRKfE_EESM_SQ_SR_mSS_SV_bEUlT_E_NS1_11comp_targetILNS1_3genE10ELNS1_11target_archE1201ELNS1_3gpuE5ELNS1_3repE0EEENS1_30default_config_static_selectorELNS0_4arch9wavefront6targetE0EEEvSP_,comdat
	.protected	_ZN7rocprim17ROCPRIM_400000_NS6detail17trampoline_kernelINS0_14default_configENS1_27lower_bound_config_selectorIfiEEZNS1_14transform_implILb0ES3_S5_N6thrust23THRUST_200600_302600_NS6detail15normal_iteratorINS8_10device_ptrIfEEEENSA_INSB_IiEEEEZNS1_13binary_searchIS3_S5_SD_SD_SF_NS1_21lower_bound_search_opENS9_16wrapped_functionINS0_4lessIvEEbEEEE10hipError_tPvRmT1_T2_T3_mmT4_T5_P12ihipStream_tbEUlRKfE_EESM_SQ_SR_mSS_SV_bEUlT_E_NS1_11comp_targetILNS1_3genE10ELNS1_11target_archE1201ELNS1_3gpuE5ELNS1_3repE0EEENS1_30default_config_static_selectorELNS0_4arch9wavefront6targetE0EEEvSP_ ; -- Begin function _ZN7rocprim17ROCPRIM_400000_NS6detail17trampoline_kernelINS0_14default_configENS1_27lower_bound_config_selectorIfiEEZNS1_14transform_implILb0ES3_S5_N6thrust23THRUST_200600_302600_NS6detail15normal_iteratorINS8_10device_ptrIfEEEENSA_INSB_IiEEEEZNS1_13binary_searchIS3_S5_SD_SD_SF_NS1_21lower_bound_search_opENS9_16wrapped_functionINS0_4lessIvEEbEEEE10hipError_tPvRmT1_T2_T3_mmT4_T5_P12ihipStream_tbEUlRKfE_EESM_SQ_SR_mSS_SV_bEUlT_E_NS1_11comp_targetILNS1_3genE10ELNS1_11target_archE1201ELNS1_3gpuE5ELNS1_3repE0EEENS1_30default_config_static_selectorELNS0_4arch9wavefront6targetE0EEEvSP_
	.globl	_ZN7rocprim17ROCPRIM_400000_NS6detail17trampoline_kernelINS0_14default_configENS1_27lower_bound_config_selectorIfiEEZNS1_14transform_implILb0ES3_S5_N6thrust23THRUST_200600_302600_NS6detail15normal_iteratorINS8_10device_ptrIfEEEENSA_INSB_IiEEEEZNS1_13binary_searchIS3_S5_SD_SD_SF_NS1_21lower_bound_search_opENS9_16wrapped_functionINS0_4lessIvEEbEEEE10hipError_tPvRmT1_T2_T3_mmT4_T5_P12ihipStream_tbEUlRKfE_EESM_SQ_SR_mSS_SV_bEUlT_E_NS1_11comp_targetILNS1_3genE10ELNS1_11target_archE1201ELNS1_3gpuE5ELNS1_3repE0EEENS1_30default_config_static_selectorELNS0_4arch9wavefront6targetE0EEEvSP_
	.p2align	8
	.type	_ZN7rocprim17ROCPRIM_400000_NS6detail17trampoline_kernelINS0_14default_configENS1_27lower_bound_config_selectorIfiEEZNS1_14transform_implILb0ES3_S5_N6thrust23THRUST_200600_302600_NS6detail15normal_iteratorINS8_10device_ptrIfEEEENSA_INSB_IiEEEEZNS1_13binary_searchIS3_S5_SD_SD_SF_NS1_21lower_bound_search_opENS9_16wrapped_functionINS0_4lessIvEEbEEEE10hipError_tPvRmT1_T2_T3_mmT4_T5_P12ihipStream_tbEUlRKfE_EESM_SQ_SR_mSS_SV_bEUlT_E_NS1_11comp_targetILNS1_3genE10ELNS1_11target_archE1201ELNS1_3gpuE5ELNS1_3repE0EEENS1_30default_config_static_selectorELNS0_4arch9wavefront6targetE0EEEvSP_,@function
_ZN7rocprim17ROCPRIM_400000_NS6detail17trampoline_kernelINS0_14default_configENS1_27lower_bound_config_selectorIfiEEZNS1_14transform_implILb0ES3_S5_N6thrust23THRUST_200600_302600_NS6detail15normal_iteratorINS8_10device_ptrIfEEEENSA_INSB_IiEEEEZNS1_13binary_searchIS3_S5_SD_SD_SF_NS1_21lower_bound_search_opENS9_16wrapped_functionINS0_4lessIvEEbEEEE10hipError_tPvRmT1_T2_T3_mmT4_T5_P12ihipStream_tbEUlRKfE_EESM_SQ_SR_mSS_SV_bEUlT_E_NS1_11comp_targetILNS1_3genE10ELNS1_11target_archE1201ELNS1_3gpuE5ELNS1_3repE0EEENS1_30default_config_static_selectorELNS0_4arch9wavefront6targetE0EEEvSP_: ; @_ZN7rocprim17ROCPRIM_400000_NS6detail17trampoline_kernelINS0_14default_configENS1_27lower_bound_config_selectorIfiEEZNS1_14transform_implILb0ES3_S5_N6thrust23THRUST_200600_302600_NS6detail15normal_iteratorINS8_10device_ptrIfEEEENSA_INSB_IiEEEEZNS1_13binary_searchIS3_S5_SD_SD_SF_NS1_21lower_bound_search_opENS9_16wrapped_functionINS0_4lessIvEEbEEEE10hipError_tPvRmT1_T2_T3_mmT4_T5_P12ihipStream_tbEUlRKfE_EESM_SQ_SR_mSS_SV_bEUlT_E_NS1_11comp_targetILNS1_3genE10ELNS1_11target_archE1201ELNS1_3gpuE5ELNS1_3repE0EEENS1_30default_config_static_selectorELNS0_4arch9wavefront6targetE0EEEvSP_
; %bb.0:
	.section	.rodata,"a",@progbits
	.p2align	6, 0x0
	.amdhsa_kernel _ZN7rocprim17ROCPRIM_400000_NS6detail17trampoline_kernelINS0_14default_configENS1_27lower_bound_config_selectorIfiEEZNS1_14transform_implILb0ES3_S5_N6thrust23THRUST_200600_302600_NS6detail15normal_iteratorINS8_10device_ptrIfEEEENSA_INSB_IiEEEEZNS1_13binary_searchIS3_S5_SD_SD_SF_NS1_21lower_bound_search_opENS9_16wrapped_functionINS0_4lessIvEEbEEEE10hipError_tPvRmT1_T2_T3_mmT4_T5_P12ihipStream_tbEUlRKfE_EESM_SQ_SR_mSS_SV_bEUlT_E_NS1_11comp_targetILNS1_3genE10ELNS1_11target_archE1201ELNS1_3gpuE5ELNS1_3repE0EEENS1_30default_config_static_selectorELNS0_4arch9wavefront6targetE0EEEvSP_
		.amdhsa_group_segment_fixed_size 0
		.amdhsa_private_segment_fixed_size 0
		.amdhsa_kernarg_size 56
		.amdhsa_user_sgpr_count 15
		.amdhsa_user_sgpr_dispatch_ptr 0
		.amdhsa_user_sgpr_queue_ptr 0
		.amdhsa_user_sgpr_kernarg_segment_ptr 1
		.amdhsa_user_sgpr_dispatch_id 0
		.amdhsa_user_sgpr_private_segment_size 0
		.amdhsa_wavefront_size32 1
		.amdhsa_uses_dynamic_stack 0
		.amdhsa_enable_private_segment 0
		.amdhsa_system_sgpr_workgroup_id_x 1
		.amdhsa_system_sgpr_workgroup_id_y 0
		.amdhsa_system_sgpr_workgroup_id_z 0
		.amdhsa_system_sgpr_workgroup_info 0
		.amdhsa_system_vgpr_workitem_id 0
		.amdhsa_next_free_vgpr 1
		.amdhsa_next_free_sgpr 1
		.amdhsa_reserve_vcc 0
		.amdhsa_float_round_mode_32 0
		.amdhsa_float_round_mode_16_64 0
		.amdhsa_float_denorm_mode_32 3
		.amdhsa_float_denorm_mode_16_64 3
		.amdhsa_dx10_clamp 1
		.amdhsa_ieee_mode 1
		.amdhsa_fp16_overflow 0
		.amdhsa_workgroup_processor_mode 1
		.amdhsa_memory_ordered 1
		.amdhsa_forward_progress 0
		.amdhsa_shared_vgpr_count 0
		.amdhsa_exception_fp_ieee_invalid_op 0
		.amdhsa_exception_fp_denorm_src 0
		.amdhsa_exception_fp_ieee_div_zero 0
		.amdhsa_exception_fp_ieee_overflow 0
		.amdhsa_exception_fp_ieee_underflow 0
		.amdhsa_exception_fp_ieee_inexact 0
		.amdhsa_exception_int_div_zero 0
	.end_amdhsa_kernel
	.section	.text._ZN7rocprim17ROCPRIM_400000_NS6detail17trampoline_kernelINS0_14default_configENS1_27lower_bound_config_selectorIfiEEZNS1_14transform_implILb0ES3_S5_N6thrust23THRUST_200600_302600_NS6detail15normal_iteratorINS8_10device_ptrIfEEEENSA_INSB_IiEEEEZNS1_13binary_searchIS3_S5_SD_SD_SF_NS1_21lower_bound_search_opENS9_16wrapped_functionINS0_4lessIvEEbEEEE10hipError_tPvRmT1_T2_T3_mmT4_T5_P12ihipStream_tbEUlRKfE_EESM_SQ_SR_mSS_SV_bEUlT_E_NS1_11comp_targetILNS1_3genE10ELNS1_11target_archE1201ELNS1_3gpuE5ELNS1_3repE0EEENS1_30default_config_static_selectorELNS0_4arch9wavefront6targetE0EEEvSP_,"axG",@progbits,_ZN7rocprim17ROCPRIM_400000_NS6detail17trampoline_kernelINS0_14default_configENS1_27lower_bound_config_selectorIfiEEZNS1_14transform_implILb0ES3_S5_N6thrust23THRUST_200600_302600_NS6detail15normal_iteratorINS8_10device_ptrIfEEEENSA_INSB_IiEEEEZNS1_13binary_searchIS3_S5_SD_SD_SF_NS1_21lower_bound_search_opENS9_16wrapped_functionINS0_4lessIvEEbEEEE10hipError_tPvRmT1_T2_T3_mmT4_T5_P12ihipStream_tbEUlRKfE_EESM_SQ_SR_mSS_SV_bEUlT_E_NS1_11comp_targetILNS1_3genE10ELNS1_11target_archE1201ELNS1_3gpuE5ELNS1_3repE0EEENS1_30default_config_static_selectorELNS0_4arch9wavefront6targetE0EEEvSP_,comdat
.Lfunc_end266:
	.size	_ZN7rocprim17ROCPRIM_400000_NS6detail17trampoline_kernelINS0_14default_configENS1_27lower_bound_config_selectorIfiEEZNS1_14transform_implILb0ES3_S5_N6thrust23THRUST_200600_302600_NS6detail15normal_iteratorINS8_10device_ptrIfEEEENSA_INSB_IiEEEEZNS1_13binary_searchIS3_S5_SD_SD_SF_NS1_21lower_bound_search_opENS9_16wrapped_functionINS0_4lessIvEEbEEEE10hipError_tPvRmT1_T2_T3_mmT4_T5_P12ihipStream_tbEUlRKfE_EESM_SQ_SR_mSS_SV_bEUlT_E_NS1_11comp_targetILNS1_3genE10ELNS1_11target_archE1201ELNS1_3gpuE5ELNS1_3repE0EEENS1_30default_config_static_selectorELNS0_4arch9wavefront6targetE0EEEvSP_, .Lfunc_end266-_ZN7rocprim17ROCPRIM_400000_NS6detail17trampoline_kernelINS0_14default_configENS1_27lower_bound_config_selectorIfiEEZNS1_14transform_implILb0ES3_S5_N6thrust23THRUST_200600_302600_NS6detail15normal_iteratorINS8_10device_ptrIfEEEENSA_INSB_IiEEEEZNS1_13binary_searchIS3_S5_SD_SD_SF_NS1_21lower_bound_search_opENS9_16wrapped_functionINS0_4lessIvEEbEEEE10hipError_tPvRmT1_T2_T3_mmT4_T5_P12ihipStream_tbEUlRKfE_EESM_SQ_SR_mSS_SV_bEUlT_E_NS1_11comp_targetILNS1_3genE10ELNS1_11target_archE1201ELNS1_3gpuE5ELNS1_3repE0EEENS1_30default_config_static_selectorELNS0_4arch9wavefront6targetE0EEEvSP_
                                        ; -- End function
	.section	.AMDGPU.csdata,"",@progbits
; Kernel info:
; codeLenInByte = 0
; NumSgprs: 0
; NumVgprs: 0
; ScratchSize: 0
; MemoryBound: 0
; FloatMode: 240
; IeeeMode: 1
; LDSByteSize: 0 bytes/workgroup (compile time only)
; SGPRBlocks: 0
; VGPRBlocks: 0
; NumSGPRsForWavesPerEU: 1
; NumVGPRsForWavesPerEU: 1
; Occupancy: 16
; WaveLimiterHint : 0
; COMPUTE_PGM_RSRC2:SCRATCH_EN: 0
; COMPUTE_PGM_RSRC2:USER_SGPR: 15
; COMPUTE_PGM_RSRC2:TRAP_HANDLER: 0
; COMPUTE_PGM_RSRC2:TGID_X_EN: 1
; COMPUTE_PGM_RSRC2:TGID_Y_EN: 0
; COMPUTE_PGM_RSRC2:TGID_Z_EN: 0
; COMPUTE_PGM_RSRC2:TIDIG_COMP_CNT: 0
	.section	.text._ZN7rocprim17ROCPRIM_400000_NS6detail17trampoline_kernelINS0_14default_configENS1_27lower_bound_config_selectorIfiEEZNS1_14transform_implILb0ES3_S5_N6thrust23THRUST_200600_302600_NS6detail15normal_iteratorINS8_10device_ptrIfEEEENSA_INSB_IiEEEEZNS1_13binary_searchIS3_S5_SD_SD_SF_NS1_21lower_bound_search_opENS9_16wrapped_functionINS0_4lessIvEEbEEEE10hipError_tPvRmT1_T2_T3_mmT4_T5_P12ihipStream_tbEUlRKfE_EESM_SQ_SR_mSS_SV_bEUlT_E_NS1_11comp_targetILNS1_3genE10ELNS1_11target_archE1200ELNS1_3gpuE4ELNS1_3repE0EEENS1_30default_config_static_selectorELNS0_4arch9wavefront6targetE0EEEvSP_,"axG",@progbits,_ZN7rocprim17ROCPRIM_400000_NS6detail17trampoline_kernelINS0_14default_configENS1_27lower_bound_config_selectorIfiEEZNS1_14transform_implILb0ES3_S5_N6thrust23THRUST_200600_302600_NS6detail15normal_iteratorINS8_10device_ptrIfEEEENSA_INSB_IiEEEEZNS1_13binary_searchIS3_S5_SD_SD_SF_NS1_21lower_bound_search_opENS9_16wrapped_functionINS0_4lessIvEEbEEEE10hipError_tPvRmT1_T2_T3_mmT4_T5_P12ihipStream_tbEUlRKfE_EESM_SQ_SR_mSS_SV_bEUlT_E_NS1_11comp_targetILNS1_3genE10ELNS1_11target_archE1200ELNS1_3gpuE4ELNS1_3repE0EEENS1_30default_config_static_selectorELNS0_4arch9wavefront6targetE0EEEvSP_,comdat
	.protected	_ZN7rocprim17ROCPRIM_400000_NS6detail17trampoline_kernelINS0_14default_configENS1_27lower_bound_config_selectorIfiEEZNS1_14transform_implILb0ES3_S5_N6thrust23THRUST_200600_302600_NS6detail15normal_iteratorINS8_10device_ptrIfEEEENSA_INSB_IiEEEEZNS1_13binary_searchIS3_S5_SD_SD_SF_NS1_21lower_bound_search_opENS9_16wrapped_functionINS0_4lessIvEEbEEEE10hipError_tPvRmT1_T2_T3_mmT4_T5_P12ihipStream_tbEUlRKfE_EESM_SQ_SR_mSS_SV_bEUlT_E_NS1_11comp_targetILNS1_3genE10ELNS1_11target_archE1200ELNS1_3gpuE4ELNS1_3repE0EEENS1_30default_config_static_selectorELNS0_4arch9wavefront6targetE0EEEvSP_ ; -- Begin function _ZN7rocprim17ROCPRIM_400000_NS6detail17trampoline_kernelINS0_14default_configENS1_27lower_bound_config_selectorIfiEEZNS1_14transform_implILb0ES3_S5_N6thrust23THRUST_200600_302600_NS6detail15normal_iteratorINS8_10device_ptrIfEEEENSA_INSB_IiEEEEZNS1_13binary_searchIS3_S5_SD_SD_SF_NS1_21lower_bound_search_opENS9_16wrapped_functionINS0_4lessIvEEbEEEE10hipError_tPvRmT1_T2_T3_mmT4_T5_P12ihipStream_tbEUlRKfE_EESM_SQ_SR_mSS_SV_bEUlT_E_NS1_11comp_targetILNS1_3genE10ELNS1_11target_archE1200ELNS1_3gpuE4ELNS1_3repE0EEENS1_30default_config_static_selectorELNS0_4arch9wavefront6targetE0EEEvSP_
	.globl	_ZN7rocprim17ROCPRIM_400000_NS6detail17trampoline_kernelINS0_14default_configENS1_27lower_bound_config_selectorIfiEEZNS1_14transform_implILb0ES3_S5_N6thrust23THRUST_200600_302600_NS6detail15normal_iteratorINS8_10device_ptrIfEEEENSA_INSB_IiEEEEZNS1_13binary_searchIS3_S5_SD_SD_SF_NS1_21lower_bound_search_opENS9_16wrapped_functionINS0_4lessIvEEbEEEE10hipError_tPvRmT1_T2_T3_mmT4_T5_P12ihipStream_tbEUlRKfE_EESM_SQ_SR_mSS_SV_bEUlT_E_NS1_11comp_targetILNS1_3genE10ELNS1_11target_archE1200ELNS1_3gpuE4ELNS1_3repE0EEENS1_30default_config_static_selectorELNS0_4arch9wavefront6targetE0EEEvSP_
	.p2align	8
	.type	_ZN7rocprim17ROCPRIM_400000_NS6detail17trampoline_kernelINS0_14default_configENS1_27lower_bound_config_selectorIfiEEZNS1_14transform_implILb0ES3_S5_N6thrust23THRUST_200600_302600_NS6detail15normal_iteratorINS8_10device_ptrIfEEEENSA_INSB_IiEEEEZNS1_13binary_searchIS3_S5_SD_SD_SF_NS1_21lower_bound_search_opENS9_16wrapped_functionINS0_4lessIvEEbEEEE10hipError_tPvRmT1_T2_T3_mmT4_T5_P12ihipStream_tbEUlRKfE_EESM_SQ_SR_mSS_SV_bEUlT_E_NS1_11comp_targetILNS1_3genE10ELNS1_11target_archE1200ELNS1_3gpuE4ELNS1_3repE0EEENS1_30default_config_static_selectorELNS0_4arch9wavefront6targetE0EEEvSP_,@function
_ZN7rocprim17ROCPRIM_400000_NS6detail17trampoline_kernelINS0_14default_configENS1_27lower_bound_config_selectorIfiEEZNS1_14transform_implILb0ES3_S5_N6thrust23THRUST_200600_302600_NS6detail15normal_iteratorINS8_10device_ptrIfEEEENSA_INSB_IiEEEEZNS1_13binary_searchIS3_S5_SD_SD_SF_NS1_21lower_bound_search_opENS9_16wrapped_functionINS0_4lessIvEEbEEEE10hipError_tPvRmT1_T2_T3_mmT4_T5_P12ihipStream_tbEUlRKfE_EESM_SQ_SR_mSS_SV_bEUlT_E_NS1_11comp_targetILNS1_3genE10ELNS1_11target_archE1200ELNS1_3gpuE4ELNS1_3repE0EEENS1_30default_config_static_selectorELNS0_4arch9wavefront6targetE0EEEvSP_: ; @_ZN7rocprim17ROCPRIM_400000_NS6detail17trampoline_kernelINS0_14default_configENS1_27lower_bound_config_selectorIfiEEZNS1_14transform_implILb0ES3_S5_N6thrust23THRUST_200600_302600_NS6detail15normal_iteratorINS8_10device_ptrIfEEEENSA_INSB_IiEEEEZNS1_13binary_searchIS3_S5_SD_SD_SF_NS1_21lower_bound_search_opENS9_16wrapped_functionINS0_4lessIvEEbEEEE10hipError_tPvRmT1_T2_T3_mmT4_T5_P12ihipStream_tbEUlRKfE_EESM_SQ_SR_mSS_SV_bEUlT_E_NS1_11comp_targetILNS1_3genE10ELNS1_11target_archE1200ELNS1_3gpuE4ELNS1_3repE0EEENS1_30default_config_static_selectorELNS0_4arch9wavefront6targetE0EEEvSP_
; %bb.0:
	.section	.rodata,"a",@progbits
	.p2align	6, 0x0
	.amdhsa_kernel _ZN7rocprim17ROCPRIM_400000_NS6detail17trampoline_kernelINS0_14default_configENS1_27lower_bound_config_selectorIfiEEZNS1_14transform_implILb0ES3_S5_N6thrust23THRUST_200600_302600_NS6detail15normal_iteratorINS8_10device_ptrIfEEEENSA_INSB_IiEEEEZNS1_13binary_searchIS3_S5_SD_SD_SF_NS1_21lower_bound_search_opENS9_16wrapped_functionINS0_4lessIvEEbEEEE10hipError_tPvRmT1_T2_T3_mmT4_T5_P12ihipStream_tbEUlRKfE_EESM_SQ_SR_mSS_SV_bEUlT_E_NS1_11comp_targetILNS1_3genE10ELNS1_11target_archE1200ELNS1_3gpuE4ELNS1_3repE0EEENS1_30default_config_static_selectorELNS0_4arch9wavefront6targetE0EEEvSP_
		.amdhsa_group_segment_fixed_size 0
		.amdhsa_private_segment_fixed_size 0
		.amdhsa_kernarg_size 56
		.amdhsa_user_sgpr_count 15
		.amdhsa_user_sgpr_dispatch_ptr 0
		.amdhsa_user_sgpr_queue_ptr 0
		.amdhsa_user_sgpr_kernarg_segment_ptr 1
		.amdhsa_user_sgpr_dispatch_id 0
		.amdhsa_user_sgpr_private_segment_size 0
		.amdhsa_wavefront_size32 1
		.amdhsa_uses_dynamic_stack 0
		.amdhsa_enable_private_segment 0
		.amdhsa_system_sgpr_workgroup_id_x 1
		.amdhsa_system_sgpr_workgroup_id_y 0
		.amdhsa_system_sgpr_workgroup_id_z 0
		.amdhsa_system_sgpr_workgroup_info 0
		.amdhsa_system_vgpr_workitem_id 0
		.amdhsa_next_free_vgpr 1
		.amdhsa_next_free_sgpr 1
		.amdhsa_reserve_vcc 0
		.amdhsa_float_round_mode_32 0
		.amdhsa_float_round_mode_16_64 0
		.amdhsa_float_denorm_mode_32 3
		.amdhsa_float_denorm_mode_16_64 3
		.amdhsa_dx10_clamp 1
		.amdhsa_ieee_mode 1
		.amdhsa_fp16_overflow 0
		.amdhsa_workgroup_processor_mode 1
		.amdhsa_memory_ordered 1
		.amdhsa_forward_progress 0
		.amdhsa_shared_vgpr_count 0
		.amdhsa_exception_fp_ieee_invalid_op 0
		.amdhsa_exception_fp_denorm_src 0
		.amdhsa_exception_fp_ieee_div_zero 0
		.amdhsa_exception_fp_ieee_overflow 0
		.amdhsa_exception_fp_ieee_underflow 0
		.amdhsa_exception_fp_ieee_inexact 0
		.amdhsa_exception_int_div_zero 0
	.end_amdhsa_kernel
	.section	.text._ZN7rocprim17ROCPRIM_400000_NS6detail17trampoline_kernelINS0_14default_configENS1_27lower_bound_config_selectorIfiEEZNS1_14transform_implILb0ES3_S5_N6thrust23THRUST_200600_302600_NS6detail15normal_iteratorINS8_10device_ptrIfEEEENSA_INSB_IiEEEEZNS1_13binary_searchIS3_S5_SD_SD_SF_NS1_21lower_bound_search_opENS9_16wrapped_functionINS0_4lessIvEEbEEEE10hipError_tPvRmT1_T2_T3_mmT4_T5_P12ihipStream_tbEUlRKfE_EESM_SQ_SR_mSS_SV_bEUlT_E_NS1_11comp_targetILNS1_3genE10ELNS1_11target_archE1200ELNS1_3gpuE4ELNS1_3repE0EEENS1_30default_config_static_selectorELNS0_4arch9wavefront6targetE0EEEvSP_,"axG",@progbits,_ZN7rocprim17ROCPRIM_400000_NS6detail17trampoline_kernelINS0_14default_configENS1_27lower_bound_config_selectorIfiEEZNS1_14transform_implILb0ES3_S5_N6thrust23THRUST_200600_302600_NS6detail15normal_iteratorINS8_10device_ptrIfEEEENSA_INSB_IiEEEEZNS1_13binary_searchIS3_S5_SD_SD_SF_NS1_21lower_bound_search_opENS9_16wrapped_functionINS0_4lessIvEEbEEEE10hipError_tPvRmT1_T2_T3_mmT4_T5_P12ihipStream_tbEUlRKfE_EESM_SQ_SR_mSS_SV_bEUlT_E_NS1_11comp_targetILNS1_3genE10ELNS1_11target_archE1200ELNS1_3gpuE4ELNS1_3repE0EEENS1_30default_config_static_selectorELNS0_4arch9wavefront6targetE0EEEvSP_,comdat
.Lfunc_end267:
	.size	_ZN7rocprim17ROCPRIM_400000_NS6detail17trampoline_kernelINS0_14default_configENS1_27lower_bound_config_selectorIfiEEZNS1_14transform_implILb0ES3_S5_N6thrust23THRUST_200600_302600_NS6detail15normal_iteratorINS8_10device_ptrIfEEEENSA_INSB_IiEEEEZNS1_13binary_searchIS3_S5_SD_SD_SF_NS1_21lower_bound_search_opENS9_16wrapped_functionINS0_4lessIvEEbEEEE10hipError_tPvRmT1_T2_T3_mmT4_T5_P12ihipStream_tbEUlRKfE_EESM_SQ_SR_mSS_SV_bEUlT_E_NS1_11comp_targetILNS1_3genE10ELNS1_11target_archE1200ELNS1_3gpuE4ELNS1_3repE0EEENS1_30default_config_static_selectorELNS0_4arch9wavefront6targetE0EEEvSP_, .Lfunc_end267-_ZN7rocprim17ROCPRIM_400000_NS6detail17trampoline_kernelINS0_14default_configENS1_27lower_bound_config_selectorIfiEEZNS1_14transform_implILb0ES3_S5_N6thrust23THRUST_200600_302600_NS6detail15normal_iteratorINS8_10device_ptrIfEEEENSA_INSB_IiEEEEZNS1_13binary_searchIS3_S5_SD_SD_SF_NS1_21lower_bound_search_opENS9_16wrapped_functionINS0_4lessIvEEbEEEE10hipError_tPvRmT1_T2_T3_mmT4_T5_P12ihipStream_tbEUlRKfE_EESM_SQ_SR_mSS_SV_bEUlT_E_NS1_11comp_targetILNS1_3genE10ELNS1_11target_archE1200ELNS1_3gpuE4ELNS1_3repE0EEENS1_30default_config_static_selectorELNS0_4arch9wavefront6targetE0EEEvSP_
                                        ; -- End function
	.section	.AMDGPU.csdata,"",@progbits
; Kernel info:
; codeLenInByte = 0
; NumSgprs: 0
; NumVgprs: 0
; ScratchSize: 0
; MemoryBound: 0
; FloatMode: 240
; IeeeMode: 1
; LDSByteSize: 0 bytes/workgroup (compile time only)
; SGPRBlocks: 0
; VGPRBlocks: 0
; NumSGPRsForWavesPerEU: 1
; NumVGPRsForWavesPerEU: 1
; Occupancy: 16
; WaveLimiterHint : 0
; COMPUTE_PGM_RSRC2:SCRATCH_EN: 0
; COMPUTE_PGM_RSRC2:USER_SGPR: 15
; COMPUTE_PGM_RSRC2:TRAP_HANDLER: 0
; COMPUTE_PGM_RSRC2:TGID_X_EN: 1
; COMPUTE_PGM_RSRC2:TGID_Y_EN: 0
; COMPUTE_PGM_RSRC2:TGID_Z_EN: 0
; COMPUTE_PGM_RSRC2:TIDIG_COMP_CNT: 0
	.section	.text._ZN7rocprim17ROCPRIM_400000_NS6detail17trampoline_kernelINS0_14default_configENS1_27lower_bound_config_selectorIfiEEZNS1_14transform_implILb0ES3_S5_N6thrust23THRUST_200600_302600_NS6detail15normal_iteratorINS8_10device_ptrIfEEEENSA_INSB_IiEEEEZNS1_13binary_searchIS3_S5_SD_SD_SF_NS1_21lower_bound_search_opENS9_16wrapped_functionINS0_4lessIvEEbEEEE10hipError_tPvRmT1_T2_T3_mmT4_T5_P12ihipStream_tbEUlRKfE_EESM_SQ_SR_mSS_SV_bEUlT_E_NS1_11comp_targetILNS1_3genE9ELNS1_11target_archE1100ELNS1_3gpuE3ELNS1_3repE0EEENS1_30default_config_static_selectorELNS0_4arch9wavefront6targetE0EEEvSP_,"axG",@progbits,_ZN7rocprim17ROCPRIM_400000_NS6detail17trampoline_kernelINS0_14default_configENS1_27lower_bound_config_selectorIfiEEZNS1_14transform_implILb0ES3_S5_N6thrust23THRUST_200600_302600_NS6detail15normal_iteratorINS8_10device_ptrIfEEEENSA_INSB_IiEEEEZNS1_13binary_searchIS3_S5_SD_SD_SF_NS1_21lower_bound_search_opENS9_16wrapped_functionINS0_4lessIvEEbEEEE10hipError_tPvRmT1_T2_T3_mmT4_T5_P12ihipStream_tbEUlRKfE_EESM_SQ_SR_mSS_SV_bEUlT_E_NS1_11comp_targetILNS1_3genE9ELNS1_11target_archE1100ELNS1_3gpuE3ELNS1_3repE0EEENS1_30default_config_static_selectorELNS0_4arch9wavefront6targetE0EEEvSP_,comdat
	.protected	_ZN7rocprim17ROCPRIM_400000_NS6detail17trampoline_kernelINS0_14default_configENS1_27lower_bound_config_selectorIfiEEZNS1_14transform_implILb0ES3_S5_N6thrust23THRUST_200600_302600_NS6detail15normal_iteratorINS8_10device_ptrIfEEEENSA_INSB_IiEEEEZNS1_13binary_searchIS3_S5_SD_SD_SF_NS1_21lower_bound_search_opENS9_16wrapped_functionINS0_4lessIvEEbEEEE10hipError_tPvRmT1_T2_T3_mmT4_T5_P12ihipStream_tbEUlRKfE_EESM_SQ_SR_mSS_SV_bEUlT_E_NS1_11comp_targetILNS1_3genE9ELNS1_11target_archE1100ELNS1_3gpuE3ELNS1_3repE0EEENS1_30default_config_static_selectorELNS0_4arch9wavefront6targetE0EEEvSP_ ; -- Begin function _ZN7rocprim17ROCPRIM_400000_NS6detail17trampoline_kernelINS0_14default_configENS1_27lower_bound_config_selectorIfiEEZNS1_14transform_implILb0ES3_S5_N6thrust23THRUST_200600_302600_NS6detail15normal_iteratorINS8_10device_ptrIfEEEENSA_INSB_IiEEEEZNS1_13binary_searchIS3_S5_SD_SD_SF_NS1_21lower_bound_search_opENS9_16wrapped_functionINS0_4lessIvEEbEEEE10hipError_tPvRmT1_T2_T3_mmT4_T5_P12ihipStream_tbEUlRKfE_EESM_SQ_SR_mSS_SV_bEUlT_E_NS1_11comp_targetILNS1_3genE9ELNS1_11target_archE1100ELNS1_3gpuE3ELNS1_3repE0EEENS1_30default_config_static_selectorELNS0_4arch9wavefront6targetE0EEEvSP_
	.globl	_ZN7rocprim17ROCPRIM_400000_NS6detail17trampoline_kernelINS0_14default_configENS1_27lower_bound_config_selectorIfiEEZNS1_14transform_implILb0ES3_S5_N6thrust23THRUST_200600_302600_NS6detail15normal_iteratorINS8_10device_ptrIfEEEENSA_INSB_IiEEEEZNS1_13binary_searchIS3_S5_SD_SD_SF_NS1_21lower_bound_search_opENS9_16wrapped_functionINS0_4lessIvEEbEEEE10hipError_tPvRmT1_T2_T3_mmT4_T5_P12ihipStream_tbEUlRKfE_EESM_SQ_SR_mSS_SV_bEUlT_E_NS1_11comp_targetILNS1_3genE9ELNS1_11target_archE1100ELNS1_3gpuE3ELNS1_3repE0EEENS1_30default_config_static_selectorELNS0_4arch9wavefront6targetE0EEEvSP_
	.p2align	8
	.type	_ZN7rocprim17ROCPRIM_400000_NS6detail17trampoline_kernelINS0_14default_configENS1_27lower_bound_config_selectorIfiEEZNS1_14transform_implILb0ES3_S5_N6thrust23THRUST_200600_302600_NS6detail15normal_iteratorINS8_10device_ptrIfEEEENSA_INSB_IiEEEEZNS1_13binary_searchIS3_S5_SD_SD_SF_NS1_21lower_bound_search_opENS9_16wrapped_functionINS0_4lessIvEEbEEEE10hipError_tPvRmT1_T2_T3_mmT4_T5_P12ihipStream_tbEUlRKfE_EESM_SQ_SR_mSS_SV_bEUlT_E_NS1_11comp_targetILNS1_3genE9ELNS1_11target_archE1100ELNS1_3gpuE3ELNS1_3repE0EEENS1_30default_config_static_selectorELNS0_4arch9wavefront6targetE0EEEvSP_,@function
_ZN7rocprim17ROCPRIM_400000_NS6detail17trampoline_kernelINS0_14default_configENS1_27lower_bound_config_selectorIfiEEZNS1_14transform_implILb0ES3_S5_N6thrust23THRUST_200600_302600_NS6detail15normal_iteratorINS8_10device_ptrIfEEEENSA_INSB_IiEEEEZNS1_13binary_searchIS3_S5_SD_SD_SF_NS1_21lower_bound_search_opENS9_16wrapped_functionINS0_4lessIvEEbEEEE10hipError_tPvRmT1_T2_T3_mmT4_T5_P12ihipStream_tbEUlRKfE_EESM_SQ_SR_mSS_SV_bEUlT_E_NS1_11comp_targetILNS1_3genE9ELNS1_11target_archE1100ELNS1_3gpuE3ELNS1_3repE0EEENS1_30default_config_static_selectorELNS0_4arch9wavefront6targetE0EEEvSP_: ; @_ZN7rocprim17ROCPRIM_400000_NS6detail17trampoline_kernelINS0_14default_configENS1_27lower_bound_config_selectorIfiEEZNS1_14transform_implILb0ES3_S5_N6thrust23THRUST_200600_302600_NS6detail15normal_iteratorINS8_10device_ptrIfEEEENSA_INSB_IiEEEEZNS1_13binary_searchIS3_S5_SD_SD_SF_NS1_21lower_bound_search_opENS9_16wrapped_functionINS0_4lessIvEEbEEEE10hipError_tPvRmT1_T2_T3_mmT4_T5_P12ihipStream_tbEUlRKfE_EESM_SQ_SR_mSS_SV_bEUlT_E_NS1_11comp_targetILNS1_3genE9ELNS1_11target_archE1100ELNS1_3gpuE3ELNS1_3repE0EEENS1_30default_config_static_selectorELNS0_4arch9wavefront6targetE0EEEvSP_
; %bb.0:
	s_clause 0x3
	s_load_b128 s[16:19], s[0:1], 0x0
	s_load_b128 s[4:7], s[0:1], 0x18
	s_load_b32 s12, s[0:1], 0x38
	s_load_b64 s[8:9], s[0:1], 0x28
	s_waitcnt lgkmcnt(0)
	s_lshl_b64 s[2:3], s[18:19], 2
	s_delay_alu instid0(SALU_CYCLE_1)
	s_add_u32 s10, s16, s2
	s_addc_u32 s11, s17, s3
	s_add_u32 s4, s4, s2
	s_addc_u32 s5, s5, s3
	s_add_i32 s12, s12, -1
	s_lshl_b32 s2, s15, 7
	s_mov_b32 s3, 0
	s_cmp_lg_u32 s15, s12
	s_mov_b32 s12, -1
	s_cbranch_scc0 .LBB268_6
; %bb.1:
	v_mov_b32_e32 v1, 0
	s_cmp_eq_u64 s[8:9], 0
	s_cbranch_scc1 .LBB268_5
; %bb.2:
	v_lshlrev_b32_e32 v1, 2, v0
	s_lshl_b64 s[12:13], s[2:3], 2
	v_dual_mov_b32 v3, s8 :: v_dual_mov_b32 v4, s9
	s_add_u32 s12, s10, s12
	s_addc_u32 s13, s11, s13
	v_add_co_u32 v1, s12, s12, v1
	s_delay_alu instid0(VALU_DEP_1)
	v_add_co_ci_u32_e64 v2, null, s13, 0, s12
	s_mov_b32 s12, 0
	flat_load_b32 v5, v[1:2]
	v_mov_b32_e32 v1, 0
	v_mov_b32_e32 v2, 0
	.p2align	6
.LBB268_3:                              ; =>This Inner Loop Header: Depth=1
	s_delay_alu instid0(VALU_DEP_2) | instskip(NEXT) | instid1(VALU_DEP_2)
	v_sub_co_u32 v6, vcc_lo, v3, v1
	v_sub_co_ci_u32_e32 v7, vcc_lo, v4, v2, vcc_lo
	s_delay_alu instid0(VALU_DEP_1) | instskip(SKIP_1) | instid1(VALU_DEP_2)
	v_lshrrev_b64 v[8:9], 1, v[6:7]
	v_lshrrev_b64 v[6:7], 6, v[6:7]
	v_add_co_u32 v8, vcc_lo, v8, v1
	s_delay_alu instid0(VALU_DEP_3) | instskip(NEXT) | instid1(VALU_DEP_2)
	v_add_co_ci_u32_e32 v9, vcc_lo, v9, v2, vcc_lo
	v_add_co_u32 v6, vcc_lo, v8, v6
	s_delay_alu instid0(VALU_DEP_2) | instskip(NEXT) | instid1(VALU_DEP_1)
	v_add_co_ci_u32_e32 v7, vcc_lo, v9, v7, vcc_lo
	v_lshlrev_b64 v[8:9], 2, v[6:7]
	s_delay_alu instid0(VALU_DEP_1) | instskip(NEXT) | instid1(VALU_DEP_2)
	v_add_co_u32 v8, vcc_lo, s6, v8
	v_add_co_ci_u32_e32 v9, vcc_lo, s7, v9, vcc_lo
	global_load_b32 v8, v[8:9], off
	v_add_co_u32 v9, vcc_lo, v6, 1
	v_add_co_ci_u32_e32 v10, vcc_lo, 0, v7, vcc_lo
	s_waitcnt vmcnt(0) lgkmcnt(0)
	v_cmp_lt_f32_e32 vcc_lo, v8, v5
	v_dual_cndmask_b32 v4, v7, v4 :: v_dual_cndmask_b32 v3, v6, v3
	s_delay_alu instid0(VALU_DEP_3) | instskip(NEXT) | instid1(VALU_DEP_1)
	v_dual_cndmask_b32 v2, v2, v10 :: v_dual_cndmask_b32 v1, v1, v9
	v_cmp_ge_u64_e32 vcc_lo, v[1:2], v[3:4]
	s_or_b32 s12, vcc_lo, s12
	s_delay_alu instid0(SALU_CYCLE_1)
	s_and_not1_b32 exec_lo, exec_lo, s12
	s_cbranch_execnz .LBB268_3
; %bb.4:
	s_or_b32 exec_lo, exec_lo, s12
.LBB268_5:
	v_lshlrev_b32_e32 v2, 2, v0
	s_lshl_b64 s[12:13], s[2:3], 2
	s_delay_alu instid0(SALU_CYCLE_1) | instskip(SKIP_1) | instid1(VALU_DEP_1)
	s_add_u32 s12, s4, s12
	s_addc_u32 s13, s5, s13
	v_add_co_u32 v2, s12, s12, v2
	s_delay_alu instid0(VALU_DEP_1)
	v_add_co_ci_u32_e64 v3, null, s13, 0, s12
	s_mov_b32 s12, 0
	flat_store_b32 v[2:3], v1
.LBB268_6:
	s_and_b32 vcc_lo, exec_lo, s12
	s_cbranch_vccz .LBB268_11
; %bb.7:
	s_load_b32 s0, s[0:1], 0x10
                                        ; implicit-def: $vgpr5
	s_waitcnt lgkmcnt(0)
	s_sub_i32 s0, s0, s2
	s_delay_alu instid0(SALU_CYCLE_1)
	v_cmp_gt_u32_e32 vcc_lo, s0, v0
	s_and_saveexec_b32 s0, vcc_lo
	s_cbranch_execnz .LBB268_12
; %bb.8:
	s_or_b32 exec_lo, exec_lo, s0
                                        ; implicit-def: $vgpr1
	s_and_saveexec_b32 s1, vcc_lo
	s_cbranch_execnz .LBB268_13
.LBB268_9:
	s_or_b32 exec_lo, exec_lo, s1
	s_and_saveexec_b32 s0, vcc_lo
	s_cbranch_execz .LBB268_11
.LBB268_10:
	v_lshlrev_b32_e32 v0, 2, v0
	s_lshl_b64 s[0:1], s[2:3], 2
	s_delay_alu instid0(SALU_CYCLE_1) | instskip(SKIP_1) | instid1(VALU_DEP_1)
	s_add_u32 s0, s4, s0
	s_addc_u32 s1, s5, s1
	v_add_co_u32 v2, s0, s0, v0
	s_delay_alu instid0(VALU_DEP_1)
	v_add_co_ci_u32_e64 v3, null, s1, 0, s0
	flat_store_b32 v[2:3], v1
.LBB268_11:
	s_endpgm
.LBB268_12:
	v_lshlrev_b32_e32 v1, 2, v0
	s_lshl_b64 s[12:13], s[2:3], 2
	s_delay_alu instid0(SALU_CYCLE_1) | instskip(SKIP_1) | instid1(VALU_DEP_1)
	s_add_u32 s1, s10, s12
	s_addc_u32 s10, s11, s13
	v_add_co_u32 v1, s1, s1, v1
	s_delay_alu instid0(VALU_DEP_1)
	v_add_co_ci_u32_e64 v2, null, s10, 0, s1
	flat_load_b32 v5, v[1:2]
	s_or_b32 exec_lo, exec_lo, s0
                                        ; implicit-def: $vgpr1
	s_and_saveexec_b32 s1, vcc_lo
	s_cbranch_execz .LBB268_9
.LBB268_13:
	s_cmp_eq_u64 s[8:9], 0
	s_cbranch_scc1 .LBB268_17
; %bb.14:
	v_mov_b32_e32 v1, 0
	v_dual_mov_b32 v2, 0 :: v_dual_mov_b32 v3, s8
	v_mov_b32_e32 v4, s9
	s_mov_b32 s8, 0
	s_set_inst_prefetch_distance 0x1
	.p2align	6
.LBB268_15:                             ; =>This Inner Loop Header: Depth=1
	s_delay_alu instid0(VALU_DEP_2) | instskip(NEXT) | instid1(VALU_DEP_1)
	v_sub_co_u32 v6, s0, v3, v1
	v_sub_co_ci_u32_e64 v7, s0, v4, v2, s0
	s_delay_alu instid0(VALU_DEP_1) | instskip(SKIP_1) | instid1(VALU_DEP_2)
	v_lshrrev_b64 v[8:9], 1, v[6:7]
	v_lshrrev_b64 v[6:7], 6, v[6:7]
	v_add_co_u32 v8, s0, v8, v1
	s_delay_alu instid0(VALU_DEP_1) | instskip(NEXT) | instid1(VALU_DEP_2)
	v_add_co_ci_u32_e64 v9, s0, v9, v2, s0
	v_add_co_u32 v6, s0, v8, v6
	s_delay_alu instid0(VALU_DEP_1) | instskip(NEXT) | instid1(VALU_DEP_1)
	v_add_co_ci_u32_e64 v7, s0, v9, v7, s0
	v_lshlrev_b64 v[8:9], 2, v[6:7]
	s_delay_alu instid0(VALU_DEP_1) | instskip(NEXT) | instid1(VALU_DEP_1)
	v_add_co_u32 v8, s0, s6, v8
	v_add_co_ci_u32_e64 v9, s0, s7, v9, s0
	global_load_b32 v8, v[8:9], off
	v_add_co_u32 v9, s0, v6, 1
	s_delay_alu instid0(VALU_DEP_1) | instskip(SKIP_2) | instid1(VALU_DEP_1)
	v_add_co_ci_u32_e64 v10, s0, 0, v7, s0
	s_waitcnt vmcnt(0) lgkmcnt(0)
	v_cmp_lt_f32_e64 s0, v8, v5
	v_cndmask_b32_e64 v4, v7, v4, s0
	v_cndmask_b32_e64 v3, v6, v3, s0
	;; [unrolled: 1-line block ×4, first 2 shown]
	s_delay_alu instid0(VALU_DEP_1) | instskip(NEXT) | instid1(VALU_DEP_1)
	v_cmp_ge_u64_e64 s0, v[1:2], v[3:4]
	s_or_b32 s8, s0, s8
	s_delay_alu instid0(SALU_CYCLE_1)
	s_and_not1_b32 exec_lo, exec_lo, s8
	s_cbranch_execnz .LBB268_15
; %bb.16:
	s_set_inst_prefetch_distance 0x2
	s_or_b32 exec_lo, exec_lo, s8
	s_delay_alu instid0(SALU_CYCLE_1)
	s_or_b32 exec_lo, exec_lo, s1
	s_and_saveexec_b32 s0, vcc_lo
	s_cbranch_execnz .LBB268_10
	s_branch .LBB268_11
.LBB268_17:
	v_mov_b32_e32 v1, 0
	s_or_b32 exec_lo, exec_lo, s1
	s_and_saveexec_b32 s0, vcc_lo
	s_cbranch_execnz .LBB268_10
	s_branch .LBB268_11
	.section	.rodata,"a",@progbits
	.p2align	6, 0x0
	.amdhsa_kernel _ZN7rocprim17ROCPRIM_400000_NS6detail17trampoline_kernelINS0_14default_configENS1_27lower_bound_config_selectorIfiEEZNS1_14transform_implILb0ES3_S5_N6thrust23THRUST_200600_302600_NS6detail15normal_iteratorINS8_10device_ptrIfEEEENSA_INSB_IiEEEEZNS1_13binary_searchIS3_S5_SD_SD_SF_NS1_21lower_bound_search_opENS9_16wrapped_functionINS0_4lessIvEEbEEEE10hipError_tPvRmT1_T2_T3_mmT4_T5_P12ihipStream_tbEUlRKfE_EESM_SQ_SR_mSS_SV_bEUlT_E_NS1_11comp_targetILNS1_3genE9ELNS1_11target_archE1100ELNS1_3gpuE3ELNS1_3repE0EEENS1_30default_config_static_selectorELNS0_4arch9wavefront6targetE0EEEvSP_
		.amdhsa_group_segment_fixed_size 0
		.amdhsa_private_segment_fixed_size 0
		.amdhsa_kernarg_size 312
		.amdhsa_user_sgpr_count 15
		.amdhsa_user_sgpr_dispatch_ptr 0
		.amdhsa_user_sgpr_queue_ptr 0
		.amdhsa_user_sgpr_kernarg_segment_ptr 1
		.amdhsa_user_sgpr_dispatch_id 0
		.amdhsa_user_sgpr_private_segment_size 0
		.amdhsa_wavefront_size32 1
		.amdhsa_uses_dynamic_stack 0
		.amdhsa_enable_private_segment 0
		.amdhsa_system_sgpr_workgroup_id_x 1
		.amdhsa_system_sgpr_workgroup_id_y 0
		.amdhsa_system_sgpr_workgroup_id_z 0
		.amdhsa_system_sgpr_workgroup_info 0
		.amdhsa_system_vgpr_workitem_id 0
		.amdhsa_next_free_vgpr 11
		.amdhsa_next_free_sgpr 20
		.amdhsa_reserve_vcc 1
		.amdhsa_float_round_mode_32 0
		.amdhsa_float_round_mode_16_64 0
		.amdhsa_float_denorm_mode_32 3
		.amdhsa_float_denorm_mode_16_64 3
		.amdhsa_dx10_clamp 1
		.amdhsa_ieee_mode 1
		.amdhsa_fp16_overflow 0
		.amdhsa_workgroup_processor_mode 1
		.amdhsa_memory_ordered 1
		.amdhsa_forward_progress 0
		.amdhsa_shared_vgpr_count 0
		.amdhsa_exception_fp_ieee_invalid_op 0
		.amdhsa_exception_fp_denorm_src 0
		.amdhsa_exception_fp_ieee_div_zero 0
		.amdhsa_exception_fp_ieee_overflow 0
		.amdhsa_exception_fp_ieee_underflow 0
		.amdhsa_exception_fp_ieee_inexact 0
		.amdhsa_exception_int_div_zero 0
	.end_amdhsa_kernel
	.section	.text._ZN7rocprim17ROCPRIM_400000_NS6detail17trampoline_kernelINS0_14default_configENS1_27lower_bound_config_selectorIfiEEZNS1_14transform_implILb0ES3_S5_N6thrust23THRUST_200600_302600_NS6detail15normal_iteratorINS8_10device_ptrIfEEEENSA_INSB_IiEEEEZNS1_13binary_searchIS3_S5_SD_SD_SF_NS1_21lower_bound_search_opENS9_16wrapped_functionINS0_4lessIvEEbEEEE10hipError_tPvRmT1_T2_T3_mmT4_T5_P12ihipStream_tbEUlRKfE_EESM_SQ_SR_mSS_SV_bEUlT_E_NS1_11comp_targetILNS1_3genE9ELNS1_11target_archE1100ELNS1_3gpuE3ELNS1_3repE0EEENS1_30default_config_static_selectorELNS0_4arch9wavefront6targetE0EEEvSP_,"axG",@progbits,_ZN7rocprim17ROCPRIM_400000_NS6detail17trampoline_kernelINS0_14default_configENS1_27lower_bound_config_selectorIfiEEZNS1_14transform_implILb0ES3_S5_N6thrust23THRUST_200600_302600_NS6detail15normal_iteratorINS8_10device_ptrIfEEEENSA_INSB_IiEEEEZNS1_13binary_searchIS3_S5_SD_SD_SF_NS1_21lower_bound_search_opENS9_16wrapped_functionINS0_4lessIvEEbEEEE10hipError_tPvRmT1_T2_T3_mmT4_T5_P12ihipStream_tbEUlRKfE_EESM_SQ_SR_mSS_SV_bEUlT_E_NS1_11comp_targetILNS1_3genE9ELNS1_11target_archE1100ELNS1_3gpuE3ELNS1_3repE0EEENS1_30default_config_static_selectorELNS0_4arch9wavefront6targetE0EEEvSP_,comdat
.Lfunc_end268:
	.size	_ZN7rocprim17ROCPRIM_400000_NS6detail17trampoline_kernelINS0_14default_configENS1_27lower_bound_config_selectorIfiEEZNS1_14transform_implILb0ES3_S5_N6thrust23THRUST_200600_302600_NS6detail15normal_iteratorINS8_10device_ptrIfEEEENSA_INSB_IiEEEEZNS1_13binary_searchIS3_S5_SD_SD_SF_NS1_21lower_bound_search_opENS9_16wrapped_functionINS0_4lessIvEEbEEEE10hipError_tPvRmT1_T2_T3_mmT4_T5_P12ihipStream_tbEUlRKfE_EESM_SQ_SR_mSS_SV_bEUlT_E_NS1_11comp_targetILNS1_3genE9ELNS1_11target_archE1100ELNS1_3gpuE3ELNS1_3repE0EEENS1_30default_config_static_selectorELNS0_4arch9wavefront6targetE0EEEvSP_, .Lfunc_end268-_ZN7rocprim17ROCPRIM_400000_NS6detail17trampoline_kernelINS0_14default_configENS1_27lower_bound_config_selectorIfiEEZNS1_14transform_implILb0ES3_S5_N6thrust23THRUST_200600_302600_NS6detail15normal_iteratorINS8_10device_ptrIfEEEENSA_INSB_IiEEEEZNS1_13binary_searchIS3_S5_SD_SD_SF_NS1_21lower_bound_search_opENS9_16wrapped_functionINS0_4lessIvEEbEEEE10hipError_tPvRmT1_T2_T3_mmT4_T5_P12ihipStream_tbEUlRKfE_EESM_SQ_SR_mSS_SV_bEUlT_E_NS1_11comp_targetILNS1_3genE9ELNS1_11target_archE1100ELNS1_3gpuE3ELNS1_3repE0EEENS1_30default_config_static_selectorELNS0_4arch9wavefront6targetE0EEEvSP_
                                        ; -- End function
	.section	.AMDGPU.csdata,"",@progbits
; Kernel info:
; codeLenInByte = 844
; NumSgprs: 22
; NumVgprs: 11
; ScratchSize: 0
; MemoryBound: 0
; FloatMode: 240
; IeeeMode: 1
; LDSByteSize: 0 bytes/workgroup (compile time only)
; SGPRBlocks: 2
; VGPRBlocks: 1
; NumSGPRsForWavesPerEU: 22
; NumVGPRsForWavesPerEU: 11
; Occupancy: 16
; WaveLimiterHint : 0
; COMPUTE_PGM_RSRC2:SCRATCH_EN: 0
; COMPUTE_PGM_RSRC2:USER_SGPR: 15
; COMPUTE_PGM_RSRC2:TRAP_HANDLER: 0
; COMPUTE_PGM_RSRC2:TGID_X_EN: 1
; COMPUTE_PGM_RSRC2:TGID_Y_EN: 0
; COMPUTE_PGM_RSRC2:TGID_Z_EN: 0
; COMPUTE_PGM_RSRC2:TIDIG_COMP_CNT: 0
	.section	.text._ZN7rocprim17ROCPRIM_400000_NS6detail17trampoline_kernelINS0_14default_configENS1_27lower_bound_config_selectorIfiEEZNS1_14transform_implILb0ES3_S5_N6thrust23THRUST_200600_302600_NS6detail15normal_iteratorINS8_10device_ptrIfEEEENSA_INSB_IiEEEEZNS1_13binary_searchIS3_S5_SD_SD_SF_NS1_21lower_bound_search_opENS9_16wrapped_functionINS0_4lessIvEEbEEEE10hipError_tPvRmT1_T2_T3_mmT4_T5_P12ihipStream_tbEUlRKfE_EESM_SQ_SR_mSS_SV_bEUlT_E_NS1_11comp_targetILNS1_3genE8ELNS1_11target_archE1030ELNS1_3gpuE2ELNS1_3repE0EEENS1_30default_config_static_selectorELNS0_4arch9wavefront6targetE0EEEvSP_,"axG",@progbits,_ZN7rocprim17ROCPRIM_400000_NS6detail17trampoline_kernelINS0_14default_configENS1_27lower_bound_config_selectorIfiEEZNS1_14transform_implILb0ES3_S5_N6thrust23THRUST_200600_302600_NS6detail15normal_iteratorINS8_10device_ptrIfEEEENSA_INSB_IiEEEEZNS1_13binary_searchIS3_S5_SD_SD_SF_NS1_21lower_bound_search_opENS9_16wrapped_functionINS0_4lessIvEEbEEEE10hipError_tPvRmT1_T2_T3_mmT4_T5_P12ihipStream_tbEUlRKfE_EESM_SQ_SR_mSS_SV_bEUlT_E_NS1_11comp_targetILNS1_3genE8ELNS1_11target_archE1030ELNS1_3gpuE2ELNS1_3repE0EEENS1_30default_config_static_selectorELNS0_4arch9wavefront6targetE0EEEvSP_,comdat
	.protected	_ZN7rocprim17ROCPRIM_400000_NS6detail17trampoline_kernelINS0_14default_configENS1_27lower_bound_config_selectorIfiEEZNS1_14transform_implILb0ES3_S5_N6thrust23THRUST_200600_302600_NS6detail15normal_iteratorINS8_10device_ptrIfEEEENSA_INSB_IiEEEEZNS1_13binary_searchIS3_S5_SD_SD_SF_NS1_21lower_bound_search_opENS9_16wrapped_functionINS0_4lessIvEEbEEEE10hipError_tPvRmT1_T2_T3_mmT4_T5_P12ihipStream_tbEUlRKfE_EESM_SQ_SR_mSS_SV_bEUlT_E_NS1_11comp_targetILNS1_3genE8ELNS1_11target_archE1030ELNS1_3gpuE2ELNS1_3repE0EEENS1_30default_config_static_selectorELNS0_4arch9wavefront6targetE0EEEvSP_ ; -- Begin function _ZN7rocprim17ROCPRIM_400000_NS6detail17trampoline_kernelINS0_14default_configENS1_27lower_bound_config_selectorIfiEEZNS1_14transform_implILb0ES3_S5_N6thrust23THRUST_200600_302600_NS6detail15normal_iteratorINS8_10device_ptrIfEEEENSA_INSB_IiEEEEZNS1_13binary_searchIS3_S5_SD_SD_SF_NS1_21lower_bound_search_opENS9_16wrapped_functionINS0_4lessIvEEbEEEE10hipError_tPvRmT1_T2_T3_mmT4_T5_P12ihipStream_tbEUlRKfE_EESM_SQ_SR_mSS_SV_bEUlT_E_NS1_11comp_targetILNS1_3genE8ELNS1_11target_archE1030ELNS1_3gpuE2ELNS1_3repE0EEENS1_30default_config_static_selectorELNS0_4arch9wavefront6targetE0EEEvSP_
	.globl	_ZN7rocprim17ROCPRIM_400000_NS6detail17trampoline_kernelINS0_14default_configENS1_27lower_bound_config_selectorIfiEEZNS1_14transform_implILb0ES3_S5_N6thrust23THRUST_200600_302600_NS6detail15normal_iteratorINS8_10device_ptrIfEEEENSA_INSB_IiEEEEZNS1_13binary_searchIS3_S5_SD_SD_SF_NS1_21lower_bound_search_opENS9_16wrapped_functionINS0_4lessIvEEbEEEE10hipError_tPvRmT1_T2_T3_mmT4_T5_P12ihipStream_tbEUlRKfE_EESM_SQ_SR_mSS_SV_bEUlT_E_NS1_11comp_targetILNS1_3genE8ELNS1_11target_archE1030ELNS1_3gpuE2ELNS1_3repE0EEENS1_30default_config_static_selectorELNS0_4arch9wavefront6targetE0EEEvSP_
	.p2align	8
	.type	_ZN7rocprim17ROCPRIM_400000_NS6detail17trampoline_kernelINS0_14default_configENS1_27lower_bound_config_selectorIfiEEZNS1_14transform_implILb0ES3_S5_N6thrust23THRUST_200600_302600_NS6detail15normal_iteratorINS8_10device_ptrIfEEEENSA_INSB_IiEEEEZNS1_13binary_searchIS3_S5_SD_SD_SF_NS1_21lower_bound_search_opENS9_16wrapped_functionINS0_4lessIvEEbEEEE10hipError_tPvRmT1_T2_T3_mmT4_T5_P12ihipStream_tbEUlRKfE_EESM_SQ_SR_mSS_SV_bEUlT_E_NS1_11comp_targetILNS1_3genE8ELNS1_11target_archE1030ELNS1_3gpuE2ELNS1_3repE0EEENS1_30default_config_static_selectorELNS0_4arch9wavefront6targetE0EEEvSP_,@function
_ZN7rocprim17ROCPRIM_400000_NS6detail17trampoline_kernelINS0_14default_configENS1_27lower_bound_config_selectorIfiEEZNS1_14transform_implILb0ES3_S5_N6thrust23THRUST_200600_302600_NS6detail15normal_iteratorINS8_10device_ptrIfEEEENSA_INSB_IiEEEEZNS1_13binary_searchIS3_S5_SD_SD_SF_NS1_21lower_bound_search_opENS9_16wrapped_functionINS0_4lessIvEEbEEEE10hipError_tPvRmT1_T2_T3_mmT4_T5_P12ihipStream_tbEUlRKfE_EESM_SQ_SR_mSS_SV_bEUlT_E_NS1_11comp_targetILNS1_3genE8ELNS1_11target_archE1030ELNS1_3gpuE2ELNS1_3repE0EEENS1_30default_config_static_selectorELNS0_4arch9wavefront6targetE0EEEvSP_: ; @_ZN7rocprim17ROCPRIM_400000_NS6detail17trampoline_kernelINS0_14default_configENS1_27lower_bound_config_selectorIfiEEZNS1_14transform_implILb0ES3_S5_N6thrust23THRUST_200600_302600_NS6detail15normal_iteratorINS8_10device_ptrIfEEEENSA_INSB_IiEEEEZNS1_13binary_searchIS3_S5_SD_SD_SF_NS1_21lower_bound_search_opENS9_16wrapped_functionINS0_4lessIvEEbEEEE10hipError_tPvRmT1_T2_T3_mmT4_T5_P12ihipStream_tbEUlRKfE_EESM_SQ_SR_mSS_SV_bEUlT_E_NS1_11comp_targetILNS1_3genE8ELNS1_11target_archE1030ELNS1_3gpuE2ELNS1_3repE0EEENS1_30default_config_static_selectorELNS0_4arch9wavefront6targetE0EEEvSP_
; %bb.0:
	.section	.rodata,"a",@progbits
	.p2align	6, 0x0
	.amdhsa_kernel _ZN7rocprim17ROCPRIM_400000_NS6detail17trampoline_kernelINS0_14default_configENS1_27lower_bound_config_selectorIfiEEZNS1_14transform_implILb0ES3_S5_N6thrust23THRUST_200600_302600_NS6detail15normal_iteratorINS8_10device_ptrIfEEEENSA_INSB_IiEEEEZNS1_13binary_searchIS3_S5_SD_SD_SF_NS1_21lower_bound_search_opENS9_16wrapped_functionINS0_4lessIvEEbEEEE10hipError_tPvRmT1_T2_T3_mmT4_T5_P12ihipStream_tbEUlRKfE_EESM_SQ_SR_mSS_SV_bEUlT_E_NS1_11comp_targetILNS1_3genE8ELNS1_11target_archE1030ELNS1_3gpuE2ELNS1_3repE0EEENS1_30default_config_static_selectorELNS0_4arch9wavefront6targetE0EEEvSP_
		.amdhsa_group_segment_fixed_size 0
		.amdhsa_private_segment_fixed_size 0
		.amdhsa_kernarg_size 56
		.amdhsa_user_sgpr_count 15
		.amdhsa_user_sgpr_dispatch_ptr 0
		.amdhsa_user_sgpr_queue_ptr 0
		.amdhsa_user_sgpr_kernarg_segment_ptr 1
		.amdhsa_user_sgpr_dispatch_id 0
		.amdhsa_user_sgpr_private_segment_size 0
		.amdhsa_wavefront_size32 1
		.amdhsa_uses_dynamic_stack 0
		.amdhsa_enable_private_segment 0
		.amdhsa_system_sgpr_workgroup_id_x 1
		.amdhsa_system_sgpr_workgroup_id_y 0
		.amdhsa_system_sgpr_workgroup_id_z 0
		.amdhsa_system_sgpr_workgroup_info 0
		.amdhsa_system_vgpr_workitem_id 0
		.amdhsa_next_free_vgpr 1
		.amdhsa_next_free_sgpr 1
		.amdhsa_reserve_vcc 0
		.amdhsa_float_round_mode_32 0
		.amdhsa_float_round_mode_16_64 0
		.amdhsa_float_denorm_mode_32 3
		.amdhsa_float_denorm_mode_16_64 3
		.amdhsa_dx10_clamp 1
		.amdhsa_ieee_mode 1
		.amdhsa_fp16_overflow 0
		.amdhsa_workgroup_processor_mode 1
		.amdhsa_memory_ordered 1
		.amdhsa_forward_progress 0
		.amdhsa_shared_vgpr_count 0
		.amdhsa_exception_fp_ieee_invalid_op 0
		.amdhsa_exception_fp_denorm_src 0
		.amdhsa_exception_fp_ieee_div_zero 0
		.amdhsa_exception_fp_ieee_overflow 0
		.amdhsa_exception_fp_ieee_underflow 0
		.amdhsa_exception_fp_ieee_inexact 0
		.amdhsa_exception_int_div_zero 0
	.end_amdhsa_kernel
	.section	.text._ZN7rocprim17ROCPRIM_400000_NS6detail17trampoline_kernelINS0_14default_configENS1_27lower_bound_config_selectorIfiEEZNS1_14transform_implILb0ES3_S5_N6thrust23THRUST_200600_302600_NS6detail15normal_iteratorINS8_10device_ptrIfEEEENSA_INSB_IiEEEEZNS1_13binary_searchIS3_S5_SD_SD_SF_NS1_21lower_bound_search_opENS9_16wrapped_functionINS0_4lessIvEEbEEEE10hipError_tPvRmT1_T2_T3_mmT4_T5_P12ihipStream_tbEUlRKfE_EESM_SQ_SR_mSS_SV_bEUlT_E_NS1_11comp_targetILNS1_3genE8ELNS1_11target_archE1030ELNS1_3gpuE2ELNS1_3repE0EEENS1_30default_config_static_selectorELNS0_4arch9wavefront6targetE0EEEvSP_,"axG",@progbits,_ZN7rocprim17ROCPRIM_400000_NS6detail17trampoline_kernelINS0_14default_configENS1_27lower_bound_config_selectorIfiEEZNS1_14transform_implILb0ES3_S5_N6thrust23THRUST_200600_302600_NS6detail15normal_iteratorINS8_10device_ptrIfEEEENSA_INSB_IiEEEEZNS1_13binary_searchIS3_S5_SD_SD_SF_NS1_21lower_bound_search_opENS9_16wrapped_functionINS0_4lessIvEEbEEEE10hipError_tPvRmT1_T2_T3_mmT4_T5_P12ihipStream_tbEUlRKfE_EESM_SQ_SR_mSS_SV_bEUlT_E_NS1_11comp_targetILNS1_3genE8ELNS1_11target_archE1030ELNS1_3gpuE2ELNS1_3repE0EEENS1_30default_config_static_selectorELNS0_4arch9wavefront6targetE0EEEvSP_,comdat
.Lfunc_end269:
	.size	_ZN7rocprim17ROCPRIM_400000_NS6detail17trampoline_kernelINS0_14default_configENS1_27lower_bound_config_selectorIfiEEZNS1_14transform_implILb0ES3_S5_N6thrust23THRUST_200600_302600_NS6detail15normal_iteratorINS8_10device_ptrIfEEEENSA_INSB_IiEEEEZNS1_13binary_searchIS3_S5_SD_SD_SF_NS1_21lower_bound_search_opENS9_16wrapped_functionINS0_4lessIvEEbEEEE10hipError_tPvRmT1_T2_T3_mmT4_T5_P12ihipStream_tbEUlRKfE_EESM_SQ_SR_mSS_SV_bEUlT_E_NS1_11comp_targetILNS1_3genE8ELNS1_11target_archE1030ELNS1_3gpuE2ELNS1_3repE0EEENS1_30default_config_static_selectorELNS0_4arch9wavefront6targetE0EEEvSP_, .Lfunc_end269-_ZN7rocprim17ROCPRIM_400000_NS6detail17trampoline_kernelINS0_14default_configENS1_27lower_bound_config_selectorIfiEEZNS1_14transform_implILb0ES3_S5_N6thrust23THRUST_200600_302600_NS6detail15normal_iteratorINS8_10device_ptrIfEEEENSA_INSB_IiEEEEZNS1_13binary_searchIS3_S5_SD_SD_SF_NS1_21lower_bound_search_opENS9_16wrapped_functionINS0_4lessIvEEbEEEE10hipError_tPvRmT1_T2_T3_mmT4_T5_P12ihipStream_tbEUlRKfE_EESM_SQ_SR_mSS_SV_bEUlT_E_NS1_11comp_targetILNS1_3genE8ELNS1_11target_archE1030ELNS1_3gpuE2ELNS1_3repE0EEENS1_30default_config_static_selectorELNS0_4arch9wavefront6targetE0EEEvSP_
                                        ; -- End function
	.section	.AMDGPU.csdata,"",@progbits
; Kernel info:
; codeLenInByte = 0
; NumSgprs: 0
; NumVgprs: 0
; ScratchSize: 0
; MemoryBound: 0
; FloatMode: 240
; IeeeMode: 1
; LDSByteSize: 0 bytes/workgroup (compile time only)
; SGPRBlocks: 0
; VGPRBlocks: 0
; NumSGPRsForWavesPerEU: 1
; NumVGPRsForWavesPerEU: 1
; Occupancy: 16
; WaveLimiterHint : 0
; COMPUTE_PGM_RSRC2:SCRATCH_EN: 0
; COMPUTE_PGM_RSRC2:USER_SGPR: 15
; COMPUTE_PGM_RSRC2:TRAP_HANDLER: 0
; COMPUTE_PGM_RSRC2:TGID_X_EN: 1
; COMPUTE_PGM_RSRC2:TGID_Y_EN: 0
; COMPUTE_PGM_RSRC2:TGID_Z_EN: 0
; COMPUTE_PGM_RSRC2:TIDIG_COMP_CNT: 0
	.section	.text._ZN6thrust23THRUST_200600_302600_NS11hip_rocprim14__parallel_for6kernelILj256ENS1_10__tabulate7functorINS0_6detail15normal_iteratorINS0_10device_ptrIyEEEENS0_6system6detail7generic6detail22compute_sequence_valueIyvEElEElLj1EEEvT0_T1_SJ_,"axG",@progbits,_ZN6thrust23THRUST_200600_302600_NS11hip_rocprim14__parallel_for6kernelILj256ENS1_10__tabulate7functorINS0_6detail15normal_iteratorINS0_10device_ptrIyEEEENS0_6system6detail7generic6detail22compute_sequence_valueIyvEElEElLj1EEEvT0_T1_SJ_,comdat
	.protected	_ZN6thrust23THRUST_200600_302600_NS11hip_rocprim14__parallel_for6kernelILj256ENS1_10__tabulate7functorINS0_6detail15normal_iteratorINS0_10device_ptrIyEEEENS0_6system6detail7generic6detail22compute_sequence_valueIyvEElEElLj1EEEvT0_T1_SJ_ ; -- Begin function _ZN6thrust23THRUST_200600_302600_NS11hip_rocprim14__parallel_for6kernelILj256ENS1_10__tabulate7functorINS0_6detail15normal_iteratorINS0_10device_ptrIyEEEENS0_6system6detail7generic6detail22compute_sequence_valueIyvEElEElLj1EEEvT0_T1_SJ_
	.globl	_ZN6thrust23THRUST_200600_302600_NS11hip_rocprim14__parallel_for6kernelILj256ENS1_10__tabulate7functorINS0_6detail15normal_iteratorINS0_10device_ptrIyEEEENS0_6system6detail7generic6detail22compute_sequence_valueIyvEElEElLj1EEEvT0_T1_SJ_
	.p2align	8
	.type	_ZN6thrust23THRUST_200600_302600_NS11hip_rocprim14__parallel_for6kernelILj256ENS1_10__tabulate7functorINS0_6detail15normal_iteratorINS0_10device_ptrIyEEEENS0_6system6detail7generic6detail22compute_sequence_valueIyvEElEElLj1EEEvT0_T1_SJ_,@function
_ZN6thrust23THRUST_200600_302600_NS11hip_rocprim14__parallel_for6kernelILj256ENS1_10__tabulate7functorINS0_6detail15normal_iteratorINS0_10device_ptrIyEEEENS0_6system6detail7generic6detail22compute_sequence_valueIyvEElEElLj1EEEvT0_T1_SJ_: ; @_ZN6thrust23THRUST_200600_302600_NS11hip_rocprim14__parallel_for6kernelILj256ENS1_10__tabulate7functorINS0_6detail15normal_iteratorINS0_10device_ptrIyEEEENS0_6system6detail7generic6detail22compute_sequence_valueIyvEElEElLj1EEEvT0_T1_SJ_
; %bb.0:
	s_load_b128 s[4:7], s[0:1], 0x18
	s_lshl_b32 s2, s15, 8
	s_waitcnt lgkmcnt(0)
	s_add_u32 s2, s2, s6
	s_addc_u32 s3, 0, s7
	s_sub_u32 s4, s4, s2
	s_subb_u32 s5, s5, s3
	s_delay_alu instid0(SALU_CYCLE_1) | instskip(NEXT) | instid1(VALU_DEP_1)
	v_cmp_gt_i64_e64 s5, 0x100, s[4:5]
	s_and_b32 s5, s5, exec_lo
	s_cselect_b32 s4, s4, 0x100
	s_delay_alu instid0(SALU_CYCLE_1) | instskip(SKIP_2) | instid1(SALU_CYCLE_1)
	v_cmp_gt_u32_e32 vcc_lo, s4, v0
	s_cmpk_eq_i32 s4, 0x100
	s_cselect_b32 s4, -1, 0
	s_or_b32 s4, s4, vcc_lo
	s_delay_alu instid0(SALU_CYCLE_1)
	s_and_saveexec_b32 s5, s4
	s_cbranch_execz .LBB270_2
; %bb.1:
	s_clause 0x1
	s_load_b128 s[4:7], s[0:1], 0x0
	s_load_b64 s[0:1], s[0:1], 0x10
	v_add_co_u32 v0, s2, s2, v0
	s_delay_alu instid0(VALU_DEP_1) | instskip(SKIP_1) | instid1(VALU_DEP_2)
	v_add_co_ci_u32_e64 v1, null, s3, 0, s2
	s_waitcnt lgkmcnt(0)
	v_mad_u64_u32 v[2:3], null, s0, v0, s[6:7]
	s_delay_alu instid0(VALU_DEP_2) | instskip(SKIP_2) | instid1(VALU_DEP_1)
	v_mul_lo_u32 v4, s0, v1
	v_mul_lo_u32 v5, s1, v0
	v_lshlrev_b64 v[0:1], 3, v[0:1]
	v_add_co_u32 v0, vcc_lo, s4, v0
	s_delay_alu instid0(VALU_DEP_3) | instskip(NEXT) | instid1(VALU_DEP_3)
	v_add3_u32 v3, v5, v3, v4
	v_add_co_ci_u32_e32 v1, vcc_lo, s5, v1, vcc_lo
	flat_store_b64 v[0:1], v[2:3]
.LBB270_2:
	s_endpgm
	.section	.rodata,"a",@progbits
	.p2align	6, 0x0
	.amdhsa_kernel _ZN6thrust23THRUST_200600_302600_NS11hip_rocprim14__parallel_for6kernelILj256ENS1_10__tabulate7functorINS0_6detail15normal_iteratorINS0_10device_ptrIyEEEENS0_6system6detail7generic6detail22compute_sequence_valueIyvEElEElLj1EEEvT0_T1_SJ_
		.amdhsa_group_segment_fixed_size 0
		.amdhsa_private_segment_fixed_size 0
		.amdhsa_kernarg_size 40
		.amdhsa_user_sgpr_count 15
		.amdhsa_user_sgpr_dispatch_ptr 0
		.amdhsa_user_sgpr_queue_ptr 0
		.amdhsa_user_sgpr_kernarg_segment_ptr 1
		.amdhsa_user_sgpr_dispatch_id 0
		.amdhsa_user_sgpr_private_segment_size 0
		.amdhsa_wavefront_size32 1
		.amdhsa_uses_dynamic_stack 0
		.amdhsa_enable_private_segment 0
		.amdhsa_system_sgpr_workgroup_id_x 1
		.amdhsa_system_sgpr_workgroup_id_y 0
		.amdhsa_system_sgpr_workgroup_id_z 0
		.amdhsa_system_sgpr_workgroup_info 0
		.amdhsa_system_vgpr_workitem_id 0
		.amdhsa_next_free_vgpr 6
		.amdhsa_next_free_sgpr 16
		.amdhsa_reserve_vcc 1
		.amdhsa_float_round_mode_32 0
		.amdhsa_float_round_mode_16_64 0
		.amdhsa_float_denorm_mode_32 3
		.amdhsa_float_denorm_mode_16_64 3
		.amdhsa_dx10_clamp 1
		.amdhsa_ieee_mode 1
		.amdhsa_fp16_overflow 0
		.amdhsa_workgroup_processor_mode 1
		.amdhsa_memory_ordered 1
		.amdhsa_forward_progress 0
		.amdhsa_shared_vgpr_count 0
		.amdhsa_exception_fp_ieee_invalid_op 0
		.amdhsa_exception_fp_denorm_src 0
		.amdhsa_exception_fp_ieee_div_zero 0
		.amdhsa_exception_fp_ieee_overflow 0
		.amdhsa_exception_fp_ieee_underflow 0
		.amdhsa_exception_fp_ieee_inexact 0
		.amdhsa_exception_int_div_zero 0
	.end_amdhsa_kernel
	.section	.text._ZN6thrust23THRUST_200600_302600_NS11hip_rocprim14__parallel_for6kernelILj256ENS1_10__tabulate7functorINS0_6detail15normal_iteratorINS0_10device_ptrIyEEEENS0_6system6detail7generic6detail22compute_sequence_valueIyvEElEElLj1EEEvT0_T1_SJ_,"axG",@progbits,_ZN6thrust23THRUST_200600_302600_NS11hip_rocprim14__parallel_for6kernelILj256ENS1_10__tabulate7functorINS0_6detail15normal_iteratorINS0_10device_ptrIyEEEENS0_6system6detail7generic6detail22compute_sequence_valueIyvEElEElLj1EEEvT0_T1_SJ_,comdat
.Lfunc_end270:
	.size	_ZN6thrust23THRUST_200600_302600_NS11hip_rocprim14__parallel_for6kernelILj256ENS1_10__tabulate7functorINS0_6detail15normal_iteratorINS0_10device_ptrIyEEEENS0_6system6detail7generic6detail22compute_sequence_valueIyvEElEElLj1EEEvT0_T1_SJ_, .Lfunc_end270-_ZN6thrust23THRUST_200600_302600_NS11hip_rocprim14__parallel_for6kernelILj256ENS1_10__tabulate7functorINS0_6detail15normal_iteratorINS0_10device_ptrIyEEEENS0_6system6detail7generic6detail22compute_sequence_valueIyvEElEElLj1EEEvT0_T1_SJ_
                                        ; -- End function
	.section	.AMDGPU.csdata,"",@progbits
; Kernel info:
; codeLenInByte = 208
; NumSgprs: 18
; NumVgprs: 6
; ScratchSize: 0
; MemoryBound: 0
; FloatMode: 240
; IeeeMode: 1
; LDSByteSize: 0 bytes/workgroup (compile time only)
; SGPRBlocks: 2
; VGPRBlocks: 0
; NumSGPRsForWavesPerEU: 18
; NumVGPRsForWavesPerEU: 6
; Occupancy: 16
; WaveLimiterHint : 0
; COMPUTE_PGM_RSRC2:SCRATCH_EN: 0
; COMPUTE_PGM_RSRC2:USER_SGPR: 15
; COMPUTE_PGM_RSRC2:TRAP_HANDLER: 0
; COMPUTE_PGM_RSRC2:TGID_X_EN: 1
; COMPUTE_PGM_RSRC2:TGID_Y_EN: 0
; COMPUTE_PGM_RSRC2:TGID_Z_EN: 0
; COMPUTE_PGM_RSRC2:TIDIG_COMP_CNT: 0
	.section	.text._ZN7rocprim17ROCPRIM_400000_NS6detail17trampoline_kernelINS0_14default_configENS1_27lower_bound_config_selectorIyiEEZNS1_14transform_implILb0ES3_S5_N6thrust23THRUST_200600_302600_NS6detail15normal_iteratorINS8_10device_ptrIyEEEENSA_INSB_IiEEEEZNS1_13binary_searchIS3_S5_SD_SD_SF_NS1_21lower_bound_search_opENS9_16wrapped_functionINS0_4lessIvEEbEEEE10hipError_tPvRmT1_T2_T3_mmT4_T5_P12ihipStream_tbEUlRKyE_EESM_SQ_SR_mSS_SV_bEUlT_E_NS1_11comp_targetILNS1_3genE0ELNS1_11target_archE4294967295ELNS1_3gpuE0ELNS1_3repE0EEENS1_30default_config_static_selectorELNS0_4arch9wavefront6targetE0EEEvSP_,"axG",@progbits,_ZN7rocprim17ROCPRIM_400000_NS6detail17trampoline_kernelINS0_14default_configENS1_27lower_bound_config_selectorIyiEEZNS1_14transform_implILb0ES3_S5_N6thrust23THRUST_200600_302600_NS6detail15normal_iteratorINS8_10device_ptrIyEEEENSA_INSB_IiEEEEZNS1_13binary_searchIS3_S5_SD_SD_SF_NS1_21lower_bound_search_opENS9_16wrapped_functionINS0_4lessIvEEbEEEE10hipError_tPvRmT1_T2_T3_mmT4_T5_P12ihipStream_tbEUlRKyE_EESM_SQ_SR_mSS_SV_bEUlT_E_NS1_11comp_targetILNS1_3genE0ELNS1_11target_archE4294967295ELNS1_3gpuE0ELNS1_3repE0EEENS1_30default_config_static_selectorELNS0_4arch9wavefront6targetE0EEEvSP_,comdat
	.protected	_ZN7rocprim17ROCPRIM_400000_NS6detail17trampoline_kernelINS0_14default_configENS1_27lower_bound_config_selectorIyiEEZNS1_14transform_implILb0ES3_S5_N6thrust23THRUST_200600_302600_NS6detail15normal_iteratorINS8_10device_ptrIyEEEENSA_INSB_IiEEEEZNS1_13binary_searchIS3_S5_SD_SD_SF_NS1_21lower_bound_search_opENS9_16wrapped_functionINS0_4lessIvEEbEEEE10hipError_tPvRmT1_T2_T3_mmT4_T5_P12ihipStream_tbEUlRKyE_EESM_SQ_SR_mSS_SV_bEUlT_E_NS1_11comp_targetILNS1_3genE0ELNS1_11target_archE4294967295ELNS1_3gpuE0ELNS1_3repE0EEENS1_30default_config_static_selectorELNS0_4arch9wavefront6targetE0EEEvSP_ ; -- Begin function _ZN7rocprim17ROCPRIM_400000_NS6detail17trampoline_kernelINS0_14default_configENS1_27lower_bound_config_selectorIyiEEZNS1_14transform_implILb0ES3_S5_N6thrust23THRUST_200600_302600_NS6detail15normal_iteratorINS8_10device_ptrIyEEEENSA_INSB_IiEEEEZNS1_13binary_searchIS3_S5_SD_SD_SF_NS1_21lower_bound_search_opENS9_16wrapped_functionINS0_4lessIvEEbEEEE10hipError_tPvRmT1_T2_T3_mmT4_T5_P12ihipStream_tbEUlRKyE_EESM_SQ_SR_mSS_SV_bEUlT_E_NS1_11comp_targetILNS1_3genE0ELNS1_11target_archE4294967295ELNS1_3gpuE0ELNS1_3repE0EEENS1_30default_config_static_selectorELNS0_4arch9wavefront6targetE0EEEvSP_
	.globl	_ZN7rocprim17ROCPRIM_400000_NS6detail17trampoline_kernelINS0_14default_configENS1_27lower_bound_config_selectorIyiEEZNS1_14transform_implILb0ES3_S5_N6thrust23THRUST_200600_302600_NS6detail15normal_iteratorINS8_10device_ptrIyEEEENSA_INSB_IiEEEEZNS1_13binary_searchIS3_S5_SD_SD_SF_NS1_21lower_bound_search_opENS9_16wrapped_functionINS0_4lessIvEEbEEEE10hipError_tPvRmT1_T2_T3_mmT4_T5_P12ihipStream_tbEUlRKyE_EESM_SQ_SR_mSS_SV_bEUlT_E_NS1_11comp_targetILNS1_3genE0ELNS1_11target_archE4294967295ELNS1_3gpuE0ELNS1_3repE0EEENS1_30default_config_static_selectorELNS0_4arch9wavefront6targetE0EEEvSP_
	.p2align	8
	.type	_ZN7rocprim17ROCPRIM_400000_NS6detail17trampoline_kernelINS0_14default_configENS1_27lower_bound_config_selectorIyiEEZNS1_14transform_implILb0ES3_S5_N6thrust23THRUST_200600_302600_NS6detail15normal_iteratorINS8_10device_ptrIyEEEENSA_INSB_IiEEEEZNS1_13binary_searchIS3_S5_SD_SD_SF_NS1_21lower_bound_search_opENS9_16wrapped_functionINS0_4lessIvEEbEEEE10hipError_tPvRmT1_T2_T3_mmT4_T5_P12ihipStream_tbEUlRKyE_EESM_SQ_SR_mSS_SV_bEUlT_E_NS1_11comp_targetILNS1_3genE0ELNS1_11target_archE4294967295ELNS1_3gpuE0ELNS1_3repE0EEENS1_30default_config_static_selectorELNS0_4arch9wavefront6targetE0EEEvSP_,@function
_ZN7rocprim17ROCPRIM_400000_NS6detail17trampoline_kernelINS0_14default_configENS1_27lower_bound_config_selectorIyiEEZNS1_14transform_implILb0ES3_S5_N6thrust23THRUST_200600_302600_NS6detail15normal_iteratorINS8_10device_ptrIyEEEENSA_INSB_IiEEEEZNS1_13binary_searchIS3_S5_SD_SD_SF_NS1_21lower_bound_search_opENS9_16wrapped_functionINS0_4lessIvEEbEEEE10hipError_tPvRmT1_T2_T3_mmT4_T5_P12ihipStream_tbEUlRKyE_EESM_SQ_SR_mSS_SV_bEUlT_E_NS1_11comp_targetILNS1_3genE0ELNS1_11target_archE4294967295ELNS1_3gpuE0ELNS1_3repE0EEENS1_30default_config_static_selectorELNS0_4arch9wavefront6targetE0EEEvSP_: ; @_ZN7rocprim17ROCPRIM_400000_NS6detail17trampoline_kernelINS0_14default_configENS1_27lower_bound_config_selectorIyiEEZNS1_14transform_implILb0ES3_S5_N6thrust23THRUST_200600_302600_NS6detail15normal_iteratorINS8_10device_ptrIyEEEENSA_INSB_IiEEEEZNS1_13binary_searchIS3_S5_SD_SD_SF_NS1_21lower_bound_search_opENS9_16wrapped_functionINS0_4lessIvEEbEEEE10hipError_tPvRmT1_T2_T3_mmT4_T5_P12ihipStream_tbEUlRKyE_EESM_SQ_SR_mSS_SV_bEUlT_E_NS1_11comp_targetILNS1_3genE0ELNS1_11target_archE4294967295ELNS1_3gpuE0ELNS1_3repE0EEENS1_30default_config_static_selectorELNS0_4arch9wavefront6targetE0EEEvSP_
; %bb.0:
	.section	.rodata,"a",@progbits
	.p2align	6, 0x0
	.amdhsa_kernel _ZN7rocprim17ROCPRIM_400000_NS6detail17trampoline_kernelINS0_14default_configENS1_27lower_bound_config_selectorIyiEEZNS1_14transform_implILb0ES3_S5_N6thrust23THRUST_200600_302600_NS6detail15normal_iteratorINS8_10device_ptrIyEEEENSA_INSB_IiEEEEZNS1_13binary_searchIS3_S5_SD_SD_SF_NS1_21lower_bound_search_opENS9_16wrapped_functionINS0_4lessIvEEbEEEE10hipError_tPvRmT1_T2_T3_mmT4_T5_P12ihipStream_tbEUlRKyE_EESM_SQ_SR_mSS_SV_bEUlT_E_NS1_11comp_targetILNS1_3genE0ELNS1_11target_archE4294967295ELNS1_3gpuE0ELNS1_3repE0EEENS1_30default_config_static_selectorELNS0_4arch9wavefront6targetE0EEEvSP_
		.amdhsa_group_segment_fixed_size 0
		.amdhsa_private_segment_fixed_size 0
		.amdhsa_kernarg_size 56
		.amdhsa_user_sgpr_count 15
		.amdhsa_user_sgpr_dispatch_ptr 0
		.amdhsa_user_sgpr_queue_ptr 0
		.amdhsa_user_sgpr_kernarg_segment_ptr 1
		.amdhsa_user_sgpr_dispatch_id 0
		.amdhsa_user_sgpr_private_segment_size 0
		.amdhsa_wavefront_size32 1
		.amdhsa_uses_dynamic_stack 0
		.amdhsa_enable_private_segment 0
		.amdhsa_system_sgpr_workgroup_id_x 1
		.amdhsa_system_sgpr_workgroup_id_y 0
		.amdhsa_system_sgpr_workgroup_id_z 0
		.amdhsa_system_sgpr_workgroup_info 0
		.amdhsa_system_vgpr_workitem_id 0
		.amdhsa_next_free_vgpr 1
		.amdhsa_next_free_sgpr 1
		.amdhsa_reserve_vcc 0
		.amdhsa_float_round_mode_32 0
		.amdhsa_float_round_mode_16_64 0
		.amdhsa_float_denorm_mode_32 3
		.amdhsa_float_denorm_mode_16_64 3
		.amdhsa_dx10_clamp 1
		.amdhsa_ieee_mode 1
		.amdhsa_fp16_overflow 0
		.amdhsa_workgroup_processor_mode 1
		.amdhsa_memory_ordered 1
		.amdhsa_forward_progress 0
		.amdhsa_shared_vgpr_count 0
		.amdhsa_exception_fp_ieee_invalid_op 0
		.amdhsa_exception_fp_denorm_src 0
		.amdhsa_exception_fp_ieee_div_zero 0
		.amdhsa_exception_fp_ieee_overflow 0
		.amdhsa_exception_fp_ieee_underflow 0
		.amdhsa_exception_fp_ieee_inexact 0
		.amdhsa_exception_int_div_zero 0
	.end_amdhsa_kernel
	.section	.text._ZN7rocprim17ROCPRIM_400000_NS6detail17trampoline_kernelINS0_14default_configENS1_27lower_bound_config_selectorIyiEEZNS1_14transform_implILb0ES3_S5_N6thrust23THRUST_200600_302600_NS6detail15normal_iteratorINS8_10device_ptrIyEEEENSA_INSB_IiEEEEZNS1_13binary_searchIS3_S5_SD_SD_SF_NS1_21lower_bound_search_opENS9_16wrapped_functionINS0_4lessIvEEbEEEE10hipError_tPvRmT1_T2_T3_mmT4_T5_P12ihipStream_tbEUlRKyE_EESM_SQ_SR_mSS_SV_bEUlT_E_NS1_11comp_targetILNS1_3genE0ELNS1_11target_archE4294967295ELNS1_3gpuE0ELNS1_3repE0EEENS1_30default_config_static_selectorELNS0_4arch9wavefront6targetE0EEEvSP_,"axG",@progbits,_ZN7rocprim17ROCPRIM_400000_NS6detail17trampoline_kernelINS0_14default_configENS1_27lower_bound_config_selectorIyiEEZNS1_14transform_implILb0ES3_S5_N6thrust23THRUST_200600_302600_NS6detail15normal_iteratorINS8_10device_ptrIyEEEENSA_INSB_IiEEEEZNS1_13binary_searchIS3_S5_SD_SD_SF_NS1_21lower_bound_search_opENS9_16wrapped_functionINS0_4lessIvEEbEEEE10hipError_tPvRmT1_T2_T3_mmT4_T5_P12ihipStream_tbEUlRKyE_EESM_SQ_SR_mSS_SV_bEUlT_E_NS1_11comp_targetILNS1_3genE0ELNS1_11target_archE4294967295ELNS1_3gpuE0ELNS1_3repE0EEENS1_30default_config_static_selectorELNS0_4arch9wavefront6targetE0EEEvSP_,comdat
.Lfunc_end271:
	.size	_ZN7rocprim17ROCPRIM_400000_NS6detail17trampoline_kernelINS0_14default_configENS1_27lower_bound_config_selectorIyiEEZNS1_14transform_implILb0ES3_S5_N6thrust23THRUST_200600_302600_NS6detail15normal_iteratorINS8_10device_ptrIyEEEENSA_INSB_IiEEEEZNS1_13binary_searchIS3_S5_SD_SD_SF_NS1_21lower_bound_search_opENS9_16wrapped_functionINS0_4lessIvEEbEEEE10hipError_tPvRmT1_T2_T3_mmT4_T5_P12ihipStream_tbEUlRKyE_EESM_SQ_SR_mSS_SV_bEUlT_E_NS1_11comp_targetILNS1_3genE0ELNS1_11target_archE4294967295ELNS1_3gpuE0ELNS1_3repE0EEENS1_30default_config_static_selectorELNS0_4arch9wavefront6targetE0EEEvSP_, .Lfunc_end271-_ZN7rocprim17ROCPRIM_400000_NS6detail17trampoline_kernelINS0_14default_configENS1_27lower_bound_config_selectorIyiEEZNS1_14transform_implILb0ES3_S5_N6thrust23THRUST_200600_302600_NS6detail15normal_iteratorINS8_10device_ptrIyEEEENSA_INSB_IiEEEEZNS1_13binary_searchIS3_S5_SD_SD_SF_NS1_21lower_bound_search_opENS9_16wrapped_functionINS0_4lessIvEEbEEEE10hipError_tPvRmT1_T2_T3_mmT4_T5_P12ihipStream_tbEUlRKyE_EESM_SQ_SR_mSS_SV_bEUlT_E_NS1_11comp_targetILNS1_3genE0ELNS1_11target_archE4294967295ELNS1_3gpuE0ELNS1_3repE0EEENS1_30default_config_static_selectorELNS0_4arch9wavefront6targetE0EEEvSP_
                                        ; -- End function
	.section	.AMDGPU.csdata,"",@progbits
; Kernel info:
; codeLenInByte = 0
; NumSgprs: 0
; NumVgprs: 0
; ScratchSize: 0
; MemoryBound: 0
; FloatMode: 240
; IeeeMode: 1
; LDSByteSize: 0 bytes/workgroup (compile time only)
; SGPRBlocks: 0
; VGPRBlocks: 0
; NumSGPRsForWavesPerEU: 1
; NumVGPRsForWavesPerEU: 1
; Occupancy: 16
; WaveLimiterHint : 0
; COMPUTE_PGM_RSRC2:SCRATCH_EN: 0
; COMPUTE_PGM_RSRC2:USER_SGPR: 15
; COMPUTE_PGM_RSRC2:TRAP_HANDLER: 0
; COMPUTE_PGM_RSRC2:TGID_X_EN: 1
; COMPUTE_PGM_RSRC2:TGID_Y_EN: 0
; COMPUTE_PGM_RSRC2:TGID_Z_EN: 0
; COMPUTE_PGM_RSRC2:TIDIG_COMP_CNT: 0
	.section	.text._ZN7rocprim17ROCPRIM_400000_NS6detail17trampoline_kernelINS0_14default_configENS1_27lower_bound_config_selectorIyiEEZNS1_14transform_implILb0ES3_S5_N6thrust23THRUST_200600_302600_NS6detail15normal_iteratorINS8_10device_ptrIyEEEENSA_INSB_IiEEEEZNS1_13binary_searchIS3_S5_SD_SD_SF_NS1_21lower_bound_search_opENS9_16wrapped_functionINS0_4lessIvEEbEEEE10hipError_tPvRmT1_T2_T3_mmT4_T5_P12ihipStream_tbEUlRKyE_EESM_SQ_SR_mSS_SV_bEUlT_E_NS1_11comp_targetILNS1_3genE5ELNS1_11target_archE942ELNS1_3gpuE9ELNS1_3repE0EEENS1_30default_config_static_selectorELNS0_4arch9wavefront6targetE0EEEvSP_,"axG",@progbits,_ZN7rocprim17ROCPRIM_400000_NS6detail17trampoline_kernelINS0_14default_configENS1_27lower_bound_config_selectorIyiEEZNS1_14transform_implILb0ES3_S5_N6thrust23THRUST_200600_302600_NS6detail15normal_iteratorINS8_10device_ptrIyEEEENSA_INSB_IiEEEEZNS1_13binary_searchIS3_S5_SD_SD_SF_NS1_21lower_bound_search_opENS9_16wrapped_functionINS0_4lessIvEEbEEEE10hipError_tPvRmT1_T2_T3_mmT4_T5_P12ihipStream_tbEUlRKyE_EESM_SQ_SR_mSS_SV_bEUlT_E_NS1_11comp_targetILNS1_3genE5ELNS1_11target_archE942ELNS1_3gpuE9ELNS1_3repE0EEENS1_30default_config_static_selectorELNS0_4arch9wavefront6targetE0EEEvSP_,comdat
	.protected	_ZN7rocprim17ROCPRIM_400000_NS6detail17trampoline_kernelINS0_14default_configENS1_27lower_bound_config_selectorIyiEEZNS1_14transform_implILb0ES3_S5_N6thrust23THRUST_200600_302600_NS6detail15normal_iteratorINS8_10device_ptrIyEEEENSA_INSB_IiEEEEZNS1_13binary_searchIS3_S5_SD_SD_SF_NS1_21lower_bound_search_opENS9_16wrapped_functionINS0_4lessIvEEbEEEE10hipError_tPvRmT1_T2_T3_mmT4_T5_P12ihipStream_tbEUlRKyE_EESM_SQ_SR_mSS_SV_bEUlT_E_NS1_11comp_targetILNS1_3genE5ELNS1_11target_archE942ELNS1_3gpuE9ELNS1_3repE0EEENS1_30default_config_static_selectorELNS0_4arch9wavefront6targetE0EEEvSP_ ; -- Begin function _ZN7rocprim17ROCPRIM_400000_NS6detail17trampoline_kernelINS0_14default_configENS1_27lower_bound_config_selectorIyiEEZNS1_14transform_implILb0ES3_S5_N6thrust23THRUST_200600_302600_NS6detail15normal_iteratorINS8_10device_ptrIyEEEENSA_INSB_IiEEEEZNS1_13binary_searchIS3_S5_SD_SD_SF_NS1_21lower_bound_search_opENS9_16wrapped_functionINS0_4lessIvEEbEEEE10hipError_tPvRmT1_T2_T3_mmT4_T5_P12ihipStream_tbEUlRKyE_EESM_SQ_SR_mSS_SV_bEUlT_E_NS1_11comp_targetILNS1_3genE5ELNS1_11target_archE942ELNS1_3gpuE9ELNS1_3repE0EEENS1_30default_config_static_selectorELNS0_4arch9wavefront6targetE0EEEvSP_
	.globl	_ZN7rocprim17ROCPRIM_400000_NS6detail17trampoline_kernelINS0_14default_configENS1_27lower_bound_config_selectorIyiEEZNS1_14transform_implILb0ES3_S5_N6thrust23THRUST_200600_302600_NS6detail15normal_iteratorINS8_10device_ptrIyEEEENSA_INSB_IiEEEEZNS1_13binary_searchIS3_S5_SD_SD_SF_NS1_21lower_bound_search_opENS9_16wrapped_functionINS0_4lessIvEEbEEEE10hipError_tPvRmT1_T2_T3_mmT4_T5_P12ihipStream_tbEUlRKyE_EESM_SQ_SR_mSS_SV_bEUlT_E_NS1_11comp_targetILNS1_3genE5ELNS1_11target_archE942ELNS1_3gpuE9ELNS1_3repE0EEENS1_30default_config_static_selectorELNS0_4arch9wavefront6targetE0EEEvSP_
	.p2align	8
	.type	_ZN7rocprim17ROCPRIM_400000_NS6detail17trampoline_kernelINS0_14default_configENS1_27lower_bound_config_selectorIyiEEZNS1_14transform_implILb0ES3_S5_N6thrust23THRUST_200600_302600_NS6detail15normal_iteratorINS8_10device_ptrIyEEEENSA_INSB_IiEEEEZNS1_13binary_searchIS3_S5_SD_SD_SF_NS1_21lower_bound_search_opENS9_16wrapped_functionINS0_4lessIvEEbEEEE10hipError_tPvRmT1_T2_T3_mmT4_T5_P12ihipStream_tbEUlRKyE_EESM_SQ_SR_mSS_SV_bEUlT_E_NS1_11comp_targetILNS1_3genE5ELNS1_11target_archE942ELNS1_3gpuE9ELNS1_3repE0EEENS1_30default_config_static_selectorELNS0_4arch9wavefront6targetE0EEEvSP_,@function
_ZN7rocprim17ROCPRIM_400000_NS6detail17trampoline_kernelINS0_14default_configENS1_27lower_bound_config_selectorIyiEEZNS1_14transform_implILb0ES3_S5_N6thrust23THRUST_200600_302600_NS6detail15normal_iteratorINS8_10device_ptrIyEEEENSA_INSB_IiEEEEZNS1_13binary_searchIS3_S5_SD_SD_SF_NS1_21lower_bound_search_opENS9_16wrapped_functionINS0_4lessIvEEbEEEE10hipError_tPvRmT1_T2_T3_mmT4_T5_P12ihipStream_tbEUlRKyE_EESM_SQ_SR_mSS_SV_bEUlT_E_NS1_11comp_targetILNS1_3genE5ELNS1_11target_archE942ELNS1_3gpuE9ELNS1_3repE0EEENS1_30default_config_static_selectorELNS0_4arch9wavefront6targetE0EEEvSP_: ; @_ZN7rocprim17ROCPRIM_400000_NS6detail17trampoline_kernelINS0_14default_configENS1_27lower_bound_config_selectorIyiEEZNS1_14transform_implILb0ES3_S5_N6thrust23THRUST_200600_302600_NS6detail15normal_iteratorINS8_10device_ptrIyEEEENSA_INSB_IiEEEEZNS1_13binary_searchIS3_S5_SD_SD_SF_NS1_21lower_bound_search_opENS9_16wrapped_functionINS0_4lessIvEEbEEEE10hipError_tPvRmT1_T2_T3_mmT4_T5_P12ihipStream_tbEUlRKyE_EESM_SQ_SR_mSS_SV_bEUlT_E_NS1_11comp_targetILNS1_3genE5ELNS1_11target_archE942ELNS1_3gpuE9ELNS1_3repE0EEENS1_30default_config_static_selectorELNS0_4arch9wavefront6targetE0EEEvSP_
; %bb.0:
	.section	.rodata,"a",@progbits
	.p2align	6, 0x0
	.amdhsa_kernel _ZN7rocprim17ROCPRIM_400000_NS6detail17trampoline_kernelINS0_14default_configENS1_27lower_bound_config_selectorIyiEEZNS1_14transform_implILb0ES3_S5_N6thrust23THRUST_200600_302600_NS6detail15normal_iteratorINS8_10device_ptrIyEEEENSA_INSB_IiEEEEZNS1_13binary_searchIS3_S5_SD_SD_SF_NS1_21lower_bound_search_opENS9_16wrapped_functionINS0_4lessIvEEbEEEE10hipError_tPvRmT1_T2_T3_mmT4_T5_P12ihipStream_tbEUlRKyE_EESM_SQ_SR_mSS_SV_bEUlT_E_NS1_11comp_targetILNS1_3genE5ELNS1_11target_archE942ELNS1_3gpuE9ELNS1_3repE0EEENS1_30default_config_static_selectorELNS0_4arch9wavefront6targetE0EEEvSP_
		.amdhsa_group_segment_fixed_size 0
		.amdhsa_private_segment_fixed_size 0
		.amdhsa_kernarg_size 56
		.amdhsa_user_sgpr_count 15
		.amdhsa_user_sgpr_dispatch_ptr 0
		.amdhsa_user_sgpr_queue_ptr 0
		.amdhsa_user_sgpr_kernarg_segment_ptr 1
		.amdhsa_user_sgpr_dispatch_id 0
		.amdhsa_user_sgpr_private_segment_size 0
		.amdhsa_wavefront_size32 1
		.amdhsa_uses_dynamic_stack 0
		.amdhsa_enable_private_segment 0
		.amdhsa_system_sgpr_workgroup_id_x 1
		.amdhsa_system_sgpr_workgroup_id_y 0
		.amdhsa_system_sgpr_workgroup_id_z 0
		.amdhsa_system_sgpr_workgroup_info 0
		.amdhsa_system_vgpr_workitem_id 0
		.amdhsa_next_free_vgpr 1
		.amdhsa_next_free_sgpr 1
		.amdhsa_reserve_vcc 0
		.amdhsa_float_round_mode_32 0
		.amdhsa_float_round_mode_16_64 0
		.amdhsa_float_denorm_mode_32 3
		.amdhsa_float_denorm_mode_16_64 3
		.amdhsa_dx10_clamp 1
		.amdhsa_ieee_mode 1
		.amdhsa_fp16_overflow 0
		.amdhsa_workgroup_processor_mode 1
		.amdhsa_memory_ordered 1
		.amdhsa_forward_progress 0
		.amdhsa_shared_vgpr_count 0
		.amdhsa_exception_fp_ieee_invalid_op 0
		.amdhsa_exception_fp_denorm_src 0
		.amdhsa_exception_fp_ieee_div_zero 0
		.amdhsa_exception_fp_ieee_overflow 0
		.amdhsa_exception_fp_ieee_underflow 0
		.amdhsa_exception_fp_ieee_inexact 0
		.amdhsa_exception_int_div_zero 0
	.end_amdhsa_kernel
	.section	.text._ZN7rocprim17ROCPRIM_400000_NS6detail17trampoline_kernelINS0_14default_configENS1_27lower_bound_config_selectorIyiEEZNS1_14transform_implILb0ES3_S5_N6thrust23THRUST_200600_302600_NS6detail15normal_iteratorINS8_10device_ptrIyEEEENSA_INSB_IiEEEEZNS1_13binary_searchIS3_S5_SD_SD_SF_NS1_21lower_bound_search_opENS9_16wrapped_functionINS0_4lessIvEEbEEEE10hipError_tPvRmT1_T2_T3_mmT4_T5_P12ihipStream_tbEUlRKyE_EESM_SQ_SR_mSS_SV_bEUlT_E_NS1_11comp_targetILNS1_3genE5ELNS1_11target_archE942ELNS1_3gpuE9ELNS1_3repE0EEENS1_30default_config_static_selectorELNS0_4arch9wavefront6targetE0EEEvSP_,"axG",@progbits,_ZN7rocprim17ROCPRIM_400000_NS6detail17trampoline_kernelINS0_14default_configENS1_27lower_bound_config_selectorIyiEEZNS1_14transform_implILb0ES3_S5_N6thrust23THRUST_200600_302600_NS6detail15normal_iteratorINS8_10device_ptrIyEEEENSA_INSB_IiEEEEZNS1_13binary_searchIS3_S5_SD_SD_SF_NS1_21lower_bound_search_opENS9_16wrapped_functionINS0_4lessIvEEbEEEE10hipError_tPvRmT1_T2_T3_mmT4_T5_P12ihipStream_tbEUlRKyE_EESM_SQ_SR_mSS_SV_bEUlT_E_NS1_11comp_targetILNS1_3genE5ELNS1_11target_archE942ELNS1_3gpuE9ELNS1_3repE0EEENS1_30default_config_static_selectorELNS0_4arch9wavefront6targetE0EEEvSP_,comdat
.Lfunc_end272:
	.size	_ZN7rocprim17ROCPRIM_400000_NS6detail17trampoline_kernelINS0_14default_configENS1_27lower_bound_config_selectorIyiEEZNS1_14transform_implILb0ES3_S5_N6thrust23THRUST_200600_302600_NS6detail15normal_iteratorINS8_10device_ptrIyEEEENSA_INSB_IiEEEEZNS1_13binary_searchIS3_S5_SD_SD_SF_NS1_21lower_bound_search_opENS9_16wrapped_functionINS0_4lessIvEEbEEEE10hipError_tPvRmT1_T2_T3_mmT4_T5_P12ihipStream_tbEUlRKyE_EESM_SQ_SR_mSS_SV_bEUlT_E_NS1_11comp_targetILNS1_3genE5ELNS1_11target_archE942ELNS1_3gpuE9ELNS1_3repE0EEENS1_30default_config_static_selectorELNS0_4arch9wavefront6targetE0EEEvSP_, .Lfunc_end272-_ZN7rocprim17ROCPRIM_400000_NS6detail17trampoline_kernelINS0_14default_configENS1_27lower_bound_config_selectorIyiEEZNS1_14transform_implILb0ES3_S5_N6thrust23THRUST_200600_302600_NS6detail15normal_iteratorINS8_10device_ptrIyEEEENSA_INSB_IiEEEEZNS1_13binary_searchIS3_S5_SD_SD_SF_NS1_21lower_bound_search_opENS9_16wrapped_functionINS0_4lessIvEEbEEEE10hipError_tPvRmT1_T2_T3_mmT4_T5_P12ihipStream_tbEUlRKyE_EESM_SQ_SR_mSS_SV_bEUlT_E_NS1_11comp_targetILNS1_3genE5ELNS1_11target_archE942ELNS1_3gpuE9ELNS1_3repE0EEENS1_30default_config_static_selectorELNS0_4arch9wavefront6targetE0EEEvSP_
                                        ; -- End function
	.section	.AMDGPU.csdata,"",@progbits
; Kernel info:
; codeLenInByte = 0
; NumSgprs: 0
; NumVgprs: 0
; ScratchSize: 0
; MemoryBound: 0
; FloatMode: 240
; IeeeMode: 1
; LDSByteSize: 0 bytes/workgroup (compile time only)
; SGPRBlocks: 0
; VGPRBlocks: 0
; NumSGPRsForWavesPerEU: 1
; NumVGPRsForWavesPerEU: 1
; Occupancy: 16
; WaveLimiterHint : 0
; COMPUTE_PGM_RSRC2:SCRATCH_EN: 0
; COMPUTE_PGM_RSRC2:USER_SGPR: 15
; COMPUTE_PGM_RSRC2:TRAP_HANDLER: 0
; COMPUTE_PGM_RSRC2:TGID_X_EN: 1
; COMPUTE_PGM_RSRC2:TGID_Y_EN: 0
; COMPUTE_PGM_RSRC2:TGID_Z_EN: 0
; COMPUTE_PGM_RSRC2:TIDIG_COMP_CNT: 0
	.section	.text._ZN7rocprim17ROCPRIM_400000_NS6detail17trampoline_kernelINS0_14default_configENS1_27lower_bound_config_selectorIyiEEZNS1_14transform_implILb0ES3_S5_N6thrust23THRUST_200600_302600_NS6detail15normal_iteratorINS8_10device_ptrIyEEEENSA_INSB_IiEEEEZNS1_13binary_searchIS3_S5_SD_SD_SF_NS1_21lower_bound_search_opENS9_16wrapped_functionINS0_4lessIvEEbEEEE10hipError_tPvRmT1_T2_T3_mmT4_T5_P12ihipStream_tbEUlRKyE_EESM_SQ_SR_mSS_SV_bEUlT_E_NS1_11comp_targetILNS1_3genE4ELNS1_11target_archE910ELNS1_3gpuE8ELNS1_3repE0EEENS1_30default_config_static_selectorELNS0_4arch9wavefront6targetE0EEEvSP_,"axG",@progbits,_ZN7rocprim17ROCPRIM_400000_NS6detail17trampoline_kernelINS0_14default_configENS1_27lower_bound_config_selectorIyiEEZNS1_14transform_implILb0ES3_S5_N6thrust23THRUST_200600_302600_NS6detail15normal_iteratorINS8_10device_ptrIyEEEENSA_INSB_IiEEEEZNS1_13binary_searchIS3_S5_SD_SD_SF_NS1_21lower_bound_search_opENS9_16wrapped_functionINS0_4lessIvEEbEEEE10hipError_tPvRmT1_T2_T3_mmT4_T5_P12ihipStream_tbEUlRKyE_EESM_SQ_SR_mSS_SV_bEUlT_E_NS1_11comp_targetILNS1_3genE4ELNS1_11target_archE910ELNS1_3gpuE8ELNS1_3repE0EEENS1_30default_config_static_selectorELNS0_4arch9wavefront6targetE0EEEvSP_,comdat
	.protected	_ZN7rocprim17ROCPRIM_400000_NS6detail17trampoline_kernelINS0_14default_configENS1_27lower_bound_config_selectorIyiEEZNS1_14transform_implILb0ES3_S5_N6thrust23THRUST_200600_302600_NS6detail15normal_iteratorINS8_10device_ptrIyEEEENSA_INSB_IiEEEEZNS1_13binary_searchIS3_S5_SD_SD_SF_NS1_21lower_bound_search_opENS9_16wrapped_functionINS0_4lessIvEEbEEEE10hipError_tPvRmT1_T2_T3_mmT4_T5_P12ihipStream_tbEUlRKyE_EESM_SQ_SR_mSS_SV_bEUlT_E_NS1_11comp_targetILNS1_3genE4ELNS1_11target_archE910ELNS1_3gpuE8ELNS1_3repE0EEENS1_30default_config_static_selectorELNS0_4arch9wavefront6targetE0EEEvSP_ ; -- Begin function _ZN7rocprim17ROCPRIM_400000_NS6detail17trampoline_kernelINS0_14default_configENS1_27lower_bound_config_selectorIyiEEZNS1_14transform_implILb0ES3_S5_N6thrust23THRUST_200600_302600_NS6detail15normal_iteratorINS8_10device_ptrIyEEEENSA_INSB_IiEEEEZNS1_13binary_searchIS3_S5_SD_SD_SF_NS1_21lower_bound_search_opENS9_16wrapped_functionINS0_4lessIvEEbEEEE10hipError_tPvRmT1_T2_T3_mmT4_T5_P12ihipStream_tbEUlRKyE_EESM_SQ_SR_mSS_SV_bEUlT_E_NS1_11comp_targetILNS1_3genE4ELNS1_11target_archE910ELNS1_3gpuE8ELNS1_3repE0EEENS1_30default_config_static_selectorELNS0_4arch9wavefront6targetE0EEEvSP_
	.globl	_ZN7rocprim17ROCPRIM_400000_NS6detail17trampoline_kernelINS0_14default_configENS1_27lower_bound_config_selectorIyiEEZNS1_14transform_implILb0ES3_S5_N6thrust23THRUST_200600_302600_NS6detail15normal_iteratorINS8_10device_ptrIyEEEENSA_INSB_IiEEEEZNS1_13binary_searchIS3_S5_SD_SD_SF_NS1_21lower_bound_search_opENS9_16wrapped_functionINS0_4lessIvEEbEEEE10hipError_tPvRmT1_T2_T3_mmT4_T5_P12ihipStream_tbEUlRKyE_EESM_SQ_SR_mSS_SV_bEUlT_E_NS1_11comp_targetILNS1_3genE4ELNS1_11target_archE910ELNS1_3gpuE8ELNS1_3repE0EEENS1_30default_config_static_selectorELNS0_4arch9wavefront6targetE0EEEvSP_
	.p2align	8
	.type	_ZN7rocprim17ROCPRIM_400000_NS6detail17trampoline_kernelINS0_14default_configENS1_27lower_bound_config_selectorIyiEEZNS1_14transform_implILb0ES3_S5_N6thrust23THRUST_200600_302600_NS6detail15normal_iteratorINS8_10device_ptrIyEEEENSA_INSB_IiEEEEZNS1_13binary_searchIS3_S5_SD_SD_SF_NS1_21lower_bound_search_opENS9_16wrapped_functionINS0_4lessIvEEbEEEE10hipError_tPvRmT1_T2_T3_mmT4_T5_P12ihipStream_tbEUlRKyE_EESM_SQ_SR_mSS_SV_bEUlT_E_NS1_11comp_targetILNS1_3genE4ELNS1_11target_archE910ELNS1_3gpuE8ELNS1_3repE0EEENS1_30default_config_static_selectorELNS0_4arch9wavefront6targetE0EEEvSP_,@function
_ZN7rocprim17ROCPRIM_400000_NS6detail17trampoline_kernelINS0_14default_configENS1_27lower_bound_config_selectorIyiEEZNS1_14transform_implILb0ES3_S5_N6thrust23THRUST_200600_302600_NS6detail15normal_iteratorINS8_10device_ptrIyEEEENSA_INSB_IiEEEEZNS1_13binary_searchIS3_S5_SD_SD_SF_NS1_21lower_bound_search_opENS9_16wrapped_functionINS0_4lessIvEEbEEEE10hipError_tPvRmT1_T2_T3_mmT4_T5_P12ihipStream_tbEUlRKyE_EESM_SQ_SR_mSS_SV_bEUlT_E_NS1_11comp_targetILNS1_3genE4ELNS1_11target_archE910ELNS1_3gpuE8ELNS1_3repE0EEENS1_30default_config_static_selectorELNS0_4arch9wavefront6targetE0EEEvSP_: ; @_ZN7rocprim17ROCPRIM_400000_NS6detail17trampoline_kernelINS0_14default_configENS1_27lower_bound_config_selectorIyiEEZNS1_14transform_implILb0ES3_S5_N6thrust23THRUST_200600_302600_NS6detail15normal_iteratorINS8_10device_ptrIyEEEENSA_INSB_IiEEEEZNS1_13binary_searchIS3_S5_SD_SD_SF_NS1_21lower_bound_search_opENS9_16wrapped_functionINS0_4lessIvEEbEEEE10hipError_tPvRmT1_T2_T3_mmT4_T5_P12ihipStream_tbEUlRKyE_EESM_SQ_SR_mSS_SV_bEUlT_E_NS1_11comp_targetILNS1_3genE4ELNS1_11target_archE910ELNS1_3gpuE8ELNS1_3repE0EEENS1_30default_config_static_selectorELNS0_4arch9wavefront6targetE0EEEvSP_
; %bb.0:
	.section	.rodata,"a",@progbits
	.p2align	6, 0x0
	.amdhsa_kernel _ZN7rocprim17ROCPRIM_400000_NS6detail17trampoline_kernelINS0_14default_configENS1_27lower_bound_config_selectorIyiEEZNS1_14transform_implILb0ES3_S5_N6thrust23THRUST_200600_302600_NS6detail15normal_iteratorINS8_10device_ptrIyEEEENSA_INSB_IiEEEEZNS1_13binary_searchIS3_S5_SD_SD_SF_NS1_21lower_bound_search_opENS9_16wrapped_functionINS0_4lessIvEEbEEEE10hipError_tPvRmT1_T2_T3_mmT4_T5_P12ihipStream_tbEUlRKyE_EESM_SQ_SR_mSS_SV_bEUlT_E_NS1_11comp_targetILNS1_3genE4ELNS1_11target_archE910ELNS1_3gpuE8ELNS1_3repE0EEENS1_30default_config_static_selectorELNS0_4arch9wavefront6targetE0EEEvSP_
		.amdhsa_group_segment_fixed_size 0
		.amdhsa_private_segment_fixed_size 0
		.amdhsa_kernarg_size 56
		.amdhsa_user_sgpr_count 15
		.amdhsa_user_sgpr_dispatch_ptr 0
		.amdhsa_user_sgpr_queue_ptr 0
		.amdhsa_user_sgpr_kernarg_segment_ptr 1
		.amdhsa_user_sgpr_dispatch_id 0
		.amdhsa_user_sgpr_private_segment_size 0
		.amdhsa_wavefront_size32 1
		.amdhsa_uses_dynamic_stack 0
		.amdhsa_enable_private_segment 0
		.amdhsa_system_sgpr_workgroup_id_x 1
		.amdhsa_system_sgpr_workgroup_id_y 0
		.amdhsa_system_sgpr_workgroup_id_z 0
		.amdhsa_system_sgpr_workgroup_info 0
		.amdhsa_system_vgpr_workitem_id 0
		.amdhsa_next_free_vgpr 1
		.amdhsa_next_free_sgpr 1
		.amdhsa_reserve_vcc 0
		.amdhsa_float_round_mode_32 0
		.amdhsa_float_round_mode_16_64 0
		.amdhsa_float_denorm_mode_32 3
		.amdhsa_float_denorm_mode_16_64 3
		.amdhsa_dx10_clamp 1
		.amdhsa_ieee_mode 1
		.amdhsa_fp16_overflow 0
		.amdhsa_workgroup_processor_mode 1
		.amdhsa_memory_ordered 1
		.amdhsa_forward_progress 0
		.amdhsa_shared_vgpr_count 0
		.amdhsa_exception_fp_ieee_invalid_op 0
		.amdhsa_exception_fp_denorm_src 0
		.amdhsa_exception_fp_ieee_div_zero 0
		.amdhsa_exception_fp_ieee_overflow 0
		.amdhsa_exception_fp_ieee_underflow 0
		.amdhsa_exception_fp_ieee_inexact 0
		.amdhsa_exception_int_div_zero 0
	.end_amdhsa_kernel
	.section	.text._ZN7rocprim17ROCPRIM_400000_NS6detail17trampoline_kernelINS0_14default_configENS1_27lower_bound_config_selectorIyiEEZNS1_14transform_implILb0ES3_S5_N6thrust23THRUST_200600_302600_NS6detail15normal_iteratorINS8_10device_ptrIyEEEENSA_INSB_IiEEEEZNS1_13binary_searchIS3_S5_SD_SD_SF_NS1_21lower_bound_search_opENS9_16wrapped_functionINS0_4lessIvEEbEEEE10hipError_tPvRmT1_T2_T3_mmT4_T5_P12ihipStream_tbEUlRKyE_EESM_SQ_SR_mSS_SV_bEUlT_E_NS1_11comp_targetILNS1_3genE4ELNS1_11target_archE910ELNS1_3gpuE8ELNS1_3repE0EEENS1_30default_config_static_selectorELNS0_4arch9wavefront6targetE0EEEvSP_,"axG",@progbits,_ZN7rocprim17ROCPRIM_400000_NS6detail17trampoline_kernelINS0_14default_configENS1_27lower_bound_config_selectorIyiEEZNS1_14transform_implILb0ES3_S5_N6thrust23THRUST_200600_302600_NS6detail15normal_iteratorINS8_10device_ptrIyEEEENSA_INSB_IiEEEEZNS1_13binary_searchIS3_S5_SD_SD_SF_NS1_21lower_bound_search_opENS9_16wrapped_functionINS0_4lessIvEEbEEEE10hipError_tPvRmT1_T2_T3_mmT4_T5_P12ihipStream_tbEUlRKyE_EESM_SQ_SR_mSS_SV_bEUlT_E_NS1_11comp_targetILNS1_3genE4ELNS1_11target_archE910ELNS1_3gpuE8ELNS1_3repE0EEENS1_30default_config_static_selectorELNS0_4arch9wavefront6targetE0EEEvSP_,comdat
.Lfunc_end273:
	.size	_ZN7rocprim17ROCPRIM_400000_NS6detail17trampoline_kernelINS0_14default_configENS1_27lower_bound_config_selectorIyiEEZNS1_14transform_implILb0ES3_S5_N6thrust23THRUST_200600_302600_NS6detail15normal_iteratorINS8_10device_ptrIyEEEENSA_INSB_IiEEEEZNS1_13binary_searchIS3_S5_SD_SD_SF_NS1_21lower_bound_search_opENS9_16wrapped_functionINS0_4lessIvEEbEEEE10hipError_tPvRmT1_T2_T3_mmT4_T5_P12ihipStream_tbEUlRKyE_EESM_SQ_SR_mSS_SV_bEUlT_E_NS1_11comp_targetILNS1_3genE4ELNS1_11target_archE910ELNS1_3gpuE8ELNS1_3repE0EEENS1_30default_config_static_selectorELNS0_4arch9wavefront6targetE0EEEvSP_, .Lfunc_end273-_ZN7rocprim17ROCPRIM_400000_NS6detail17trampoline_kernelINS0_14default_configENS1_27lower_bound_config_selectorIyiEEZNS1_14transform_implILb0ES3_S5_N6thrust23THRUST_200600_302600_NS6detail15normal_iteratorINS8_10device_ptrIyEEEENSA_INSB_IiEEEEZNS1_13binary_searchIS3_S5_SD_SD_SF_NS1_21lower_bound_search_opENS9_16wrapped_functionINS0_4lessIvEEbEEEE10hipError_tPvRmT1_T2_T3_mmT4_T5_P12ihipStream_tbEUlRKyE_EESM_SQ_SR_mSS_SV_bEUlT_E_NS1_11comp_targetILNS1_3genE4ELNS1_11target_archE910ELNS1_3gpuE8ELNS1_3repE0EEENS1_30default_config_static_selectorELNS0_4arch9wavefront6targetE0EEEvSP_
                                        ; -- End function
	.section	.AMDGPU.csdata,"",@progbits
; Kernel info:
; codeLenInByte = 0
; NumSgprs: 0
; NumVgprs: 0
; ScratchSize: 0
; MemoryBound: 0
; FloatMode: 240
; IeeeMode: 1
; LDSByteSize: 0 bytes/workgroup (compile time only)
; SGPRBlocks: 0
; VGPRBlocks: 0
; NumSGPRsForWavesPerEU: 1
; NumVGPRsForWavesPerEU: 1
; Occupancy: 16
; WaveLimiterHint : 0
; COMPUTE_PGM_RSRC2:SCRATCH_EN: 0
; COMPUTE_PGM_RSRC2:USER_SGPR: 15
; COMPUTE_PGM_RSRC2:TRAP_HANDLER: 0
; COMPUTE_PGM_RSRC2:TGID_X_EN: 1
; COMPUTE_PGM_RSRC2:TGID_Y_EN: 0
; COMPUTE_PGM_RSRC2:TGID_Z_EN: 0
; COMPUTE_PGM_RSRC2:TIDIG_COMP_CNT: 0
	.section	.text._ZN7rocprim17ROCPRIM_400000_NS6detail17trampoline_kernelINS0_14default_configENS1_27lower_bound_config_selectorIyiEEZNS1_14transform_implILb0ES3_S5_N6thrust23THRUST_200600_302600_NS6detail15normal_iteratorINS8_10device_ptrIyEEEENSA_INSB_IiEEEEZNS1_13binary_searchIS3_S5_SD_SD_SF_NS1_21lower_bound_search_opENS9_16wrapped_functionINS0_4lessIvEEbEEEE10hipError_tPvRmT1_T2_T3_mmT4_T5_P12ihipStream_tbEUlRKyE_EESM_SQ_SR_mSS_SV_bEUlT_E_NS1_11comp_targetILNS1_3genE3ELNS1_11target_archE908ELNS1_3gpuE7ELNS1_3repE0EEENS1_30default_config_static_selectorELNS0_4arch9wavefront6targetE0EEEvSP_,"axG",@progbits,_ZN7rocprim17ROCPRIM_400000_NS6detail17trampoline_kernelINS0_14default_configENS1_27lower_bound_config_selectorIyiEEZNS1_14transform_implILb0ES3_S5_N6thrust23THRUST_200600_302600_NS6detail15normal_iteratorINS8_10device_ptrIyEEEENSA_INSB_IiEEEEZNS1_13binary_searchIS3_S5_SD_SD_SF_NS1_21lower_bound_search_opENS9_16wrapped_functionINS0_4lessIvEEbEEEE10hipError_tPvRmT1_T2_T3_mmT4_T5_P12ihipStream_tbEUlRKyE_EESM_SQ_SR_mSS_SV_bEUlT_E_NS1_11comp_targetILNS1_3genE3ELNS1_11target_archE908ELNS1_3gpuE7ELNS1_3repE0EEENS1_30default_config_static_selectorELNS0_4arch9wavefront6targetE0EEEvSP_,comdat
	.protected	_ZN7rocprim17ROCPRIM_400000_NS6detail17trampoline_kernelINS0_14default_configENS1_27lower_bound_config_selectorIyiEEZNS1_14transform_implILb0ES3_S5_N6thrust23THRUST_200600_302600_NS6detail15normal_iteratorINS8_10device_ptrIyEEEENSA_INSB_IiEEEEZNS1_13binary_searchIS3_S5_SD_SD_SF_NS1_21lower_bound_search_opENS9_16wrapped_functionINS0_4lessIvEEbEEEE10hipError_tPvRmT1_T2_T3_mmT4_T5_P12ihipStream_tbEUlRKyE_EESM_SQ_SR_mSS_SV_bEUlT_E_NS1_11comp_targetILNS1_3genE3ELNS1_11target_archE908ELNS1_3gpuE7ELNS1_3repE0EEENS1_30default_config_static_selectorELNS0_4arch9wavefront6targetE0EEEvSP_ ; -- Begin function _ZN7rocprim17ROCPRIM_400000_NS6detail17trampoline_kernelINS0_14default_configENS1_27lower_bound_config_selectorIyiEEZNS1_14transform_implILb0ES3_S5_N6thrust23THRUST_200600_302600_NS6detail15normal_iteratorINS8_10device_ptrIyEEEENSA_INSB_IiEEEEZNS1_13binary_searchIS3_S5_SD_SD_SF_NS1_21lower_bound_search_opENS9_16wrapped_functionINS0_4lessIvEEbEEEE10hipError_tPvRmT1_T2_T3_mmT4_T5_P12ihipStream_tbEUlRKyE_EESM_SQ_SR_mSS_SV_bEUlT_E_NS1_11comp_targetILNS1_3genE3ELNS1_11target_archE908ELNS1_3gpuE7ELNS1_3repE0EEENS1_30default_config_static_selectorELNS0_4arch9wavefront6targetE0EEEvSP_
	.globl	_ZN7rocprim17ROCPRIM_400000_NS6detail17trampoline_kernelINS0_14default_configENS1_27lower_bound_config_selectorIyiEEZNS1_14transform_implILb0ES3_S5_N6thrust23THRUST_200600_302600_NS6detail15normal_iteratorINS8_10device_ptrIyEEEENSA_INSB_IiEEEEZNS1_13binary_searchIS3_S5_SD_SD_SF_NS1_21lower_bound_search_opENS9_16wrapped_functionINS0_4lessIvEEbEEEE10hipError_tPvRmT1_T2_T3_mmT4_T5_P12ihipStream_tbEUlRKyE_EESM_SQ_SR_mSS_SV_bEUlT_E_NS1_11comp_targetILNS1_3genE3ELNS1_11target_archE908ELNS1_3gpuE7ELNS1_3repE0EEENS1_30default_config_static_selectorELNS0_4arch9wavefront6targetE0EEEvSP_
	.p2align	8
	.type	_ZN7rocprim17ROCPRIM_400000_NS6detail17trampoline_kernelINS0_14default_configENS1_27lower_bound_config_selectorIyiEEZNS1_14transform_implILb0ES3_S5_N6thrust23THRUST_200600_302600_NS6detail15normal_iteratorINS8_10device_ptrIyEEEENSA_INSB_IiEEEEZNS1_13binary_searchIS3_S5_SD_SD_SF_NS1_21lower_bound_search_opENS9_16wrapped_functionINS0_4lessIvEEbEEEE10hipError_tPvRmT1_T2_T3_mmT4_T5_P12ihipStream_tbEUlRKyE_EESM_SQ_SR_mSS_SV_bEUlT_E_NS1_11comp_targetILNS1_3genE3ELNS1_11target_archE908ELNS1_3gpuE7ELNS1_3repE0EEENS1_30default_config_static_selectorELNS0_4arch9wavefront6targetE0EEEvSP_,@function
_ZN7rocprim17ROCPRIM_400000_NS6detail17trampoline_kernelINS0_14default_configENS1_27lower_bound_config_selectorIyiEEZNS1_14transform_implILb0ES3_S5_N6thrust23THRUST_200600_302600_NS6detail15normal_iteratorINS8_10device_ptrIyEEEENSA_INSB_IiEEEEZNS1_13binary_searchIS3_S5_SD_SD_SF_NS1_21lower_bound_search_opENS9_16wrapped_functionINS0_4lessIvEEbEEEE10hipError_tPvRmT1_T2_T3_mmT4_T5_P12ihipStream_tbEUlRKyE_EESM_SQ_SR_mSS_SV_bEUlT_E_NS1_11comp_targetILNS1_3genE3ELNS1_11target_archE908ELNS1_3gpuE7ELNS1_3repE0EEENS1_30default_config_static_selectorELNS0_4arch9wavefront6targetE0EEEvSP_: ; @_ZN7rocprim17ROCPRIM_400000_NS6detail17trampoline_kernelINS0_14default_configENS1_27lower_bound_config_selectorIyiEEZNS1_14transform_implILb0ES3_S5_N6thrust23THRUST_200600_302600_NS6detail15normal_iteratorINS8_10device_ptrIyEEEENSA_INSB_IiEEEEZNS1_13binary_searchIS3_S5_SD_SD_SF_NS1_21lower_bound_search_opENS9_16wrapped_functionINS0_4lessIvEEbEEEE10hipError_tPvRmT1_T2_T3_mmT4_T5_P12ihipStream_tbEUlRKyE_EESM_SQ_SR_mSS_SV_bEUlT_E_NS1_11comp_targetILNS1_3genE3ELNS1_11target_archE908ELNS1_3gpuE7ELNS1_3repE0EEENS1_30default_config_static_selectorELNS0_4arch9wavefront6targetE0EEEvSP_
; %bb.0:
	.section	.rodata,"a",@progbits
	.p2align	6, 0x0
	.amdhsa_kernel _ZN7rocprim17ROCPRIM_400000_NS6detail17trampoline_kernelINS0_14default_configENS1_27lower_bound_config_selectorIyiEEZNS1_14transform_implILb0ES3_S5_N6thrust23THRUST_200600_302600_NS6detail15normal_iteratorINS8_10device_ptrIyEEEENSA_INSB_IiEEEEZNS1_13binary_searchIS3_S5_SD_SD_SF_NS1_21lower_bound_search_opENS9_16wrapped_functionINS0_4lessIvEEbEEEE10hipError_tPvRmT1_T2_T3_mmT4_T5_P12ihipStream_tbEUlRKyE_EESM_SQ_SR_mSS_SV_bEUlT_E_NS1_11comp_targetILNS1_3genE3ELNS1_11target_archE908ELNS1_3gpuE7ELNS1_3repE0EEENS1_30default_config_static_selectorELNS0_4arch9wavefront6targetE0EEEvSP_
		.amdhsa_group_segment_fixed_size 0
		.amdhsa_private_segment_fixed_size 0
		.amdhsa_kernarg_size 56
		.amdhsa_user_sgpr_count 15
		.amdhsa_user_sgpr_dispatch_ptr 0
		.amdhsa_user_sgpr_queue_ptr 0
		.amdhsa_user_sgpr_kernarg_segment_ptr 1
		.amdhsa_user_sgpr_dispatch_id 0
		.amdhsa_user_sgpr_private_segment_size 0
		.amdhsa_wavefront_size32 1
		.amdhsa_uses_dynamic_stack 0
		.amdhsa_enable_private_segment 0
		.amdhsa_system_sgpr_workgroup_id_x 1
		.amdhsa_system_sgpr_workgroup_id_y 0
		.amdhsa_system_sgpr_workgroup_id_z 0
		.amdhsa_system_sgpr_workgroup_info 0
		.amdhsa_system_vgpr_workitem_id 0
		.amdhsa_next_free_vgpr 1
		.amdhsa_next_free_sgpr 1
		.amdhsa_reserve_vcc 0
		.amdhsa_float_round_mode_32 0
		.amdhsa_float_round_mode_16_64 0
		.amdhsa_float_denorm_mode_32 3
		.amdhsa_float_denorm_mode_16_64 3
		.amdhsa_dx10_clamp 1
		.amdhsa_ieee_mode 1
		.amdhsa_fp16_overflow 0
		.amdhsa_workgroup_processor_mode 1
		.amdhsa_memory_ordered 1
		.amdhsa_forward_progress 0
		.amdhsa_shared_vgpr_count 0
		.amdhsa_exception_fp_ieee_invalid_op 0
		.amdhsa_exception_fp_denorm_src 0
		.amdhsa_exception_fp_ieee_div_zero 0
		.amdhsa_exception_fp_ieee_overflow 0
		.amdhsa_exception_fp_ieee_underflow 0
		.amdhsa_exception_fp_ieee_inexact 0
		.amdhsa_exception_int_div_zero 0
	.end_amdhsa_kernel
	.section	.text._ZN7rocprim17ROCPRIM_400000_NS6detail17trampoline_kernelINS0_14default_configENS1_27lower_bound_config_selectorIyiEEZNS1_14transform_implILb0ES3_S5_N6thrust23THRUST_200600_302600_NS6detail15normal_iteratorINS8_10device_ptrIyEEEENSA_INSB_IiEEEEZNS1_13binary_searchIS3_S5_SD_SD_SF_NS1_21lower_bound_search_opENS9_16wrapped_functionINS0_4lessIvEEbEEEE10hipError_tPvRmT1_T2_T3_mmT4_T5_P12ihipStream_tbEUlRKyE_EESM_SQ_SR_mSS_SV_bEUlT_E_NS1_11comp_targetILNS1_3genE3ELNS1_11target_archE908ELNS1_3gpuE7ELNS1_3repE0EEENS1_30default_config_static_selectorELNS0_4arch9wavefront6targetE0EEEvSP_,"axG",@progbits,_ZN7rocprim17ROCPRIM_400000_NS6detail17trampoline_kernelINS0_14default_configENS1_27lower_bound_config_selectorIyiEEZNS1_14transform_implILb0ES3_S5_N6thrust23THRUST_200600_302600_NS6detail15normal_iteratorINS8_10device_ptrIyEEEENSA_INSB_IiEEEEZNS1_13binary_searchIS3_S5_SD_SD_SF_NS1_21lower_bound_search_opENS9_16wrapped_functionINS0_4lessIvEEbEEEE10hipError_tPvRmT1_T2_T3_mmT4_T5_P12ihipStream_tbEUlRKyE_EESM_SQ_SR_mSS_SV_bEUlT_E_NS1_11comp_targetILNS1_3genE3ELNS1_11target_archE908ELNS1_3gpuE7ELNS1_3repE0EEENS1_30default_config_static_selectorELNS0_4arch9wavefront6targetE0EEEvSP_,comdat
.Lfunc_end274:
	.size	_ZN7rocprim17ROCPRIM_400000_NS6detail17trampoline_kernelINS0_14default_configENS1_27lower_bound_config_selectorIyiEEZNS1_14transform_implILb0ES3_S5_N6thrust23THRUST_200600_302600_NS6detail15normal_iteratorINS8_10device_ptrIyEEEENSA_INSB_IiEEEEZNS1_13binary_searchIS3_S5_SD_SD_SF_NS1_21lower_bound_search_opENS9_16wrapped_functionINS0_4lessIvEEbEEEE10hipError_tPvRmT1_T2_T3_mmT4_T5_P12ihipStream_tbEUlRKyE_EESM_SQ_SR_mSS_SV_bEUlT_E_NS1_11comp_targetILNS1_3genE3ELNS1_11target_archE908ELNS1_3gpuE7ELNS1_3repE0EEENS1_30default_config_static_selectorELNS0_4arch9wavefront6targetE0EEEvSP_, .Lfunc_end274-_ZN7rocprim17ROCPRIM_400000_NS6detail17trampoline_kernelINS0_14default_configENS1_27lower_bound_config_selectorIyiEEZNS1_14transform_implILb0ES3_S5_N6thrust23THRUST_200600_302600_NS6detail15normal_iteratorINS8_10device_ptrIyEEEENSA_INSB_IiEEEEZNS1_13binary_searchIS3_S5_SD_SD_SF_NS1_21lower_bound_search_opENS9_16wrapped_functionINS0_4lessIvEEbEEEE10hipError_tPvRmT1_T2_T3_mmT4_T5_P12ihipStream_tbEUlRKyE_EESM_SQ_SR_mSS_SV_bEUlT_E_NS1_11comp_targetILNS1_3genE3ELNS1_11target_archE908ELNS1_3gpuE7ELNS1_3repE0EEENS1_30default_config_static_selectorELNS0_4arch9wavefront6targetE0EEEvSP_
                                        ; -- End function
	.section	.AMDGPU.csdata,"",@progbits
; Kernel info:
; codeLenInByte = 0
; NumSgprs: 0
; NumVgprs: 0
; ScratchSize: 0
; MemoryBound: 0
; FloatMode: 240
; IeeeMode: 1
; LDSByteSize: 0 bytes/workgroup (compile time only)
; SGPRBlocks: 0
; VGPRBlocks: 0
; NumSGPRsForWavesPerEU: 1
; NumVGPRsForWavesPerEU: 1
; Occupancy: 16
; WaveLimiterHint : 0
; COMPUTE_PGM_RSRC2:SCRATCH_EN: 0
; COMPUTE_PGM_RSRC2:USER_SGPR: 15
; COMPUTE_PGM_RSRC2:TRAP_HANDLER: 0
; COMPUTE_PGM_RSRC2:TGID_X_EN: 1
; COMPUTE_PGM_RSRC2:TGID_Y_EN: 0
; COMPUTE_PGM_RSRC2:TGID_Z_EN: 0
; COMPUTE_PGM_RSRC2:TIDIG_COMP_CNT: 0
	.section	.text._ZN7rocprim17ROCPRIM_400000_NS6detail17trampoline_kernelINS0_14default_configENS1_27lower_bound_config_selectorIyiEEZNS1_14transform_implILb0ES3_S5_N6thrust23THRUST_200600_302600_NS6detail15normal_iteratorINS8_10device_ptrIyEEEENSA_INSB_IiEEEEZNS1_13binary_searchIS3_S5_SD_SD_SF_NS1_21lower_bound_search_opENS9_16wrapped_functionINS0_4lessIvEEbEEEE10hipError_tPvRmT1_T2_T3_mmT4_T5_P12ihipStream_tbEUlRKyE_EESM_SQ_SR_mSS_SV_bEUlT_E_NS1_11comp_targetILNS1_3genE2ELNS1_11target_archE906ELNS1_3gpuE6ELNS1_3repE0EEENS1_30default_config_static_selectorELNS0_4arch9wavefront6targetE0EEEvSP_,"axG",@progbits,_ZN7rocprim17ROCPRIM_400000_NS6detail17trampoline_kernelINS0_14default_configENS1_27lower_bound_config_selectorIyiEEZNS1_14transform_implILb0ES3_S5_N6thrust23THRUST_200600_302600_NS6detail15normal_iteratorINS8_10device_ptrIyEEEENSA_INSB_IiEEEEZNS1_13binary_searchIS3_S5_SD_SD_SF_NS1_21lower_bound_search_opENS9_16wrapped_functionINS0_4lessIvEEbEEEE10hipError_tPvRmT1_T2_T3_mmT4_T5_P12ihipStream_tbEUlRKyE_EESM_SQ_SR_mSS_SV_bEUlT_E_NS1_11comp_targetILNS1_3genE2ELNS1_11target_archE906ELNS1_3gpuE6ELNS1_3repE0EEENS1_30default_config_static_selectorELNS0_4arch9wavefront6targetE0EEEvSP_,comdat
	.protected	_ZN7rocprim17ROCPRIM_400000_NS6detail17trampoline_kernelINS0_14default_configENS1_27lower_bound_config_selectorIyiEEZNS1_14transform_implILb0ES3_S5_N6thrust23THRUST_200600_302600_NS6detail15normal_iteratorINS8_10device_ptrIyEEEENSA_INSB_IiEEEEZNS1_13binary_searchIS3_S5_SD_SD_SF_NS1_21lower_bound_search_opENS9_16wrapped_functionINS0_4lessIvEEbEEEE10hipError_tPvRmT1_T2_T3_mmT4_T5_P12ihipStream_tbEUlRKyE_EESM_SQ_SR_mSS_SV_bEUlT_E_NS1_11comp_targetILNS1_3genE2ELNS1_11target_archE906ELNS1_3gpuE6ELNS1_3repE0EEENS1_30default_config_static_selectorELNS0_4arch9wavefront6targetE0EEEvSP_ ; -- Begin function _ZN7rocprim17ROCPRIM_400000_NS6detail17trampoline_kernelINS0_14default_configENS1_27lower_bound_config_selectorIyiEEZNS1_14transform_implILb0ES3_S5_N6thrust23THRUST_200600_302600_NS6detail15normal_iteratorINS8_10device_ptrIyEEEENSA_INSB_IiEEEEZNS1_13binary_searchIS3_S5_SD_SD_SF_NS1_21lower_bound_search_opENS9_16wrapped_functionINS0_4lessIvEEbEEEE10hipError_tPvRmT1_T2_T3_mmT4_T5_P12ihipStream_tbEUlRKyE_EESM_SQ_SR_mSS_SV_bEUlT_E_NS1_11comp_targetILNS1_3genE2ELNS1_11target_archE906ELNS1_3gpuE6ELNS1_3repE0EEENS1_30default_config_static_selectorELNS0_4arch9wavefront6targetE0EEEvSP_
	.globl	_ZN7rocprim17ROCPRIM_400000_NS6detail17trampoline_kernelINS0_14default_configENS1_27lower_bound_config_selectorIyiEEZNS1_14transform_implILb0ES3_S5_N6thrust23THRUST_200600_302600_NS6detail15normal_iteratorINS8_10device_ptrIyEEEENSA_INSB_IiEEEEZNS1_13binary_searchIS3_S5_SD_SD_SF_NS1_21lower_bound_search_opENS9_16wrapped_functionINS0_4lessIvEEbEEEE10hipError_tPvRmT1_T2_T3_mmT4_T5_P12ihipStream_tbEUlRKyE_EESM_SQ_SR_mSS_SV_bEUlT_E_NS1_11comp_targetILNS1_3genE2ELNS1_11target_archE906ELNS1_3gpuE6ELNS1_3repE0EEENS1_30default_config_static_selectorELNS0_4arch9wavefront6targetE0EEEvSP_
	.p2align	8
	.type	_ZN7rocprim17ROCPRIM_400000_NS6detail17trampoline_kernelINS0_14default_configENS1_27lower_bound_config_selectorIyiEEZNS1_14transform_implILb0ES3_S5_N6thrust23THRUST_200600_302600_NS6detail15normal_iteratorINS8_10device_ptrIyEEEENSA_INSB_IiEEEEZNS1_13binary_searchIS3_S5_SD_SD_SF_NS1_21lower_bound_search_opENS9_16wrapped_functionINS0_4lessIvEEbEEEE10hipError_tPvRmT1_T2_T3_mmT4_T5_P12ihipStream_tbEUlRKyE_EESM_SQ_SR_mSS_SV_bEUlT_E_NS1_11comp_targetILNS1_3genE2ELNS1_11target_archE906ELNS1_3gpuE6ELNS1_3repE0EEENS1_30default_config_static_selectorELNS0_4arch9wavefront6targetE0EEEvSP_,@function
_ZN7rocprim17ROCPRIM_400000_NS6detail17trampoline_kernelINS0_14default_configENS1_27lower_bound_config_selectorIyiEEZNS1_14transform_implILb0ES3_S5_N6thrust23THRUST_200600_302600_NS6detail15normal_iteratorINS8_10device_ptrIyEEEENSA_INSB_IiEEEEZNS1_13binary_searchIS3_S5_SD_SD_SF_NS1_21lower_bound_search_opENS9_16wrapped_functionINS0_4lessIvEEbEEEE10hipError_tPvRmT1_T2_T3_mmT4_T5_P12ihipStream_tbEUlRKyE_EESM_SQ_SR_mSS_SV_bEUlT_E_NS1_11comp_targetILNS1_3genE2ELNS1_11target_archE906ELNS1_3gpuE6ELNS1_3repE0EEENS1_30default_config_static_selectorELNS0_4arch9wavefront6targetE0EEEvSP_: ; @_ZN7rocprim17ROCPRIM_400000_NS6detail17trampoline_kernelINS0_14default_configENS1_27lower_bound_config_selectorIyiEEZNS1_14transform_implILb0ES3_S5_N6thrust23THRUST_200600_302600_NS6detail15normal_iteratorINS8_10device_ptrIyEEEENSA_INSB_IiEEEEZNS1_13binary_searchIS3_S5_SD_SD_SF_NS1_21lower_bound_search_opENS9_16wrapped_functionINS0_4lessIvEEbEEEE10hipError_tPvRmT1_T2_T3_mmT4_T5_P12ihipStream_tbEUlRKyE_EESM_SQ_SR_mSS_SV_bEUlT_E_NS1_11comp_targetILNS1_3genE2ELNS1_11target_archE906ELNS1_3gpuE6ELNS1_3repE0EEENS1_30default_config_static_selectorELNS0_4arch9wavefront6targetE0EEEvSP_
; %bb.0:
	.section	.rodata,"a",@progbits
	.p2align	6, 0x0
	.amdhsa_kernel _ZN7rocprim17ROCPRIM_400000_NS6detail17trampoline_kernelINS0_14default_configENS1_27lower_bound_config_selectorIyiEEZNS1_14transform_implILb0ES3_S5_N6thrust23THRUST_200600_302600_NS6detail15normal_iteratorINS8_10device_ptrIyEEEENSA_INSB_IiEEEEZNS1_13binary_searchIS3_S5_SD_SD_SF_NS1_21lower_bound_search_opENS9_16wrapped_functionINS0_4lessIvEEbEEEE10hipError_tPvRmT1_T2_T3_mmT4_T5_P12ihipStream_tbEUlRKyE_EESM_SQ_SR_mSS_SV_bEUlT_E_NS1_11comp_targetILNS1_3genE2ELNS1_11target_archE906ELNS1_3gpuE6ELNS1_3repE0EEENS1_30default_config_static_selectorELNS0_4arch9wavefront6targetE0EEEvSP_
		.amdhsa_group_segment_fixed_size 0
		.amdhsa_private_segment_fixed_size 0
		.amdhsa_kernarg_size 56
		.amdhsa_user_sgpr_count 15
		.amdhsa_user_sgpr_dispatch_ptr 0
		.amdhsa_user_sgpr_queue_ptr 0
		.amdhsa_user_sgpr_kernarg_segment_ptr 1
		.amdhsa_user_sgpr_dispatch_id 0
		.amdhsa_user_sgpr_private_segment_size 0
		.amdhsa_wavefront_size32 1
		.amdhsa_uses_dynamic_stack 0
		.amdhsa_enable_private_segment 0
		.amdhsa_system_sgpr_workgroup_id_x 1
		.amdhsa_system_sgpr_workgroup_id_y 0
		.amdhsa_system_sgpr_workgroup_id_z 0
		.amdhsa_system_sgpr_workgroup_info 0
		.amdhsa_system_vgpr_workitem_id 0
		.amdhsa_next_free_vgpr 1
		.amdhsa_next_free_sgpr 1
		.amdhsa_reserve_vcc 0
		.amdhsa_float_round_mode_32 0
		.amdhsa_float_round_mode_16_64 0
		.amdhsa_float_denorm_mode_32 3
		.amdhsa_float_denorm_mode_16_64 3
		.amdhsa_dx10_clamp 1
		.amdhsa_ieee_mode 1
		.amdhsa_fp16_overflow 0
		.amdhsa_workgroup_processor_mode 1
		.amdhsa_memory_ordered 1
		.amdhsa_forward_progress 0
		.amdhsa_shared_vgpr_count 0
		.amdhsa_exception_fp_ieee_invalid_op 0
		.amdhsa_exception_fp_denorm_src 0
		.amdhsa_exception_fp_ieee_div_zero 0
		.amdhsa_exception_fp_ieee_overflow 0
		.amdhsa_exception_fp_ieee_underflow 0
		.amdhsa_exception_fp_ieee_inexact 0
		.amdhsa_exception_int_div_zero 0
	.end_amdhsa_kernel
	.section	.text._ZN7rocprim17ROCPRIM_400000_NS6detail17trampoline_kernelINS0_14default_configENS1_27lower_bound_config_selectorIyiEEZNS1_14transform_implILb0ES3_S5_N6thrust23THRUST_200600_302600_NS6detail15normal_iteratorINS8_10device_ptrIyEEEENSA_INSB_IiEEEEZNS1_13binary_searchIS3_S5_SD_SD_SF_NS1_21lower_bound_search_opENS9_16wrapped_functionINS0_4lessIvEEbEEEE10hipError_tPvRmT1_T2_T3_mmT4_T5_P12ihipStream_tbEUlRKyE_EESM_SQ_SR_mSS_SV_bEUlT_E_NS1_11comp_targetILNS1_3genE2ELNS1_11target_archE906ELNS1_3gpuE6ELNS1_3repE0EEENS1_30default_config_static_selectorELNS0_4arch9wavefront6targetE0EEEvSP_,"axG",@progbits,_ZN7rocprim17ROCPRIM_400000_NS6detail17trampoline_kernelINS0_14default_configENS1_27lower_bound_config_selectorIyiEEZNS1_14transform_implILb0ES3_S5_N6thrust23THRUST_200600_302600_NS6detail15normal_iteratorINS8_10device_ptrIyEEEENSA_INSB_IiEEEEZNS1_13binary_searchIS3_S5_SD_SD_SF_NS1_21lower_bound_search_opENS9_16wrapped_functionINS0_4lessIvEEbEEEE10hipError_tPvRmT1_T2_T3_mmT4_T5_P12ihipStream_tbEUlRKyE_EESM_SQ_SR_mSS_SV_bEUlT_E_NS1_11comp_targetILNS1_3genE2ELNS1_11target_archE906ELNS1_3gpuE6ELNS1_3repE0EEENS1_30default_config_static_selectorELNS0_4arch9wavefront6targetE0EEEvSP_,comdat
.Lfunc_end275:
	.size	_ZN7rocprim17ROCPRIM_400000_NS6detail17trampoline_kernelINS0_14default_configENS1_27lower_bound_config_selectorIyiEEZNS1_14transform_implILb0ES3_S5_N6thrust23THRUST_200600_302600_NS6detail15normal_iteratorINS8_10device_ptrIyEEEENSA_INSB_IiEEEEZNS1_13binary_searchIS3_S5_SD_SD_SF_NS1_21lower_bound_search_opENS9_16wrapped_functionINS0_4lessIvEEbEEEE10hipError_tPvRmT1_T2_T3_mmT4_T5_P12ihipStream_tbEUlRKyE_EESM_SQ_SR_mSS_SV_bEUlT_E_NS1_11comp_targetILNS1_3genE2ELNS1_11target_archE906ELNS1_3gpuE6ELNS1_3repE0EEENS1_30default_config_static_selectorELNS0_4arch9wavefront6targetE0EEEvSP_, .Lfunc_end275-_ZN7rocprim17ROCPRIM_400000_NS6detail17trampoline_kernelINS0_14default_configENS1_27lower_bound_config_selectorIyiEEZNS1_14transform_implILb0ES3_S5_N6thrust23THRUST_200600_302600_NS6detail15normal_iteratorINS8_10device_ptrIyEEEENSA_INSB_IiEEEEZNS1_13binary_searchIS3_S5_SD_SD_SF_NS1_21lower_bound_search_opENS9_16wrapped_functionINS0_4lessIvEEbEEEE10hipError_tPvRmT1_T2_T3_mmT4_T5_P12ihipStream_tbEUlRKyE_EESM_SQ_SR_mSS_SV_bEUlT_E_NS1_11comp_targetILNS1_3genE2ELNS1_11target_archE906ELNS1_3gpuE6ELNS1_3repE0EEENS1_30default_config_static_selectorELNS0_4arch9wavefront6targetE0EEEvSP_
                                        ; -- End function
	.section	.AMDGPU.csdata,"",@progbits
; Kernel info:
; codeLenInByte = 0
; NumSgprs: 0
; NumVgprs: 0
; ScratchSize: 0
; MemoryBound: 0
; FloatMode: 240
; IeeeMode: 1
; LDSByteSize: 0 bytes/workgroup (compile time only)
; SGPRBlocks: 0
; VGPRBlocks: 0
; NumSGPRsForWavesPerEU: 1
; NumVGPRsForWavesPerEU: 1
; Occupancy: 16
; WaveLimiterHint : 0
; COMPUTE_PGM_RSRC2:SCRATCH_EN: 0
; COMPUTE_PGM_RSRC2:USER_SGPR: 15
; COMPUTE_PGM_RSRC2:TRAP_HANDLER: 0
; COMPUTE_PGM_RSRC2:TGID_X_EN: 1
; COMPUTE_PGM_RSRC2:TGID_Y_EN: 0
; COMPUTE_PGM_RSRC2:TGID_Z_EN: 0
; COMPUTE_PGM_RSRC2:TIDIG_COMP_CNT: 0
	.section	.text._ZN7rocprim17ROCPRIM_400000_NS6detail17trampoline_kernelINS0_14default_configENS1_27lower_bound_config_selectorIyiEEZNS1_14transform_implILb0ES3_S5_N6thrust23THRUST_200600_302600_NS6detail15normal_iteratorINS8_10device_ptrIyEEEENSA_INSB_IiEEEEZNS1_13binary_searchIS3_S5_SD_SD_SF_NS1_21lower_bound_search_opENS9_16wrapped_functionINS0_4lessIvEEbEEEE10hipError_tPvRmT1_T2_T3_mmT4_T5_P12ihipStream_tbEUlRKyE_EESM_SQ_SR_mSS_SV_bEUlT_E_NS1_11comp_targetILNS1_3genE10ELNS1_11target_archE1201ELNS1_3gpuE5ELNS1_3repE0EEENS1_30default_config_static_selectorELNS0_4arch9wavefront6targetE0EEEvSP_,"axG",@progbits,_ZN7rocprim17ROCPRIM_400000_NS6detail17trampoline_kernelINS0_14default_configENS1_27lower_bound_config_selectorIyiEEZNS1_14transform_implILb0ES3_S5_N6thrust23THRUST_200600_302600_NS6detail15normal_iteratorINS8_10device_ptrIyEEEENSA_INSB_IiEEEEZNS1_13binary_searchIS3_S5_SD_SD_SF_NS1_21lower_bound_search_opENS9_16wrapped_functionINS0_4lessIvEEbEEEE10hipError_tPvRmT1_T2_T3_mmT4_T5_P12ihipStream_tbEUlRKyE_EESM_SQ_SR_mSS_SV_bEUlT_E_NS1_11comp_targetILNS1_3genE10ELNS1_11target_archE1201ELNS1_3gpuE5ELNS1_3repE0EEENS1_30default_config_static_selectorELNS0_4arch9wavefront6targetE0EEEvSP_,comdat
	.protected	_ZN7rocprim17ROCPRIM_400000_NS6detail17trampoline_kernelINS0_14default_configENS1_27lower_bound_config_selectorIyiEEZNS1_14transform_implILb0ES3_S5_N6thrust23THRUST_200600_302600_NS6detail15normal_iteratorINS8_10device_ptrIyEEEENSA_INSB_IiEEEEZNS1_13binary_searchIS3_S5_SD_SD_SF_NS1_21lower_bound_search_opENS9_16wrapped_functionINS0_4lessIvEEbEEEE10hipError_tPvRmT1_T2_T3_mmT4_T5_P12ihipStream_tbEUlRKyE_EESM_SQ_SR_mSS_SV_bEUlT_E_NS1_11comp_targetILNS1_3genE10ELNS1_11target_archE1201ELNS1_3gpuE5ELNS1_3repE0EEENS1_30default_config_static_selectorELNS0_4arch9wavefront6targetE0EEEvSP_ ; -- Begin function _ZN7rocprim17ROCPRIM_400000_NS6detail17trampoline_kernelINS0_14default_configENS1_27lower_bound_config_selectorIyiEEZNS1_14transform_implILb0ES3_S5_N6thrust23THRUST_200600_302600_NS6detail15normal_iteratorINS8_10device_ptrIyEEEENSA_INSB_IiEEEEZNS1_13binary_searchIS3_S5_SD_SD_SF_NS1_21lower_bound_search_opENS9_16wrapped_functionINS0_4lessIvEEbEEEE10hipError_tPvRmT1_T2_T3_mmT4_T5_P12ihipStream_tbEUlRKyE_EESM_SQ_SR_mSS_SV_bEUlT_E_NS1_11comp_targetILNS1_3genE10ELNS1_11target_archE1201ELNS1_3gpuE5ELNS1_3repE0EEENS1_30default_config_static_selectorELNS0_4arch9wavefront6targetE0EEEvSP_
	.globl	_ZN7rocprim17ROCPRIM_400000_NS6detail17trampoline_kernelINS0_14default_configENS1_27lower_bound_config_selectorIyiEEZNS1_14transform_implILb0ES3_S5_N6thrust23THRUST_200600_302600_NS6detail15normal_iteratorINS8_10device_ptrIyEEEENSA_INSB_IiEEEEZNS1_13binary_searchIS3_S5_SD_SD_SF_NS1_21lower_bound_search_opENS9_16wrapped_functionINS0_4lessIvEEbEEEE10hipError_tPvRmT1_T2_T3_mmT4_T5_P12ihipStream_tbEUlRKyE_EESM_SQ_SR_mSS_SV_bEUlT_E_NS1_11comp_targetILNS1_3genE10ELNS1_11target_archE1201ELNS1_3gpuE5ELNS1_3repE0EEENS1_30default_config_static_selectorELNS0_4arch9wavefront6targetE0EEEvSP_
	.p2align	8
	.type	_ZN7rocprim17ROCPRIM_400000_NS6detail17trampoline_kernelINS0_14default_configENS1_27lower_bound_config_selectorIyiEEZNS1_14transform_implILb0ES3_S5_N6thrust23THRUST_200600_302600_NS6detail15normal_iteratorINS8_10device_ptrIyEEEENSA_INSB_IiEEEEZNS1_13binary_searchIS3_S5_SD_SD_SF_NS1_21lower_bound_search_opENS9_16wrapped_functionINS0_4lessIvEEbEEEE10hipError_tPvRmT1_T2_T3_mmT4_T5_P12ihipStream_tbEUlRKyE_EESM_SQ_SR_mSS_SV_bEUlT_E_NS1_11comp_targetILNS1_3genE10ELNS1_11target_archE1201ELNS1_3gpuE5ELNS1_3repE0EEENS1_30default_config_static_selectorELNS0_4arch9wavefront6targetE0EEEvSP_,@function
_ZN7rocprim17ROCPRIM_400000_NS6detail17trampoline_kernelINS0_14default_configENS1_27lower_bound_config_selectorIyiEEZNS1_14transform_implILb0ES3_S5_N6thrust23THRUST_200600_302600_NS6detail15normal_iteratorINS8_10device_ptrIyEEEENSA_INSB_IiEEEEZNS1_13binary_searchIS3_S5_SD_SD_SF_NS1_21lower_bound_search_opENS9_16wrapped_functionINS0_4lessIvEEbEEEE10hipError_tPvRmT1_T2_T3_mmT4_T5_P12ihipStream_tbEUlRKyE_EESM_SQ_SR_mSS_SV_bEUlT_E_NS1_11comp_targetILNS1_3genE10ELNS1_11target_archE1201ELNS1_3gpuE5ELNS1_3repE0EEENS1_30default_config_static_selectorELNS0_4arch9wavefront6targetE0EEEvSP_: ; @_ZN7rocprim17ROCPRIM_400000_NS6detail17trampoline_kernelINS0_14default_configENS1_27lower_bound_config_selectorIyiEEZNS1_14transform_implILb0ES3_S5_N6thrust23THRUST_200600_302600_NS6detail15normal_iteratorINS8_10device_ptrIyEEEENSA_INSB_IiEEEEZNS1_13binary_searchIS3_S5_SD_SD_SF_NS1_21lower_bound_search_opENS9_16wrapped_functionINS0_4lessIvEEbEEEE10hipError_tPvRmT1_T2_T3_mmT4_T5_P12ihipStream_tbEUlRKyE_EESM_SQ_SR_mSS_SV_bEUlT_E_NS1_11comp_targetILNS1_3genE10ELNS1_11target_archE1201ELNS1_3gpuE5ELNS1_3repE0EEENS1_30default_config_static_selectorELNS0_4arch9wavefront6targetE0EEEvSP_
; %bb.0:
	.section	.rodata,"a",@progbits
	.p2align	6, 0x0
	.amdhsa_kernel _ZN7rocprim17ROCPRIM_400000_NS6detail17trampoline_kernelINS0_14default_configENS1_27lower_bound_config_selectorIyiEEZNS1_14transform_implILb0ES3_S5_N6thrust23THRUST_200600_302600_NS6detail15normal_iteratorINS8_10device_ptrIyEEEENSA_INSB_IiEEEEZNS1_13binary_searchIS3_S5_SD_SD_SF_NS1_21lower_bound_search_opENS9_16wrapped_functionINS0_4lessIvEEbEEEE10hipError_tPvRmT1_T2_T3_mmT4_T5_P12ihipStream_tbEUlRKyE_EESM_SQ_SR_mSS_SV_bEUlT_E_NS1_11comp_targetILNS1_3genE10ELNS1_11target_archE1201ELNS1_3gpuE5ELNS1_3repE0EEENS1_30default_config_static_selectorELNS0_4arch9wavefront6targetE0EEEvSP_
		.amdhsa_group_segment_fixed_size 0
		.amdhsa_private_segment_fixed_size 0
		.amdhsa_kernarg_size 56
		.amdhsa_user_sgpr_count 15
		.amdhsa_user_sgpr_dispatch_ptr 0
		.amdhsa_user_sgpr_queue_ptr 0
		.amdhsa_user_sgpr_kernarg_segment_ptr 1
		.amdhsa_user_sgpr_dispatch_id 0
		.amdhsa_user_sgpr_private_segment_size 0
		.amdhsa_wavefront_size32 1
		.amdhsa_uses_dynamic_stack 0
		.amdhsa_enable_private_segment 0
		.amdhsa_system_sgpr_workgroup_id_x 1
		.amdhsa_system_sgpr_workgroup_id_y 0
		.amdhsa_system_sgpr_workgroup_id_z 0
		.amdhsa_system_sgpr_workgroup_info 0
		.amdhsa_system_vgpr_workitem_id 0
		.amdhsa_next_free_vgpr 1
		.amdhsa_next_free_sgpr 1
		.amdhsa_reserve_vcc 0
		.amdhsa_float_round_mode_32 0
		.amdhsa_float_round_mode_16_64 0
		.amdhsa_float_denorm_mode_32 3
		.amdhsa_float_denorm_mode_16_64 3
		.amdhsa_dx10_clamp 1
		.amdhsa_ieee_mode 1
		.amdhsa_fp16_overflow 0
		.amdhsa_workgroup_processor_mode 1
		.amdhsa_memory_ordered 1
		.amdhsa_forward_progress 0
		.amdhsa_shared_vgpr_count 0
		.amdhsa_exception_fp_ieee_invalid_op 0
		.amdhsa_exception_fp_denorm_src 0
		.amdhsa_exception_fp_ieee_div_zero 0
		.amdhsa_exception_fp_ieee_overflow 0
		.amdhsa_exception_fp_ieee_underflow 0
		.amdhsa_exception_fp_ieee_inexact 0
		.amdhsa_exception_int_div_zero 0
	.end_amdhsa_kernel
	.section	.text._ZN7rocprim17ROCPRIM_400000_NS6detail17trampoline_kernelINS0_14default_configENS1_27lower_bound_config_selectorIyiEEZNS1_14transform_implILb0ES3_S5_N6thrust23THRUST_200600_302600_NS6detail15normal_iteratorINS8_10device_ptrIyEEEENSA_INSB_IiEEEEZNS1_13binary_searchIS3_S5_SD_SD_SF_NS1_21lower_bound_search_opENS9_16wrapped_functionINS0_4lessIvEEbEEEE10hipError_tPvRmT1_T2_T3_mmT4_T5_P12ihipStream_tbEUlRKyE_EESM_SQ_SR_mSS_SV_bEUlT_E_NS1_11comp_targetILNS1_3genE10ELNS1_11target_archE1201ELNS1_3gpuE5ELNS1_3repE0EEENS1_30default_config_static_selectorELNS0_4arch9wavefront6targetE0EEEvSP_,"axG",@progbits,_ZN7rocprim17ROCPRIM_400000_NS6detail17trampoline_kernelINS0_14default_configENS1_27lower_bound_config_selectorIyiEEZNS1_14transform_implILb0ES3_S5_N6thrust23THRUST_200600_302600_NS6detail15normal_iteratorINS8_10device_ptrIyEEEENSA_INSB_IiEEEEZNS1_13binary_searchIS3_S5_SD_SD_SF_NS1_21lower_bound_search_opENS9_16wrapped_functionINS0_4lessIvEEbEEEE10hipError_tPvRmT1_T2_T3_mmT4_T5_P12ihipStream_tbEUlRKyE_EESM_SQ_SR_mSS_SV_bEUlT_E_NS1_11comp_targetILNS1_3genE10ELNS1_11target_archE1201ELNS1_3gpuE5ELNS1_3repE0EEENS1_30default_config_static_selectorELNS0_4arch9wavefront6targetE0EEEvSP_,comdat
.Lfunc_end276:
	.size	_ZN7rocprim17ROCPRIM_400000_NS6detail17trampoline_kernelINS0_14default_configENS1_27lower_bound_config_selectorIyiEEZNS1_14transform_implILb0ES3_S5_N6thrust23THRUST_200600_302600_NS6detail15normal_iteratorINS8_10device_ptrIyEEEENSA_INSB_IiEEEEZNS1_13binary_searchIS3_S5_SD_SD_SF_NS1_21lower_bound_search_opENS9_16wrapped_functionINS0_4lessIvEEbEEEE10hipError_tPvRmT1_T2_T3_mmT4_T5_P12ihipStream_tbEUlRKyE_EESM_SQ_SR_mSS_SV_bEUlT_E_NS1_11comp_targetILNS1_3genE10ELNS1_11target_archE1201ELNS1_3gpuE5ELNS1_3repE0EEENS1_30default_config_static_selectorELNS0_4arch9wavefront6targetE0EEEvSP_, .Lfunc_end276-_ZN7rocprim17ROCPRIM_400000_NS6detail17trampoline_kernelINS0_14default_configENS1_27lower_bound_config_selectorIyiEEZNS1_14transform_implILb0ES3_S5_N6thrust23THRUST_200600_302600_NS6detail15normal_iteratorINS8_10device_ptrIyEEEENSA_INSB_IiEEEEZNS1_13binary_searchIS3_S5_SD_SD_SF_NS1_21lower_bound_search_opENS9_16wrapped_functionINS0_4lessIvEEbEEEE10hipError_tPvRmT1_T2_T3_mmT4_T5_P12ihipStream_tbEUlRKyE_EESM_SQ_SR_mSS_SV_bEUlT_E_NS1_11comp_targetILNS1_3genE10ELNS1_11target_archE1201ELNS1_3gpuE5ELNS1_3repE0EEENS1_30default_config_static_selectorELNS0_4arch9wavefront6targetE0EEEvSP_
                                        ; -- End function
	.section	.AMDGPU.csdata,"",@progbits
; Kernel info:
; codeLenInByte = 0
; NumSgprs: 0
; NumVgprs: 0
; ScratchSize: 0
; MemoryBound: 0
; FloatMode: 240
; IeeeMode: 1
; LDSByteSize: 0 bytes/workgroup (compile time only)
; SGPRBlocks: 0
; VGPRBlocks: 0
; NumSGPRsForWavesPerEU: 1
; NumVGPRsForWavesPerEU: 1
; Occupancy: 16
; WaveLimiterHint : 0
; COMPUTE_PGM_RSRC2:SCRATCH_EN: 0
; COMPUTE_PGM_RSRC2:USER_SGPR: 15
; COMPUTE_PGM_RSRC2:TRAP_HANDLER: 0
; COMPUTE_PGM_RSRC2:TGID_X_EN: 1
; COMPUTE_PGM_RSRC2:TGID_Y_EN: 0
; COMPUTE_PGM_RSRC2:TGID_Z_EN: 0
; COMPUTE_PGM_RSRC2:TIDIG_COMP_CNT: 0
	.section	.text._ZN7rocprim17ROCPRIM_400000_NS6detail17trampoline_kernelINS0_14default_configENS1_27lower_bound_config_selectorIyiEEZNS1_14transform_implILb0ES3_S5_N6thrust23THRUST_200600_302600_NS6detail15normal_iteratorINS8_10device_ptrIyEEEENSA_INSB_IiEEEEZNS1_13binary_searchIS3_S5_SD_SD_SF_NS1_21lower_bound_search_opENS9_16wrapped_functionINS0_4lessIvEEbEEEE10hipError_tPvRmT1_T2_T3_mmT4_T5_P12ihipStream_tbEUlRKyE_EESM_SQ_SR_mSS_SV_bEUlT_E_NS1_11comp_targetILNS1_3genE10ELNS1_11target_archE1200ELNS1_3gpuE4ELNS1_3repE0EEENS1_30default_config_static_selectorELNS0_4arch9wavefront6targetE0EEEvSP_,"axG",@progbits,_ZN7rocprim17ROCPRIM_400000_NS6detail17trampoline_kernelINS0_14default_configENS1_27lower_bound_config_selectorIyiEEZNS1_14transform_implILb0ES3_S5_N6thrust23THRUST_200600_302600_NS6detail15normal_iteratorINS8_10device_ptrIyEEEENSA_INSB_IiEEEEZNS1_13binary_searchIS3_S5_SD_SD_SF_NS1_21lower_bound_search_opENS9_16wrapped_functionINS0_4lessIvEEbEEEE10hipError_tPvRmT1_T2_T3_mmT4_T5_P12ihipStream_tbEUlRKyE_EESM_SQ_SR_mSS_SV_bEUlT_E_NS1_11comp_targetILNS1_3genE10ELNS1_11target_archE1200ELNS1_3gpuE4ELNS1_3repE0EEENS1_30default_config_static_selectorELNS0_4arch9wavefront6targetE0EEEvSP_,comdat
	.protected	_ZN7rocprim17ROCPRIM_400000_NS6detail17trampoline_kernelINS0_14default_configENS1_27lower_bound_config_selectorIyiEEZNS1_14transform_implILb0ES3_S5_N6thrust23THRUST_200600_302600_NS6detail15normal_iteratorINS8_10device_ptrIyEEEENSA_INSB_IiEEEEZNS1_13binary_searchIS3_S5_SD_SD_SF_NS1_21lower_bound_search_opENS9_16wrapped_functionINS0_4lessIvEEbEEEE10hipError_tPvRmT1_T2_T3_mmT4_T5_P12ihipStream_tbEUlRKyE_EESM_SQ_SR_mSS_SV_bEUlT_E_NS1_11comp_targetILNS1_3genE10ELNS1_11target_archE1200ELNS1_3gpuE4ELNS1_3repE0EEENS1_30default_config_static_selectorELNS0_4arch9wavefront6targetE0EEEvSP_ ; -- Begin function _ZN7rocprim17ROCPRIM_400000_NS6detail17trampoline_kernelINS0_14default_configENS1_27lower_bound_config_selectorIyiEEZNS1_14transform_implILb0ES3_S5_N6thrust23THRUST_200600_302600_NS6detail15normal_iteratorINS8_10device_ptrIyEEEENSA_INSB_IiEEEEZNS1_13binary_searchIS3_S5_SD_SD_SF_NS1_21lower_bound_search_opENS9_16wrapped_functionINS0_4lessIvEEbEEEE10hipError_tPvRmT1_T2_T3_mmT4_T5_P12ihipStream_tbEUlRKyE_EESM_SQ_SR_mSS_SV_bEUlT_E_NS1_11comp_targetILNS1_3genE10ELNS1_11target_archE1200ELNS1_3gpuE4ELNS1_3repE0EEENS1_30default_config_static_selectorELNS0_4arch9wavefront6targetE0EEEvSP_
	.globl	_ZN7rocprim17ROCPRIM_400000_NS6detail17trampoline_kernelINS0_14default_configENS1_27lower_bound_config_selectorIyiEEZNS1_14transform_implILb0ES3_S5_N6thrust23THRUST_200600_302600_NS6detail15normal_iteratorINS8_10device_ptrIyEEEENSA_INSB_IiEEEEZNS1_13binary_searchIS3_S5_SD_SD_SF_NS1_21lower_bound_search_opENS9_16wrapped_functionINS0_4lessIvEEbEEEE10hipError_tPvRmT1_T2_T3_mmT4_T5_P12ihipStream_tbEUlRKyE_EESM_SQ_SR_mSS_SV_bEUlT_E_NS1_11comp_targetILNS1_3genE10ELNS1_11target_archE1200ELNS1_3gpuE4ELNS1_3repE0EEENS1_30default_config_static_selectorELNS0_4arch9wavefront6targetE0EEEvSP_
	.p2align	8
	.type	_ZN7rocprim17ROCPRIM_400000_NS6detail17trampoline_kernelINS0_14default_configENS1_27lower_bound_config_selectorIyiEEZNS1_14transform_implILb0ES3_S5_N6thrust23THRUST_200600_302600_NS6detail15normal_iteratorINS8_10device_ptrIyEEEENSA_INSB_IiEEEEZNS1_13binary_searchIS3_S5_SD_SD_SF_NS1_21lower_bound_search_opENS9_16wrapped_functionINS0_4lessIvEEbEEEE10hipError_tPvRmT1_T2_T3_mmT4_T5_P12ihipStream_tbEUlRKyE_EESM_SQ_SR_mSS_SV_bEUlT_E_NS1_11comp_targetILNS1_3genE10ELNS1_11target_archE1200ELNS1_3gpuE4ELNS1_3repE0EEENS1_30default_config_static_selectorELNS0_4arch9wavefront6targetE0EEEvSP_,@function
_ZN7rocprim17ROCPRIM_400000_NS6detail17trampoline_kernelINS0_14default_configENS1_27lower_bound_config_selectorIyiEEZNS1_14transform_implILb0ES3_S5_N6thrust23THRUST_200600_302600_NS6detail15normal_iteratorINS8_10device_ptrIyEEEENSA_INSB_IiEEEEZNS1_13binary_searchIS3_S5_SD_SD_SF_NS1_21lower_bound_search_opENS9_16wrapped_functionINS0_4lessIvEEbEEEE10hipError_tPvRmT1_T2_T3_mmT4_T5_P12ihipStream_tbEUlRKyE_EESM_SQ_SR_mSS_SV_bEUlT_E_NS1_11comp_targetILNS1_3genE10ELNS1_11target_archE1200ELNS1_3gpuE4ELNS1_3repE0EEENS1_30default_config_static_selectorELNS0_4arch9wavefront6targetE0EEEvSP_: ; @_ZN7rocprim17ROCPRIM_400000_NS6detail17trampoline_kernelINS0_14default_configENS1_27lower_bound_config_selectorIyiEEZNS1_14transform_implILb0ES3_S5_N6thrust23THRUST_200600_302600_NS6detail15normal_iteratorINS8_10device_ptrIyEEEENSA_INSB_IiEEEEZNS1_13binary_searchIS3_S5_SD_SD_SF_NS1_21lower_bound_search_opENS9_16wrapped_functionINS0_4lessIvEEbEEEE10hipError_tPvRmT1_T2_T3_mmT4_T5_P12ihipStream_tbEUlRKyE_EESM_SQ_SR_mSS_SV_bEUlT_E_NS1_11comp_targetILNS1_3genE10ELNS1_11target_archE1200ELNS1_3gpuE4ELNS1_3repE0EEENS1_30default_config_static_selectorELNS0_4arch9wavefront6targetE0EEEvSP_
; %bb.0:
	.section	.rodata,"a",@progbits
	.p2align	6, 0x0
	.amdhsa_kernel _ZN7rocprim17ROCPRIM_400000_NS6detail17trampoline_kernelINS0_14default_configENS1_27lower_bound_config_selectorIyiEEZNS1_14transform_implILb0ES3_S5_N6thrust23THRUST_200600_302600_NS6detail15normal_iteratorINS8_10device_ptrIyEEEENSA_INSB_IiEEEEZNS1_13binary_searchIS3_S5_SD_SD_SF_NS1_21lower_bound_search_opENS9_16wrapped_functionINS0_4lessIvEEbEEEE10hipError_tPvRmT1_T2_T3_mmT4_T5_P12ihipStream_tbEUlRKyE_EESM_SQ_SR_mSS_SV_bEUlT_E_NS1_11comp_targetILNS1_3genE10ELNS1_11target_archE1200ELNS1_3gpuE4ELNS1_3repE0EEENS1_30default_config_static_selectorELNS0_4arch9wavefront6targetE0EEEvSP_
		.amdhsa_group_segment_fixed_size 0
		.amdhsa_private_segment_fixed_size 0
		.amdhsa_kernarg_size 56
		.amdhsa_user_sgpr_count 15
		.amdhsa_user_sgpr_dispatch_ptr 0
		.amdhsa_user_sgpr_queue_ptr 0
		.amdhsa_user_sgpr_kernarg_segment_ptr 1
		.amdhsa_user_sgpr_dispatch_id 0
		.amdhsa_user_sgpr_private_segment_size 0
		.amdhsa_wavefront_size32 1
		.amdhsa_uses_dynamic_stack 0
		.amdhsa_enable_private_segment 0
		.amdhsa_system_sgpr_workgroup_id_x 1
		.amdhsa_system_sgpr_workgroup_id_y 0
		.amdhsa_system_sgpr_workgroup_id_z 0
		.amdhsa_system_sgpr_workgroup_info 0
		.amdhsa_system_vgpr_workitem_id 0
		.amdhsa_next_free_vgpr 1
		.amdhsa_next_free_sgpr 1
		.amdhsa_reserve_vcc 0
		.amdhsa_float_round_mode_32 0
		.amdhsa_float_round_mode_16_64 0
		.amdhsa_float_denorm_mode_32 3
		.amdhsa_float_denorm_mode_16_64 3
		.amdhsa_dx10_clamp 1
		.amdhsa_ieee_mode 1
		.amdhsa_fp16_overflow 0
		.amdhsa_workgroup_processor_mode 1
		.amdhsa_memory_ordered 1
		.amdhsa_forward_progress 0
		.amdhsa_shared_vgpr_count 0
		.amdhsa_exception_fp_ieee_invalid_op 0
		.amdhsa_exception_fp_denorm_src 0
		.amdhsa_exception_fp_ieee_div_zero 0
		.amdhsa_exception_fp_ieee_overflow 0
		.amdhsa_exception_fp_ieee_underflow 0
		.amdhsa_exception_fp_ieee_inexact 0
		.amdhsa_exception_int_div_zero 0
	.end_amdhsa_kernel
	.section	.text._ZN7rocprim17ROCPRIM_400000_NS6detail17trampoline_kernelINS0_14default_configENS1_27lower_bound_config_selectorIyiEEZNS1_14transform_implILb0ES3_S5_N6thrust23THRUST_200600_302600_NS6detail15normal_iteratorINS8_10device_ptrIyEEEENSA_INSB_IiEEEEZNS1_13binary_searchIS3_S5_SD_SD_SF_NS1_21lower_bound_search_opENS9_16wrapped_functionINS0_4lessIvEEbEEEE10hipError_tPvRmT1_T2_T3_mmT4_T5_P12ihipStream_tbEUlRKyE_EESM_SQ_SR_mSS_SV_bEUlT_E_NS1_11comp_targetILNS1_3genE10ELNS1_11target_archE1200ELNS1_3gpuE4ELNS1_3repE0EEENS1_30default_config_static_selectorELNS0_4arch9wavefront6targetE0EEEvSP_,"axG",@progbits,_ZN7rocprim17ROCPRIM_400000_NS6detail17trampoline_kernelINS0_14default_configENS1_27lower_bound_config_selectorIyiEEZNS1_14transform_implILb0ES3_S5_N6thrust23THRUST_200600_302600_NS6detail15normal_iteratorINS8_10device_ptrIyEEEENSA_INSB_IiEEEEZNS1_13binary_searchIS3_S5_SD_SD_SF_NS1_21lower_bound_search_opENS9_16wrapped_functionINS0_4lessIvEEbEEEE10hipError_tPvRmT1_T2_T3_mmT4_T5_P12ihipStream_tbEUlRKyE_EESM_SQ_SR_mSS_SV_bEUlT_E_NS1_11comp_targetILNS1_3genE10ELNS1_11target_archE1200ELNS1_3gpuE4ELNS1_3repE0EEENS1_30default_config_static_selectorELNS0_4arch9wavefront6targetE0EEEvSP_,comdat
.Lfunc_end277:
	.size	_ZN7rocprim17ROCPRIM_400000_NS6detail17trampoline_kernelINS0_14default_configENS1_27lower_bound_config_selectorIyiEEZNS1_14transform_implILb0ES3_S5_N6thrust23THRUST_200600_302600_NS6detail15normal_iteratorINS8_10device_ptrIyEEEENSA_INSB_IiEEEEZNS1_13binary_searchIS3_S5_SD_SD_SF_NS1_21lower_bound_search_opENS9_16wrapped_functionINS0_4lessIvEEbEEEE10hipError_tPvRmT1_T2_T3_mmT4_T5_P12ihipStream_tbEUlRKyE_EESM_SQ_SR_mSS_SV_bEUlT_E_NS1_11comp_targetILNS1_3genE10ELNS1_11target_archE1200ELNS1_3gpuE4ELNS1_3repE0EEENS1_30default_config_static_selectorELNS0_4arch9wavefront6targetE0EEEvSP_, .Lfunc_end277-_ZN7rocprim17ROCPRIM_400000_NS6detail17trampoline_kernelINS0_14default_configENS1_27lower_bound_config_selectorIyiEEZNS1_14transform_implILb0ES3_S5_N6thrust23THRUST_200600_302600_NS6detail15normal_iteratorINS8_10device_ptrIyEEEENSA_INSB_IiEEEEZNS1_13binary_searchIS3_S5_SD_SD_SF_NS1_21lower_bound_search_opENS9_16wrapped_functionINS0_4lessIvEEbEEEE10hipError_tPvRmT1_T2_T3_mmT4_T5_P12ihipStream_tbEUlRKyE_EESM_SQ_SR_mSS_SV_bEUlT_E_NS1_11comp_targetILNS1_3genE10ELNS1_11target_archE1200ELNS1_3gpuE4ELNS1_3repE0EEENS1_30default_config_static_selectorELNS0_4arch9wavefront6targetE0EEEvSP_
                                        ; -- End function
	.section	.AMDGPU.csdata,"",@progbits
; Kernel info:
; codeLenInByte = 0
; NumSgprs: 0
; NumVgprs: 0
; ScratchSize: 0
; MemoryBound: 0
; FloatMode: 240
; IeeeMode: 1
; LDSByteSize: 0 bytes/workgroup (compile time only)
; SGPRBlocks: 0
; VGPRBlocks: 0
; NumSGPRsForWavesPerEU: 1
; NumVGPRsForWavesPerEU: 1
; Occupancy: 16
; WaveLimiterHint : 0
; COMPUTE_PGM_RSRC2:SCRATCH_EN: 0
; COMPUTE_PGM_RSRC2:USER_SGPR: 15
; COMPUTE_PGM_RSRC2:TRAP_HANDLER: 0
; COMPUTE_PGM_RSRC2:TGID_X_EN: 1
; COMPUTE_PGM_RSRC2:TGID_Y_EN: 0
; COMPUTE_PGM_RSRC2:TGID_Z_EN: 0
; COMPUTE_PGM_RSRC2:TIDIG_COMP_CNT: 0
	.section	.text._ZN7rocprim17ROCPRIM_400000_NS6detail17trampoline_kernelINS0_14default_configENS1_27lower_bound_config_selectorIyiEEZNS1_14transform_implILb0ES3_S5_N6thrust23THRUST_200600_302600_NS6detail15normal_iteratorINS8_10device_ptrIyEEEENSA_INSB_IiEEEEZNS1_13binary_searchIS3_S5_SD_SD_SF_NS1_21lower_bound_search_opENS9_16wrapped_functionINS0_4lessIvEEbEEEE10hipError_tPvRmT1_T2_T3_mmT4_T5_P12ihipStream_tbEUlRKyE_EESM_SQ_SR_mSS_SV_bEUlT_E_NS1_11comp_targetILNS1_3genE9ELNS1_11target_archE1100ELNS1_3gpuE3ELNS1_3repE0EEENS1_30default_config_static_selectorELNS0_4arch9wavefront6targetE0EEEvSP_,"axG",@progbits,_ZN7rocprim17ROCPRIM_400000_NS6detail17trampoline_kernelINS0_14default_configENS1_27lower_bound_config_selectorIyiEEZNS1_14transform_implILb0ES3_S5_N6thrust23THRUST_200600_302600_NS6detail15normal_iteratorINS8_10device_ptrIyEEEENSA_INSB_IiEEEEZNS1_13binary_searchIS3_S5_SD_SD_SF_NS1_21lower_bound_search_opENS9_16wrapped_functionINS0_4lessIvEEbEEEE10hipError_tPvRmT1_T2_T3_mmT4_T5_P12ihipStream_tbEUlRKyE_EESM_SQ_SR_mSS_SV_bEUlT_E_NS1_11comp_targetILNS1_3genE9ELNS1_11target_archE1100ELNS1_3gpuE3ELNS1_3repE0EEENS1_30default_config_static_selectorELNS0_4arch9wavefront6targetE0EEEvSP_,comdat
	.protected	_ZN7rocprim17ROCPRIM_400000_NS6detail17trampoline_kernelINS0_14default_configENS1_27lower_bound_config_selectorIyiEEZNS1_14transform_implILb0ES3_S5_N6thrust23THRUST_200600_302600_NS6detail15normal_iteratorINS8_10device_ptrIyEEEENSA_INSB_IiEEEEZNS1_13binary_searchIS3_S5_SD_SD_SF_NS1_21lower_bound_search_opENS9_16wrapped_functionINS0_4lessIvEEbEEEE10hipError_tPvRmT1_T2_T3_mmT4_T5_P12ihipStream_tbEUlRKyE_EESM_SQ_SR_mSS_SV_bEUlT_E_NS1_11comp_targetILNS1_3genE9ELNS1_11target_archE1100ELNS1_3gpuE3ELNS1_3repE0EEENS1_30default_config_static_selectorELNS0_4arch9wavefront6targetE0EEEvSP_ ; -- Begin function _ZN7rocprim17ROCPRIM_400000_NS6detail17trampoline_kernelINS0_14default_configENS1_27lower_bound_config_selectorIyiEEZNS1_14transform_implILb0ES3_S5_N6thrust23THRUST_200600_302600_NS6detail15normal_iteratorINS8_10device_ptrIyEEEENSA_INSB_IiEEEEZNS1_13binary_searchIS3_S5_SD_SD_SF_NS1_21lower_bound_search_opENS9_16wrapped_functionINS0_4lessIvEEbEEEE10hipError_tPvRmT1_T2_T3_mmT4_T5_P12ihipStream_tbEUlRKyE_EESM_SQ_SR_mSS_SV_bEUlT_E_NS1_11comp_targetILNS1_3genE9ELNS1_11target_archE1100ELNS1_3gpuE3ELNS1_3repE0EEENS1_30default_config_static_selectorELNS0_4arch9wavefront6targetE0EEEvSP_
	.globl	_ZN7rocprim17ROCPRIM_400000_NS6detail17trampoline_kernelINS0_14default_configENS1_27lower_bound_config_selectorIyiEEZNS1_14transform_implILb0ES3_S5_N6thrust23THRUST_200600_302600_NS6detail15normal_iteratorINS8_10device_ptrIyEEEENSA_INSB_IiEEEEZNS1_13binary_searchIS3_S5_SD_SD_SF_NS1_21lower_bound_search_opENS9_16wrapped_functionINS0_4lessIvEEbEEEE10hipError_tPvRmT1_T2_T3_mmT4_T5_P12ihipStream_tbEUlRKyE_EESM_SQ_SR_mSS_SV_bEUlT_E_NS1_11comp_targetILNS1_3genE9ELNS1_11target_archE1100ELNS1_3gpuE3ELNS1_3repE0EEENS1_30default_config_static_selectorELNS0_4arch9wavefront6targetE0EEEvSP_
	.p2align	8
	.type	_ZN7rocprim17ROCPRIM_400000_NS6detail17trampoline_kernelINS0_14default_configENS1_27lower_bound_config_selectorIyiEEZNS1_14transform_implILb0ES3_S5_N6thrust23THRUST_200600_302600_NS6detail15normal_iteratorINS8_10device_ptrIyEEEENSA_INSB_IiEEEEZNS1_13binary_searchIS3_S5_SD_SD_SF_NS1_21lower_bound_search_opENS9_16wrapped_functionINS0_4lessIvEEbEEEE10hipError_tPvRmT1_T2_T3_mmT4_T5_P12ihipStream_tbEUlRKyE_EESM_SQ_SR_mSS_SV_bEUlT_E_NS1_11comp_targetILNS1_3genE9ELNS1_11target_archE1100ELNS1_3gpuE3ELNS1_3repE0EEENS1_30default_config_static_selectorELNS0_4arch9wavefront6targetE0EEEvSP_,@function
_ZN7rocprim17ROCPRIM_400000_NS6detail17trampoline_kernelINS0_14default_configENS1_27lower_bound_config_selectorIyiEEZNS1_14transform_implILb0ES3_S5_N6thrust23THRUST_200600_302600_NS6detail15normal_iteratorINS8_10device_ptrIyEEEENSA_INSB_IiEEEEZNS1_13binary_searchIS3_S5_SD_SD_SF_NS1_21lower_bound_search_opENS9_16wrapped_functionINS0_4lessIvEEbEEEE10hipError_tPvRmT1_T2_T3_mmT4_T5_P12ihipStream_tbEUlRKyE_EESM_SQ_SR_mSS_SV_bEUlT_E_NS1_11comp_targetILNS1_3genE9ELNS1_11target_archE1100ELNS1_3gpuE3ELNS1_3repE0EEENS1_30default_config_static_selectorELNS0_4arch9wavefront6targetE0EEEvSP_: ; @_ZN7rocprim17ROCPRIM_400000_NS6detail17trampoline_kernelINS0_14default_configENS1_27lower_bound_config_selectorIyiEEZNS1_14transform_implILb0ES3_S5_N6thrust23THRUST_200600_302600_NS6detail15normal_iteratorINS8_10device_ptrIyEEEENSA_INSB_IiEEEEZNS1_13binary_searchIS3_S5_SD_SD_SF_NS1_21lower_bound_search_opENS9_16wrapped_functionINS0_4lessIvEEbEEEE10hipError_tPvRmT1_T2_T3_mmT4_T5_P12ihipStream_tbEUlRKyE_EESM_SQ_SR_mSS_SV_bEUlT_E_NS1_11comp_targetILNS1_3genE9ELNS1_11target_archE1100ELNS1_3gpuE3ELNS1_3repE0EEENS1_30default_config_static_selectorELNS0_4arch9wavefront6targetE0EEEvSP_
; %bb.0:
	s_clause 0x2
	s_load_b256 s[4:11], s[0:1], 0x0
	s_load_b32 s2, s[0:1], 0x38
	s_load_b128 s[16:19], s[0:1], 0x20
	s_mov_b32 s21, 0
	s_waitcnt lgkmcnt(0)
	s_lshl_b64 s[0:1], s[6:7], 3
	s_delay_alu instid0(SALU_CYCLE_1) | instskip(SKIP_2) | instid1(SALU_CYCLE_1)
	s_add_u32 s3, s4, s0
	s_addc_u32 s4, s5, s1
	s_lshl_b64 s[0:1], s[6:7], 2
	s_add_u32 s22, s10, s0
	s_addc_u32 s23, s11, s1
	s_lshl_b32 s20, s15, 10
	s_add_i32 s2, s2, -1
	s_lshl_b64 s[0:1], s[20:21], 3
	s_delay_alu instid0(SALU_CYCLE_1)
	s_add_u32 s25, s3, s0
	s_addc_u32 s26, s4, s1
	s_cmp_lg_u32 s15, s2
	s_mov_b32 s0, -1
	s_cbranch_scc0 .LBB278_58
; %bb.1:
	v_lshlrev_b32_e32 v1, 3, v0
	s_cmp_lg_u64 s[18:19], 0
	s_mov_b32 s2, 0
	s_cselect_b32 s1, -1, 0
	s_cmp_eq_u64 s[18:19], 0
	v_add_co_u32 v5, s0, s25, v1
	s_delay_alu instid0(VALU_DEP_1) | instskip(NEXT) | instid1(VALU_DEP_2)
	v_add_co_ci_u32_e64 v6, null, s26, 0, s0
	v_add_co_u32 v1, vcc_lo, 0x1000, v5
	s_delay_alu instid0(VALU_DEP_2)
	v_add_co_ci_u32_e32 v2, vcc_lo, 0, v6, vcc_lo
	s_clause 0xe
	flat_load_b64 v[9:10], v[5:6] offset:512
	flat_load_b64 v[13:14], v[5:6] offset:1024
	;; [unrolled: 1-line block ×7, first 2 shown]
	flat_load_b64 v[31:32], v[1:2]
	flat_load_b64 v[27:28], v[1:2] offset:512
	flat_load_b64 v[23:24], v[1:2] offset:1024
	;; [unrolled: 1-line block ×7, first 2 shown]
	v_mov_b32_e32 v1, 0
	v_mov_b32_e32 v2, 0
	s_cbranch_scc1 .LBB278_5
; %bb.2:
	flat_load_b64 v[5:6], v[5:6]
	v_dual_mov_b32 v1, 0 :: v_dual_mov_b32 v36, s19
	v_dual_mov_b32 v2, 0 :: v_dual_mov_b32 v35, s18
	s_set_inst_prefetch_distance 0x1
	.p2align	6
.LBB278_3:                              ; =>This Inner Loop Header: Depth=1
	s_delay_alu instid0(VALU_DEP_1) | instskip(NEXT) | instid1(VALU_DEP_2)
	v_sub_co_u32 v37, vcc_lo, v35, v1
	v_sub_co_ci_u32_e32 v38, vcc_lo, v36, v2, vcc_lo
	s_delay_alu instid0(VALU_DEP_1) | instskip(SKIP_1) | instid1(VALU_DEP_2)
	v_lshrrev_b64 v[39:40], 1, v[37:38]
	v_lshrrev_b64 v[37:38], 6, v[37:38]
	v_add_co_u32 v39, vcc_lo, v39, v1
	s_delay_alu instid0(VALU_DEP_3) | instskip(NEXT) | instid1(VALU_DEP_2)
	v_add_co_ci_u32_e32 v40, vcc_lo, v40, v2, vcc_lo
	v_add_co_u32 v37, vcc_lo, v39, v37
	s_delay_alu instid0(VALU_DEP_2) | instskip(NEXT) | instid1(VALU_DEP_1)
	v_add_co_ci_u32_e32 v38, vcc_lo, v40, v38, vcc_lo
	v_lshlrev_b64 v[39:40], 3, v[37:38]
	s_delay_alu instid0(VALU_DEP_1) | instskip(NEXT) | instid1(VALU_DEP_2)
	v_add_co_u32 v39, vcc_lo, s16, v39
	v_add_co_ci_u32_e32 v40, vcc_lo, s17, v40, vcc_lo
	v_add_co_u32 v41, vcc_lo, v37, 1
	global_load_b64 v[39:40], v[39:40], off
	s_waitcnt vmcnt(0) lgkmcnt(0)
	v_cmp_lt_u64_e64 s0, v[39:40], v[5:6]
	v_add_co_ci_u32_e32 v39, vcc_lo, 0, v38, vcc_lo
	s_delay_alu instid0(VALU_DEP_2) | instskip(SKIP_1) | instid1(VALU_DEP_3)
	v_cndmask_b32_e64 v36, v38, v36, s0
	v_cndmask_b32_e64 v35, v37, v35, s0
	;; [unrolled: 1-line block ×4, first 2 shown]
	s_delay_alu instid0(VALU_DEP_1) | instskip(SKIP_1) | instid1(SALU_CYCLE_1)
	v_cmp_ge_u64_e32 vcc_lo, v[1:2], v[35:36]
	s_or_b32 s2, vcc_lo, s2
	s_and_not1_b32 exec_lo, exec_lo, s2
	s_cbranch_execnz .LBB278_3
; %bb.4:
	s_set_inst_prefetch_distance 0x2
	s_or_b32 exec_lo, exec_lo, s2
.LBB278_5:
	v_mov_b32_e32 v5, 0
	v_cndmask_b32_e64 v2, 0, 1, s1
	v_mov_b32_e32 v6, 0
	s_and_not1_b32 vcc_lo, exec_lo, s1
	s_cbranch_vccnz .LBB278_9
; %bb.6:
	v_dual_mov_b32 v36, s19 :: v_dual_mov_b32 v35, s18
	s_mov_b32 s1, 0
	s_set_inst_prefetch_distance 0x1
	.p2align	6
.LBB278_7:                              ; =>This Inner Loop Header: Depth=1
	s_delay_alu instid0(VALU_DEP_1) | instskip(NEXT) | instid1(VALU_DEP_2)
	v_sub_co_u32 v37, vcc_lo, v35, v5
	v_sub_co_ci_u32_e32 v38, vcc_lo, v36, v6, vcc_lo
	s_delay_alu instid0(VALU_DEP_1) | instskip(SKIP_1) | instid1(VALU_DEP_2)
	v_lshrrev_b64 v[39:40], 1, v[37:38]
	v_lshrrev_b64 v[37:38], 6, v[37:38]
	v_add_co_u32 v39, vcc_lo, v39, v5
	s_delay_alu instid0(VALU_DEP_3) | instskip(NEXT) | instid1(VALU_DEP_2)
	v_add_co_ci_u32_e32 v40, vcc_lo, v40, v6, vcc_lo
	v_add_co_u32 v37, vcc_lo, v39, v37
	s_delay_alu instid0(VALU_DEP_2) | instskip(NEXT) | instid1(VALU_DEP_1)
	v_add_co_ci_u32_e32 v38, vcc_lo, v40, v38, vcc_lo
	v_lshlrev_b64 v[39:40], 3, v[37:38]
	s_delay_alu instid0(VALU_DEP_1) | instskip(NEXT) | instid1(VALU_DEP_2)
	v_add_co_u32 v39, vcc_lo, s16, v39
	v_add_co_ci_u32_e32 v40, vcc_lo, s17, v40, vcc_lo
	v_add_co_u32 v41, vcc_lo, v37, 1
	global_load_b64 v[39:40], v[39:40], off
	s_waitcnt vmcnt(0) lgkmcnt(14)
	v_cmp_lt_u64_e64 s0, v[39:40], v[9:10]
	v_add_co_ci_u32_e32 v39, vcc_lo, 0, v38, vcc_lo
	s_delay_alu instid0(VALU_DEP_2) | instskip(SKIP_1) | instid1(VALU_DEP_3)
	v_cndmask_b32_e64 v36, v38, v36, s0
	v_cndmask_b32_e64 v35, v37, v35, s0
	;; [unrolled: 1-line block ×4, first 2 shown]
	s_delay_alu instid0(VALU_DEP_1) | instskip(SKIP_1) | instid1(SALU_CYCLE_1)
	v_cmp_ge_u64_e32 vcc_lo, v[5:6], v[35:36]
	s_or_b32 s1, vcc_lo, s1
	s_and_not1_b32 exec_lo, exec_lo, s1
	s_cbranch_execnz .LBB278_7
; %bb.8:
	s_set_inst_prefetch_distance 0x2
	s_or_b32 exec_lo, exec_lo, s1
.LBB278_9:
	s_delay_alu instid0(VALU_DEP_2)
	v_cmp_ne_u32_e32 vcc_lo, 1, v2
	s_waitcnt vmcnt(14) lgkmcnt(14)
	v_mov_b32_e32 v9, 0
	v_mov_b32_e32 v10, 0
	s_cbranch_vccnz .LBB278_13
; %bb.10:
	v_dual_mov_b32 v36, s19 :: v_dual_mov_b32 v35, s18
	s_mov_b32 s1, 0
	s_set_inst_prefetch_distance 0x1
	.p2align	6
.LBB278_11:                             ; =>This Inner Loop Header: Depth=1
	s_delay_alu instid0(VALU_DEP_1) | instskip(NEXT) | instid1(VALU_DEP_2)
	v_sub_co_u32 v37, vcc_lo, v35, v9
	v_sub_co_ci_u32_e32 v38, vcc_lo, v36, v10, vcc_lo
	s_delay_alu instid0(VALU_DEP_1) | instskip(SKIP_1) | instid1(VALU_DEP_2)
	v_lshrrev_b64 v[39:40], 1, v[37:38]
	v_lshrrev_b64 v[37:38], 6, v[37:38]
	v_add_co_u32 v6, vcc_lo, v39, v9
	s_delay_alu instid0(VALU_DEP_3) | instskip(NEXT) | instid1(VALU_DEP_2)
	v_add_co_ci_u32_e32 v39, vcc_lo, v40, v10, vcc_lo
	v_add_co_u32 v37, vcc_lo, v6, v37
	s_delay_alu instid0(VALU_DEP_2) | instskip(NEXT) | instid1(VALU_DEP_1)
	v_add_co_ci_u32_e32 v38, vcc_lo, v39, v38, vcc_lo
	v_lshlrev_b64 v[39:40], 3, v[37:38]
	s_delay_alu instid0(VALU_DEP_1) | instskip(NEXT) | instid1(VALU_DEP_2)
	v_add_co_u32 v39, vcc_lo, s16, v39
	v_add_co_ci_u32_e32 v40, vcc_lo, s17, v40, vcc_lo
	v_add_co_u32 v6, vcc_lo, v37, 1
	global_load_b64 v[39:40], v[39:40], off
	s_waitcnt vmcnt(0) lgkmcnt(13)
	v_cmp_lt_u64_e64 s0, v[39:40], v[13:14]
	v_add_co_ci_u32_e32 v39, vcc_lo, 0, v38, vcc_lo
	s_delay_alu instid0(VALU_DEP_2) | instskip(SKIP_1) | instid1(VALU_DEP_3)
	v_cndmask_b32_e64 v36, v38, v36, s0
	v_cndmask_b32_e64 v35, v37, v35, s0
	;; [unrolled: 1-line block ×4, first 2 shown]
	s_delay_alu instid0(VALU_DEP_1) | instskip(SKIP_1) | instid1(SALU_CYCLE_1)
	v_cmp_ge_u64_e32 vcc_lo, v[9:10], v[35:36]
	s_or_b32 s1, vcc_lo, s1
	s_and_not1_b32 exec_lo, exec_lo, s1
	s_cbranch_execnz .LBB278_11
; %bb.12:
	s_set_inst_prefetch_distance 0x2
	s_or_b32 exec_lo, exec_lo, s1
.LBB278_13:
	v_cmp_ne_u32_e32 vcc_lo, 1, v2
	s_waitcnt vmcnt(13) lgkmcnt(13)
	v_mov_b32_e32 v13, 0
	v_mov_b32_e32 v14, 0
	s_cbranch_vccnz .LBB278_17
; %bb.14:
	v_dual_mov_b32 v36, s19 :: v_dual_mov_b32 v35, s18
	s_mov_b32 s1, 0
	s_set_inst_prefetch_distance 0x1
	.p2align	6
.LBB278_15:                             ; =>This Inner Loop Header: Depth=1
	s_delay_alu instid0(VALU_DEP_1) | instskip(NEXT) | instid1(VALU_DEP_2)
	v_sub_co_u32 v37, vcc_lo, v35, v13
	v_sub_co_ci_u32_e32 v38, vcc_lo, v36, v14, vcc_lo
	s_delay_alu instid0(VALU_DEP_1) | instskip(SKIP_1) | instid1(VALU_DEP_2)
	v_lshrrev_b64 v[39:40], 1, v[37:38]
	v_lshrrev_b64 v[37:38], 6, v[37:38]
	v_add_co_u32 v6, vcc_lo, v39, v13
	s_delay_alu instid0(VALU_DEP_3) | instskip(NEXT) | instid1(VALU_DEP_2)
	v_add_co_ci_u32_e32 v10, vcc_lo, v40, v14, vcc_lo
	v_add_co_u32 v37, vcc_lo, v6, v37
	s_delay_alu instid0(VALU_DEP_2) | instskip(NEXT) | instid1(VALU_DEP_1)
	v_add_co_ci_u32_e32 v38, vcc_lo, v10, v38, vcc_lo
	v_lshlrev_b64 v[39:40], 3, v[37:38]
	s_delay_alu instid0(VALU_DEP_1) | instskip(NEXT) | instid1(VALU_DEP_2)
	v_add_co_u32 v39, vcc_lo, s16, v39
	v_add_co_ci_u32_e32 v40, vcc_lo, s17, v40, vcc_lo
	v_add_co_u32 v6, vcc_lo, v37, 1
	v_add_co_ci_u32_e32 v10, vcc_lo, 0, v38, vcc_lo
	global_load_b64 v[39:40], v[39:40], off
	s_waitcnt vmcnt(0) lgkmcnt(12)
	v_cmp_lt_u64_e64 s0, v[39:40], v[17:18]
	s_delay_alu instid0(VALU_DEP_1) | instskip(SKIP_3) | instid1(VALU_DEP_1)
	v_cndmask_b32_e64 v36, v38, v36, s0
	v_cndmask_b32_e64 v35, v37, v35, s0
	;; [unrolled: 1-line block ×4, first 2 shown]
	v_cmp_ge_u64_e32 vcc_lo, v[13:14], v[35:36]
	s_or_b32 s1, vcc_lo, s1
	s_delay_alu instid0(SALU_CYCLE_1)
	s_and_not1_b32 exec_lo, exec_lo, s1
	s_cbranch_execnz .LBB278_15
; %bb.16:
	s_set_inst_prefetch_distance 0x2
	s_or_b32 exec_lo, exec_lo, s1
.LBB278_17:
	v_cmp_ne_u32_e32 vcc_lo, 1, v2
	s_waitcnt vmcnt(12) lgkmcnt(12)
	v_mov_b32_e32 v17, 0
	v_mov_b32_e32 v18, 0
	s_cbranch_vccnz .LBB278_21
; %bb.18:
	v_dual_mov_b32 v36, s19 :: v_dual_mov_b32 v35, s18
	s_mov_b32 s1, 0
	s_set_inst_prefetch_distance 0x1
	.p2align	6
.LBB278_19:                             ; =>This Inner Loop Header: Depth=1
	s_delay_alu instid0(VALU_DEP_1) | instskip(NEXT) | instid1(VALU_DEP_2)
	v_sub_co_u32 v37, vcc_lo, v35, v17
	v_sub_co_ci_u32_e32 v38, vcc_lo, v36, v18, vcc_lo
	s_delay_alu instid0(VALU_DEP_1) | instskip(SKIP_1) | instid1(VALU_DEP_2)
	v_lshrrev_b64 v[39:40], 1, v[37:38]
	v_lshrrev_b64 v[37:38], 6, v[37:38]
	v_add_co_u32 v6, vcc_lo, v39, v17
	s_delay_alu instid0(VALU_DEP_3) | instskip(NEXT) | instid1(VALU_DEP_2)
	v_add_co_ci_u32_e32 v10, vcc_lo, v40, v18, vcc_lo
	v_add_co_u32 v37, vcc_lo, v6, v37
	s_delay_alu instid0(VALU_DEP_2) | instskip(NEXT) | instid1(VALU_DEP_1)
	v_add_co_ci_u32_e32 v38, vcc_lo, v10, v38, vcc_lo
	v_lshlrev_b64 v[39:40], 3, v[37:38]
	s_delay_alu instid0(VALU_DEP_1) | instskip(NEXT) | instid1(VALU_DEP_2)
	v_add_co_u32 v39, vcc_lo, s16, v39
	v_add_co_ci_u32_e32 v40, vcc_lo, s17, v40, vcc_lo
	v_add_co_u32 v6, vcc_lo, v37, 1
	v_add_co_ci_u32_e32 v10, vcc_lo, 0, v38, vcc_lo
	global_load_b64 v[39:40], v[39:40], off
	s_waitcnt vmcnt(0) lgkmcnt(11)
	v_cmp_lt_u64_e64 s0, v[39:40], v[21:22]
	s_delay_alu instid0(VALU_DEP_1) | instskip(SKIP_3) | instid1(VALU_DEP_1)
	v_cndmask_b32_e64 v36, v38, v36, s0
	v_cndmask_b32_e64 v35, v37, v35, s0
	;; [unrolled: 1-line block ×4, first 2 shown]
	v_cmp_ge_u64_e32 vcc_lo, v[17:18], v[35:36]
	s_or_b32 s1, vcc_lo, s1
	s_delay_alu instid0(SALU_CYCLE_1)
	s_and_not1_b32 exec_lo, exec_lo, s1
	s_cbranch_execnz .LBB278_19
; %bb.20:
	s_set_inst_prefetch_distance 0x2
	s_or_b32 exec_lo, exec_lo, s1
.LBB278_21:
	v_cmp_ne_u32_e32 vcc_lo, 1, v2
	s_waitcnt vmcnt(11) lgkmcnt(11)
	v_mov_b32_e32 v21, 0
	v_mov_b32_e32 v22, 0
	s_cbranch_vccnz .LBB278_25
; %bb.22:
	v_dual_mov_b32 v36, s19 :: v_dual_mov_b32 v35, s18
	s_mov_b32 s1, 0
	s_set_inst_prefetch_distance 0x1
	.p2align	6
.LBB278_23:                             ; =>This Inner Loop Header: Depth=1
	s_delay_alu instid0(VALU_DEP_1) | instskip(NEXT) | instid1(VALU_DEP_2)
	v_sub_co_u32 v37, vcc_lo, v35, v21
	v_sub_co_ci_u32_e32 v38, vcc_lo, v36, v22, vcc_lo
	s_delay_alu instid0(VALU_DEP_1) | instskip(SKIP_1) | instid1(VALU_DEP_2)
	v_lshrrev_b64 v[39:40], 1, v[37:38]
	v_lshrrev_b64 v[37:38], 6, v[37:38]
	v_add_co_u32 v6, vcc_lo, v39, v21
	s_delay_alu instid0(VALU_DEP_3) | instskip(NEXT) | instid1(VALU_DEP_2)
	v_add_co_ci_u32_e32 v10, vcc_lo, v40, v22, vcc_lo
	v_add_co_u32 v37, vcc_lo, v6, v37
	s_delay_alu instid0(VALU_DEP_2) | instskip(NEXT) | instid1(VALU_DEP_1)
	v_add_co_ci_u32_e32 v38, vcc_lo, v10, v38, vcc_lo
	v_lshlrev_b64 v[39:40], 3, v[37:38]
	s_delay_alu instid0(VALU_DEP_1) | instskip(NEXT) | instid1(VALU_DEP_2)
	v_add_co_u32 v39, vcc_lo, s16, v39
	v_add_co_ci_u32_e32 v40, vcc_lo, s17, v40, vcc_lo
	v_add_co_u32 v6, vcc_lo, v37, 1
	v_add_co_ci_u32_e32 v10, vcc_lo, 0, v38, vcc_lo
	global_load_b64 v[39:40], v[39:40], off
	s_waitcnt vmcnt(0) lgkmcnt(10)
	v_cmp_lt_u64_e64 s0, v[39:40], v[25:26]
	s_delay_alu instid0(VALU_DEP_1) | instskip(SKIP_3) | instid1(VALU_DEP_1)
	v_cndmask_b32_e64 v36, v38, v36, s0
	v_cndmask_b32_e64 v35, v37, v35, s0
	;; [unrolled: 1-line block ×4, first 2 shown]
	v_cmp_ge_u64_e32 vcc_lo, v[21:22], v[35:36]
	s_or_b32 s1, vcc_lo, s1
	s_delay_alu instid0(SALU_CYCLE_1)
	s_and_not1_b32 exec_lo, exec_lo, s1
	s_cbranch_execnz .LBB278_23
; %bb.24:
	s_set_inst_prefetch_distance 0x2
	s_or_b32 exec_lo, exec_lo, s1
.LBB278_25:
	v_cmp_ne_u32_e32 vcc_lo, 1, v2
	s_waitcnt vmcnt(10) lgkmcnt(10)
	v_mov_b32_e32 v25, 0
	v_mov_b32_e32 v26, 0
	s_cbranch_vccnz .LBB278_29
; %bb.26:
	v_dual_mov_b32 v36, s19 :: v_dual_mov_b32 v35, s18
	s_mov_b32 s1, 0
	s_set_inst_prefetch_distance 0x1
	.p2align	6
.LBB278_27:                             ; =>This Inner Loop Header: Depth=1
	s_delay_alu instid0(VALU_DEP_1) | instskip(NEXT) | instid1(VALU_DEP_2)
	v_sub_co_u32 v37, vcc_lo, v35, v25
	v_sub_co_ci_u32_e32 v38, vcc_lo, v36, v26, vcc_lo
	s_delay_alu instid0(VALU_DEP_1) | instskip(SKIP_1) | instid1(VALU_DEP_2)
	v_lshrrev_b64 v[39:40], 1, v[37:38]
	v_lshrrev_b64 v[37:38], 6, v[37:38]
	v_add_co_u32 v6, vcc_lo, v39, v25
	s_delay_alu instid0(VALU_DEP_3) | instskip(NEXT) | instid1(VALU_DEP_2)
	v_add_co_ci_u32_e32 v10, vcc_lo, v40, v26, vcc_lo
	v_add_co_u32 v37, vcc_lo, v6, v37
	s_delay_alu instid0(VALU_DEP_2) | instskip(NEXT) | instid1(VALU_DEP_1)
	v_add_co_ci_u32_e32 v38, vcc_lo, v10, v38, vcc_lo
	v_lshlrev_b64 v[39:40], 3, v[37:38]
	s_delay_alu instid0(VALU_DEP_1) | instskip(NEXT) | instid1(VALU_DEP_2)
	v_add_co_u32 v39, vcc_lo, s16, v39
	v_add_co_ci_u32_e32 v40, vcc_lo, s17, v40, vcc_lo
	v_add_co_u32 v6, vcc_lo, v37, 1
	v_add_co_ci_u32_e32 v10, vcc_lo, 0, v38, vcc_lo
	global_load_b64 v[39:40], v[39:40], off
	s_waitcnt vmcnt(0) lgkmcnt(9)
	v_cmp_lt_u64_e64 s0, v[39:40], v[29:30]
	s_delay_alu instid0(VALU_DEP_1) | instskip(SKIP_3) | instid1(VALU_DEP_1)
	v_cndmask_b32_e64 v36, v38, v36, s0
	v_cndmask_b32_e64 v35, v37, v35, s0
	;; [unrolled: 1-line block ×4, first 2 shown]
	v_cmp_ge_u64_e32 vcc_lo, v[25:26], v[35:36]
	s_or_b32 s1, vcc_lo, s1
	s_delay_alu instid0(SALU_CYCLE_1)
	s_and_not1_b32 exec_lo, exec_lo, s1
	s_cbranch_execnz .LBB278_27
; %bb.28:
	s_set_inst_prefetch_distance 0x2
	s_or_b32 exec_lo, exec_lo, s1
.LBB278_29:
	v_cmp_ne_u32_e32 vcc_lo, 1, v2
	s_waitcnt vmcnt(9) lgkmcnt(9)
	v_mov_b32_e32 v29, 0
	v_mov_b32_e32 v30, 0
	s_cbranch_vccnz .LBB278_33
; %bb.30:
	v_dual_mov_b32 v36, s19 :: v_dual_mov_b32 v35, s18
	s_mov_b32 s1, 0
	s_set_inst_prefetch_distance 0x1
	.p2align	6
.LBB278_31:                             ; =>This Inner Loop Header: Depth=1
	s_delay_alu instid0(VALU_DEP_1) | instskip(NEXT) | instid1(VALU_DEP_2)
	v_sub_co_u32 v37, vcc_lo, v35, v29
	v_sub_co_ci_u32_e32 v38, vcc_lo, v36, v30, vcc_lo
	s_delay_alu instid0(VALU_DEP_1) | instskip(SKIP_1) | instid1(VALU_DEP_2)
	v_lshrrev_b64 v[39:40], 1, v[37:38]
	v_lshrrev_b64 v[37:38], 6, v[37:38]
	v_add_co_u32 v6, vcc_lo, v39, v29
	s_delay_alu instid0(VALU_DEP_3) | instskip(NEXT) | instid1(VALU_DEP_2)
	v_add_co_ci_u32_e32 v10, vcc_lo, v40, v30, vcc_lo
	v_add_co_u32 v37, vcc_lo, v6, v37
	s_delay_alu instid0(VALU_DEP_2) | instskip(NEXT) | instid1(VALU_DEP_1)
	v_add_co_ci_u32_e32 v38, vcc_lo, v10, v38, vcc_lo
	v_lshlrev_b64 v[39:40], 3, v[37:38]
	s_delay_alu instid0(VALU_DEP_1) | instskip(NEXT) | instid1(VALU_DEP_2)
	v_add_co_u32 v39, vcc_lo, s16, v39
	v_add_co_ci_u32_e32 v40, vcc_lo, s17, v40, vcc_lo
	v_add_co_u32 v6, vcc_lo, v37, 1
	v_add_co_ci_u32_e32 v10, vcc_lo, 0, v38, vcc_lo
	global_load_b64 v[39:40], v[39:40], off
	s_waitcnt vmcnt(0) lgkmcnt(8)
	v_cmp_lt_u64_e64 s0, v[39:40], v[33:34]
	s_delay_alu instid0(VALU_DEP_1) | instskip(SKIP_3) | instid1(VALU_DEP_1)
	v_cndmask_b32_e64 v36, v38, v36, s0
	v_cndmask_b32_e64 v35, v37, v35, s0
	;; [unrolled: 1-line block ×4, first 2 shown]
	v_cmp_ge_u64_e32 vcc_lo, v[29:30], v[35:36]
	s_or_b32 s1, vcc_lo, s1
	s_delay_alu instid0(SALU_CYCLE_1)
	s_and_not1_b32 exec_lo, exec_lo, s1
	s_cbranch_execnz .LBB278_31
; %bb.32:
	s_set_inst_prefetch_distance 0x2
	s_or_b32 exec_lo, exec_lo, s1
.LBB278_33:
	v_cmp_ne_u32_e32 vcc_lo, 1, v2
	s_cbranch_vccnz .LBB278_59
; %bb.34:
	s_waitcnt vmcnt(8) lgkmcnt(8)
	v_dual_mov_b32 v33, 0 :: v_dual_mov_b32 v36, s19
	v_dual_mov_b32 v34, 0 :: v_dual_mov_b32 v35, s18
	s_mov_b32 s1, 0
	s_set_inst_prefetch_distance 0x1
	.p2align	6
.LBB278_35:                             ; =>This Inner Loop Header: Depth=1
	s_delay_alu instid0(VALU_DEP_1) | instskip(NEXT) | instid1(VALU_DEP_2)
	v_sub_co_u32 v37, vcc_lo, v35, v33
	v_sub_co_ci_u32_e32 v38, vcc_lo, v36, v34, vcc_lo
	s_delay_alu instid0(VALU_DEP_1) | instskip(SKIP_1) | instid1(VALU_DEP_2)
	v_lshrrev_b64 v[39:40], 1, v[37:38]
	v_lshrrev_b64 v[37:38], 6, v[37:38]
	v_add_co_u32 v6, vcc_lo, v39, v33
	s_delay_alu instid0(VALU_DEP_3) | instskip(NEXT) | instid1(VALU_DEP_2)
	v_add_co_ci_u32_e32 v10, vcc_lo, v40, v34, vcc_lo
	v_add_co_u32 v37, vcc_lo, v6, v37
	s_delay_alu instid0(VALU_DEP_2) | instskip(NEXT) | instid1(VALU_DEP_1)
	v_add_co_ci_u32_e32 v38, vcc_lo, v10, v38, vcc_lo
	v_lshlrev_b64 v[39:40], 3, v[37:38]
	s_delay_alu instid0(VALU_DEP_1) | instskip(NEXT) | instid1(VALU_DEP_2)
	v_add_co_u32 v39, vcc_lo, s16, v39
	v_add_co_ci_u32_e32 v40, vcc_lo, s17, v40, vcc_lo
	v_add_co_u32 v6, vcc_lo, v37, 1
	v_add_co_ci_u32_e32 v10, vcc_lo, 0, v38, vcc_lo
	global_load_b64 v[39:40], v[39:40], off
	s_waitcnt vmcnt(0) lgkmcnt(7)
	v_cmp_lt_u64_e64 s0, v[39:40], v[31:32]
	s_delay_alu instid0(VALU_DEP_1) | instskip(SKIP_3) | instid1(VALU_DEP_1)
	v_cndmask_b32_e64 v36, v38, v36, s0
	v_cndmask_b32_e64 v35, v37, v35, s0
	;; [unrolled: 1-line block ×4, first 2 shown]
	v_cmp_ge_u64_e32 vcc_lo, v[33:34], v[35:36]
	s_or_b32 s1, vcc_lo, s1
	s_delay_alu instid0(SALU_CYCLE_1)
	s_and_not1_b32 exec_lo, exec_lo, s1
	s_cbranch_execnz .LBB278_35
; %bb.36:
	s_set_inst_prefetch_distance 0x2
	s_or_b32 exec_lo, exec_lo, s1
	v_cmp_ne_u32_e32 vcc_lo, 1, v2
	s_cbranch_vccnz .LBB278_60
.LBB278_37:
	s_waitcnt vmcnt(7) lgkmcnt(7)
	v_dual_mov_b32 v30, 0 :: v_dual_mov_b32 v35, s19
	v_dual_mov_b32 v31, 0 :: v_dual_mov_b32 v34, s18
	s_mov_b32 s1, 0
	s_set_inst_prefetch_distance 0x1
	.p2align	6
.LBB278_38:                             ; =>This Inner Loop Header: Depth=1
	s_delay_alu instid0(VALU_DEP_1) | instskip(NEXT) | instid1(VALU_DEP_2)
	v_sub_co_u32 v36, vcc_lo, v34, v30
	v_sub_co_ci_u32_e32 v37, vcc_lo, v35, v31, vcc_lo
	s_delay_alu instid0(VALU_DEP_1) | instskip(SKIP_1) | instid1(VALU_DEP_2)
	v_lshrrev_b64 v[38:39], 1, v[36:37]
	v_lshrrev_b64 v[36:37], 6, v[36:37]
	v_add_co_u32 v6, vcc_lo, v38, v30
	s_delay_alu instid0(VALU_DEP_3) | instskip(NEXT) | instid1(VALU_DEP_2)
	v_add_co_ci_u32_e32 v10, vcc_lo, v39, v31, vcc_lo
	v_add_co_u32 v36, vcc_lo, v6, v36
	s_delay_alu instid0(VALU_DEP_2) | instskip(NEXT) | instid1(VALU_DEP_1)
	v_add_co_ci_u32_e32 v37, vcc_lo, v10, v37, vcc_lo
	v_lshlrev_b64 v[38:39], 3, v[36:37]
	s_delay_alu instid0(VALU_DEP_1) | instskip(NEXT) | instid1(VALU_DEP_2)
	v_add_co_u32 v38, vcc_lo, s16, v38
	v_add_co_ci_u32_e32 v39, vcc_lo, s17, v39, vcc_lo
	v_add_co_u32 v6, vcc_lo, v36, 1
	v_add_co_ci_u32_e32 v10, vcc_lo, 0, v37, vcc_lo
	global_load_b64 v[38:39], v[38:39], off
	s_waitcnt vmcnt(0) lgkmcnt(6)
	v_cmp_lt_u64_e64 s0, v[38:39], v[27:28]
	s_delay_alu instid0(VALU_DEP_1) | instskip(SKIP_3) | instid1(VALU_DEP_1)
	v_cndmask_b32_e64 v35, v37, v35, s0
	v_cndmask_b32_e64 v34, v36, v34, s0
	;; [unrolled: 1-line block ×4, first 2 shown]
	v_cmp_ge_u64_e32 vcc_lo, v[30:31], v[34:35]
	s_or_b32 s1, vcc_lo, s1
	s_delay_alu instid0(SALU_CYCLE_1)
	s_and_not1_b32 exec_lo, exec_lo, s1
	s_cbranch_execnz .LBB278_38
; %bb.39:
	s_set_inst_prefetch_distance 0x2
	s_or_b32 exec_lo, exec_lo, s1
	v_cmp_ne_u32_e32 vcc_lo, 1, v2
	s_cbranch_vccnz .LBB278_61
.LBB278_40:
	s_waitcnt vmcnt(6) lgkmcnt(6)
	v_mov_b32_e32 v26, 0
	v_dual_mov_b32 v27, 0 :: v_dual_mov_b32 v32, s19
	v_mov_b32_e32 v31, s18
	s_mov_b32 s1, 0
	s_set_inst_prefetch_distance 0x1
	.p2align	6
.LBB278_41:                             ; =>This Inner Loop Header: Depth=1
	s_delay_alu instid0(VALU_DEP_1) | instskip(SKIP_1) | instid1(VALU_DEP_1)
	v_sub_co_u32 v34, vcc_lo, v31, v26
	v_sub_co_ci_u32_e32 v35, vcc_lo, v32, v27, vcc_lo
	v_lshrrev_b64 v[36:37], 1, v[34:35]
	v_lshrrev_b64 v[34:35], 6, v[34:35]
	s_delay_alu instid0(VALU_DEP_2) | instskip(NEXT) | instid1(VALU_DEP_3)
	v_add_co_u32 v6, vcc_lo, v36, v26
	v_add_co_ci_u32_e32 v10, vcc_lo, v37, v27, vcc_lo
	s_delay_alu instid0(VALU_DEP_2) | instskip(NEXT) | instid1(VALU_DEP_2)
	v_add_co_u32 v34, vcc_lo, v6, v34
	v_add_co_ci_u32_e32 v35, vcc_lo, v10, v35, vcc_lo
	s_delay_alu instid0(VALU_DEP_1) | instskip(NEXT) | instid1(VALU_DEP_1)
	v_lshlrev_b64 v[36:37], 3, v[34:35]
	v_add_co_u32 v36, vcc_lo, s16, v36
	s_delay_alu instid0(VALU_DEP_2)
	v_add_co_ci_u32_e32 v37, vcc_lo, s17, v37, vcc_lo
	v_add_co_u32 v6, vcc_lo, v34, 1
	v_add_co_ci_u32_e32 v10, vcc_lo, 0, v35, vcc_lo
	global_load_b64 v[36:37], v[36:37], off
	s_waitcnt vmcnt(0) lgkmcnt(5)
	v_cmp_lt_u64_e64 s0, v[36:37], v[23:24]
	s_delay_alu instid0(VALU_DEP_1) | instskip(SKIP_3) | instid1(VALU_DEP_1)
	v_cndmask_b32_e64 v32, v35, v32, s0
	v_cndmask_b32_e64 v31, v34, v31, s0
	;; [unrolled: 1-line block ×4, first 2 shown]
	v_cmp_ge_u64_e32 vcc_lo, v[26:27], v[31:32]
	s_or_b32 s1, vcc_lo, s1
	s_delay_alu instid0(SALU_CYCLE_1)
	s_and_not1_b32 exec_lo, exec_lo, s1
	s_cbranch_execnz .LBB278_41
; %bb.42:
	s_set_inst_prefetch_distance 0x2
	s_or_b32 exec_lo, exec_lo, s1
	v_cmp_ne_u32_e32 vcc_lo, 1, v2
	s_cbranch_vccnz .LBB278_62
.LBB278_43:
	s_waitcnt vmcnt(5) lgkmcnt(5)
	v_mov_b32_e32 v22, 0
	v_dual_mov_b32 v23, 0 :: v_dual_mov_b32 v28, s19
	v_mov_b32_e32 v27, s18
	s_mov_b32 s1, 0
	s_set_inst_prefetch_distance 0x1
	.p2align	6
.LBB278_44:                             ; =>This Inner Loop Header: Depth=1
	s_delay_alu instid0(VALU_DEP_1) | instskip(SKIP_1) | instid1(VALU_DEP_1)
	v_sub_co_u32 v31, vcc_lo, v27, v22
	v_sub_co_ci_u32_e32 v32, vcc_lo, v28, v23, vcc_lo
	v_lshrrev_b64 v[34:35], 1, v[31:32]
	v_lshrrev_b64 v[31:32], 6, v[31:32]
	s_delay_alu instid0(VALU_DEP_2) | instskip(NEXT) | instid1(VALU_DEP_3)
	v_add_co_u32 v6, vcc_lo, v34, v22
	v_add_co_ci_u32_e32 v10, vcc_lo, v35, v23, vcc_lo
	s_delay_alu instid0(VALU_DEP_2) | instskip(NEXT) | instid1(VALU_DEP_2)
	v_add_co_u32 v31, vcc_lo, v6, v31
	v_add_co_ci_u32_e32 v32, vcc_lo, v10, v32, vcc_lo
	s_delay_alu instid0(VALU_DEP_1) | instskip(NEXT) | instid1(VALU_DEP_1)
	v_lshlrev_b64 v[34:35], 3, v[31:32]
	v_add_co_u32 v34, vcc_lo, s16, v34
	s_delay_alu instid0(VALU_DEP_2)
	v_add_co_ci_u32_e32 v35, vcc_lo, s17, v35, vcc_lo
	v_add_co_u32 v6, vcc_lo, v31, 1
	v_add_co_ci_u32_e32 v10, vcc_lo, 0, v32, vcc_lo
	global_load_b64 v[34:35], v[34:35], off
	s_waitcnt vmcnt(0) lgkmcnt(4)
	v_cmp_lt_u64_e64 s0, v[34:35], v[19:20]
	s_delay_alu instid0(VALU_DEP_1) | instskip(SKIP_3) | instid1(VALU_DEP_1)
	v_cndmask_b32_e64 v28, v32, v28, s0
	v_cndmask_b32_e64 v27, v31, v27, s0
	;; [unrolled: 1-line block ×4, first 2 shown]
	v_cmp_ge_u64_e32 vcc_lo, v[22:23], v[27:28]
	s_or_b32 s1, vcc_lo, s1
	s_delay_alu instid0(SALU_CYCLE_1)
	s_and_not1_b32 exec_lo, exec_lo, s1
	s_cbranch_execnz .LBB278_44
; %bb.45:
	s_set_inst_prefetch_distance 0x2
	s_or_b32 exec_lo, exec_lo, s1
	v_cmp_ne_u32_e32 vcc_lo, 1, v2
	s_cbranch_vccnz .LBB278_63
.LBB278_46:
	s_waitcnt vmcnt(4) lgkmcnt(4)
	v_mov_b32_e32 v18, 0
	v_dual_mov_b32 v19, 0 :: v_dual_mov_b32 v24, s19
	v_mov_b32_e32 v23, s18
	s_mov_b32 s1, 0
	s_set_inst_prefetch_distance 0x1
	.p2align	6
.LBB278_47:                             ; =>This Inner Loop Header: Depth=1
	s_delay_alu instid0(VALU_DEP_1) | instskip(SKIP_1) | instid1(VALU_DEP_1)
	v_sub_co_u32 v27, vcc_lo, v23, v18
	v_sub_co_ci_u32_e32 v28, vcc_lo, v24, v19, vcc_lo
	v_lshrrev_b64 v[31:32], 1, v[27:28]
	v_lshrrev_b64 v[27:28], 6, v[27:28]
	s_delay_alu instid0(VALU_DEP_2) | instskip(NEXT) | instid1(VALU_DEP_3)
	v_add_co_u32 v6, vcc_lo, v31, v18
	v_add_co_ci_u32_e32 v10, vcc_lo, v32, v19, vcc_lo
	s_delay_alu instid0(VALU_DEP_2) | instskip(NEXT) | instid1(VALU_DEP_2)
	v_add_co_u32 v27, vcc_lo, v6, v27
	v_add_co_ci_u32_e32 v28, vcc_lo, v10, v28, vcc_lo
	s_delay_alu instid0(VALU_DEP_1) | instskip(NEXT) | instid1(VALU_DEP_1)
	v_lshlrev_b64 v[31:32], 3, v[27:28]
	v_add_co_u32 v31, vcc_lo, s16, v31
	s_delay_alu instid0(VALU_DEP_2)
	v_add_co_ci_u32_e32 v32, vcc_lo, s17, v32, vcc_lo
	v_add_co_u32 v6, vcc_lo, v27, 1
	v_add_co_ci_u32_e32 v10, vcc_lo, 0, v28, vcc_lo
	global_load_b64 v[31:32], v[31:32], off
	s_waitcnt vmcnt(0) lgkmcnt(3)
	v_cmp_lt_u64_e64 s0, v[31:32], v[15:16]
	s_delay_alu instid0(VALU_DEP_1) | instskip(SKIP_3) | instid1(VALU_DEP_1)
	v_cndmask_b32_e64 v24, v28, v24, s0
	v_cndmask_b32_e64 v23, v27, v23, s0
	;; [unrolled: 1-line block ×4, first 2 shown]
	v_cmp_ge_u64_e32 vcc_lo, v[18:19], v[23:24]
	s_or_b32 s1, vcc_lo, s1
	s_delay_alu instid0(SALU_CYCLE_1)
	s_and_not1_b32 exec_lo, exec_lo, s1
	s_cbranch_execnz .LBB278_47
; %bb.48:
	s_set_inst_prefetch_distance 0x2
	s_or_b32 exec_lo, exec_lo, s1
	v_cmp_ne_u32_e32 vcc_lo, 1, v2
	s_cbranch_vccnz .LBB278_64
.LBB278_49:
	s_waitcnt vmcnt(3) lgkmcnt(3)
	v_mov_b32_e32 v14, 0
	v_dual_mov_b32 v15, 0 :: v_dual_mov_b32 v20, s19
	v_mov_b32_e32 v19, s18
	s_mov_b32 s1, 0
	s_set_inst_prefetch_distance 0x1
	.p2align	6
.LBB278_50:                             ; =>This Inner Loop Header: Depth=1
	s_delay_alu instid0(VALU_DEP_1) | instskip(SKIP_1) | instid1(VALU_DEP_1)
	v_sub_co_u32 v23, vcc_lo, v19, v14
	v_sub_co_ci_u32_e32 v24, vcc_lo, v20, v15, vcc_lo
	v_lshrrev_b64 v[27:28], 1, v[23:24]
	v_lshrrev_b64 v[23:24], 6, v[23:24]
	s_delay_alu instid0(VALU_DEP_2) | instskip(NEXT) | instid1(VALU_DEP_3)
	v_add_co_u32 v6, vcc_lo, v27, v14
	v_add_co_ci_u32_e32 v10, vcc_lo, v28, v15, vcc_lo
	s_delay_alu instid0(VALU_DEP_2) | instskip(NEXT) | instid1(VALU_DEP_2)
	v_add_co_u32 v23, vcc_lo, v6, v23
	v_add_co_ci_u32_e32 v24, vcc_lo, v10, v24, vcc_lo
	s_delay_alu instid0(VALU_DEP_1) | instskip(NEXT) | instid1(VALU_DEP_1)
	v_lshlrev_b64 v[27:28], 3, v[23:24]
	v_add_co_u32 v27, vcc_lo, s16, v27
	s_delay_alu instid0(VALU_DEP_2)
	v_add_co_ci_u32_e32 v28, vcc_lo, s17, v28, vcc_lo
	v_add_co_u32 v6, vcc_lo, v23, 1
	v_add_co_ci_u32_e32 v10, vcc_lo, 0, v24, vcc_lo
	global_load_b64 v[27:28], v[27:28], off
	s_waitcnt vmcnt(0) lgkmcnt(2)
	v_cmp_lt_u64_e64 s0, v[27:28], v[11:12]
	s_delay_alu instid0(VALU_DEP_1) | instskip(SKIP_3) | instid1(VALU_DEP_1)
	v_cndmask_b32_e64 v20, v24, v20, s0
	v_cndmask_b32_e64 v19, v23, v19, s0
	;; [unrolled: 1-line block ×4, first 2 shown]
	v_cmp_ge_u64_e32 vcc_lo, v[14:15], v[19:20]
	s_or_b32 s1, vcc_lo, s1
	s_delay_alu instid0(SALU_CYCLE_1)
	s_and_not1_b32 exec_lo, exec_lo, s1
	s_cbranch_execnz .LBB278_50
; %bb.51:
	s_set_inst_prefetch_distance 0x2
	s_or_b32 exec_lo, exec_lo, s1
	v_cmp_ne_u32_e32 vcc_lo, 1, v2
	s_cbranch_vccnz .LBB278_65
.LBB278_52:
	s_waitcnt vmcnt(2) lgkmcnt(2)
	v_dual_mov_b32 v10, 0 :: v_dual_mov_b32 v15, s18
	v_dual_mov_b32 v11, 0 :: v_dual_mov_b32 v16, s19
	s_mov_b32 s1, 0
	s_set_inst_prefetch_distance 0x1
	.p2align	6
.LBB278_53:                             ; =>This Inner Loop Header: Depth=1
	s_delay_alu instid0(VALU_DEP_2) | instskip(NEXT) | instid1(VALU_DEP_2)
	v_sub_co_u32 v19, vcc_lo, v15, v10
	v_sub_co_ci_u32_e32 v20, vcc_lo, v16, v11, vcc_lo
	s_delay_alu instid0(VALU_DEP_1) | instskip(SKIP_1) | instid1(VALU_DEP_2)
	v_lshrrev_b64 v[23:24], 1, v[19:20]
	v_lshrrev_b64 v[19:20], 6, v[19:20]
	v_add_co_u32 v6, vcc_lo, v23, v10
	s_delay_alu instid0(VALU_DEP_3) | instskip(NEXT) | instid1(VALU_DEP_2)
	v_add_co_ci_u32_e32 v12, vcc_lo, v24, v11, vcc_lo
	v_add_co_u32 v19, vcc_lo, v6, v19
	s_delay_alu instid0(VALU_DEP_2) | instskip(NEXT) | instid1(VALU_DEP_1)
	v_add_co_ci_u32_e32 v20, vcc_lo, v12, v20, vcc_lo
	v_lshlrev_b64 v[23:24], 3, v[19:20]
	s_delay_alu instid0(VALU_DEP_1) | instskip(NEXT) | instid1(VALU_DEP_2)
	v_add_co_u32 v23, vcc_lo, s16, v23
	v_add_co_ci_u32_e32 v24, vcc_lo, s17, v24, vcc_lo
	v_add_co_u32 v6, vcc_lo, v19, 1
	v_add_co_ci_u32_e32 v12, vcc_lo, 0, v20, vcc_lo
	global_load_b64 v[23:24], v[23:24], off
	s_waitcnt vmcnt(0) lgkmcnt(1)
	v_cmp_lt_u64_e64 s0, v[23:24], v[7:8]
	s_delay_alu instid0(VALU_DEP_1) | instskip(SKIP_3) | instid1(VALU_DEP_1)
	v_cndmask_b32_e64 v16, v20, v16, s0
	v_cndmask_b32_e64 v15, v19, v15, s0
	;; [unrolled: 1-line block ×4, first 2 shown]
	v_cmp_ge_u64_e32 vcc_lo, v[10:11], v[15:16]
	s_or_b32 s1, vcc_lo, s1
	s_delay_alu instid0(SALU_CYCLE_1)
	s_and_not1_b32 exec_lo, exec_lo, s1
	s_cbranch_execnz .LBB278_53
; %bb.54:
	s_set_inst_prefetch_distance 0x2
	s_or_b32 exec_lo, exec_lo, s1
	v_cmp_ne_u32_e32 vcc_lo, 1, v2
	s_cbranch_vccnz .LBB278_66
.LBB278_55:
	s_waitcnt vmcnt(1) lgkmcnt(1)
	v_dual_mov_b32 v6, 0 :: v_dual_mov_b32 v11, s18
	v_dual_mov_b32 v7, 0 :: v_dual_mov_b32 v12, s19
	s_mov_b32 s1, 0
	s_set_inst_prefetch_distance 0x1
	.p2align	6
.LBB278_56:                             ; =>This Inner Loop Header: Depth=1
	s_delay_alu instid0(VALU_DEP_2) | instskip(NEXT) | instid1(VALU_DEP_2)
	v_sub_co_u32 v15, vcc_lo, v11, v6
	v_sub_co_ci_u32_e32 v16, vcc_lo, v12, v7, vcc_lo
	s_delay_alu instid0(VALU_DEP_1) | instskip(SKIP_1) | instid1(VALU_DEP_2)
	v_lshrrev_b64 v[19:20], 1, v[15:16]
	v_lshrrev_b64 v[15:16], 6, v[15:16]
	v_add_co_u32 v2, vcc_lo, v19, v6
	s_delay_alu instid0(VALU_DEP_3) | instskip(NEXT) | instid1(VALU_DEP_2)
	v_add_co_ci_u32_e32 v8, vcc_lo, v20, v7, vcc_lo
	v_add_co_u32 v15, vcc_lo, v2, v15
	s_delay_alu instid0(VALU_DEP_2) | instskip(NEXT) | instid1(VALU_DEP_1)
	v_add_co_ci_u32_e32 v16, vcc_lo, v8, v16, vcc_lo
	v_lshlrev_b64 v[19:20], 3, v[15:16]
	s_delay_alu instid0(VALU_DEP_1) | instskip(NEXT) | instid1(VALU_DEP_2)
	v_add_co_u32 v19, vcc_lo, s16, v19
	v_add_co_ci_u32_e32 v20, vcc_lo, s17, v20, vcc_lo
	v_add_co_u32 v2, vcc_lo, v15, 1
	v_add_co_ci_u32_e32 v8, vcc_lo, 0, v16, vcc_lo
	global_load_b64 v[19:20], v[19:20], off
	s_waitcnt vmcnt(0) lgkmcnt(0)
	v_cmp_lt_u64_e64 s0, v[19:20], v[3:4]
	s_delay_alu instid0(VALU_DEP_1) | instskip(SKIP_3) | instid1(VALU_DEP_1)
	v_cndmask_b32_e64 v12, v16, v12, s0
	v_cndmask_b32_e64 v11, v15, v11, s0
	;; [unrolled: 1-line block ×4, first 2 shown]
	v_cmp_ge_u64_e32 vcc_lo, v[6:7], v[11:12]
	s_or_b32 s1, vcc_lo, s1
	s_delay_alu instid0(SALU_CYCLE_1)
	s_and_not1_b32 exec_lo, exec_lo, s1
	s_cbranch_execnz .LBB278_56
; %bb.57:
	s_set_inst_prefetch_distance 0x2
	s_or_b32 exec_lo, exec_lo, s1
	s_branch .LBB278_67
.LBB278_58:
	s_mov_b32 s24, s21
                                        ; implicit-def: $vgpr6
                                        ; implicit-def: $vgpr2_vgpr3
	s_and_b32 vcc_lo, exec_lo, s0
	s_cbranch_vccnz .LBB278_68
	s_branch .LBB278_197
.LBB278_59:
	s_waitcnt vmcnt(8) lgkmcnt(8)
	v_mov_b32_e32 v33, 0
	v_cmp_ne_u32_e32 vcc_lo, 1, v2
	s_cbranch_vccz .LBB278_37
.LBB278_60:
	v_mov_b32_e32 v30, 0
	v_cmp_ne_u32_e32 vcc_lo, 1, v2
	s_cbranch_vccz .LBB278_40
.LBB278_61:
	v_mov_b32_e32 v26, 0
	v_cmp_ne_u32_e32 vcc_lo, 1, v2
	s_cbranch_vccz .LBB278_43
.LBB278_62:
	v_mov_b32_e32 v22, 0
	v_cmp_ne_u32_e32 vcc_lo, 1, v2
	s_cbranch_vccz .LBB278_46
.LBB278_63:
	v_mov_b32_e32 v18, 0
	v_cmp_ne_u32_e32 vcc_lo, 1, v2
	s_cbranch_vccz .LBB278_49
.LBB278_64:
	v_mov_b32_e32 v14, 0
	v_cmp_ne_u32_e32 vcc_lo, 1, v2
	s_cbranch_vccz .LBB278_52
.LBB278_65:
	v_mov_b32_e32 v10, 0
	v_cmp_ne_u32_e32 vcc_lo, 1, v2
	s_cbranch_vccz .LBB278_55
.LBB278_66:
	v_mov_b32_e32 v6, 0
.LBB278_67:
	v_lshlrev_b32_e32 v2, 2, v0
	s_lshl_b64 s[0:1], s[20:21], 2
	s_mov_b32 s24, -1
	s_add_u32 s0, s22, s0
	s_addc_u32 s1, s23, s1
	v_add_co_u32 v2, s0, s0, v2
	s_waitcnt vmcnt(0) lgkmcnt(0)
	v_add_co_ci_u32_e64 v3, null, s1, 0, s0
	s_clause 0xe
	flat_store_b32 v[2:3], v1
	flat_store_b32 v[2:3], v5 offset:256
	flat_store_b32 v[2:3], v9 offset:512
	;; [unrolled: 1-line block ×14, first 2 shown]
	s_branch .LBB278_197
.LBB278_68:
	s_sub_i32 s15, s8, s20
                                        ; implicit-def: $vgpr5_vgpr6
	s_delay_alu instid0(SALU_CYCLE_1) | instskip(NEXT) | instid1(VALU_DEP_1)
	v_cmp_gt_u32_e64 s0, s15, v0
	s_and_saveexec_b32 s1, s0
	s_cbranch_execz .LBB278_70
; %bb.69:
	v_lshlrev_b32_e32 v1, 3, v0
	s_delay_alu instid0(VALU_DEP_1) | instskip(NEXT) | instid1(VALU_DEP_1)
	v_add_co_u32 v1, s2, s25, v1
	v_add_co_ci_u32_e64 v2, null, s26, 0, s2
	flat_load_b64 v[5:6], v[1:2]
.LBB278_70:
	s_or_b32 exec_lo, exec_lo, s1
	v_or_b32_e32 v1, 64, v0
                                        ; implicit-def: $vgpr11_vgpr12
	s_delay_alu instid0(VALU_DEP_1) | instskip(NEXT) | instid1(VALU_DEP_1)
	v_cmp_gt_u32_e64 s1, s15, v1
	s_and_saveexec_b32 s2, s1
	s_cbranch_execz .LBB278_72
; %bb.71:
	v_lshlrev_b32_e32 v1, 3, v0
	s_delay_alu instid0(VALU_DEP_1) | instskip(NEXT) | instid1(VALU_DEP_1)
	v_add_co_u32 v1, s3, s25, v1
	v_add_co_ci_u32_e64 v2, null, s26, 0, s3
	flat_load_b64 v[11:12], v[1:2] offset:512
.LBB278_72:
	s_or_b32 exec_lo, exec_lo, s2
	v_or_b32_e32 v1, 0x80, v0
                                        ; implicit-def: $vgpr15_vgpr16
	s_delay_alu instid0(VALU_DEP_1) | instskip(NEXT) | instid1(VALU_DEP_1)
	v_cmp_gt_u32_e64 s2, s15, v1
	s_and_saveexec_b32 s3, s2
	s_cbranch_execz .LBB278_74
; %bb.73:
	v_lshlrev_b32_e32 v1, 3, v0
	s_delay_alu instid0(VALU_DEP_1) | instskip(NEXT) | instid1(VALU_DEP_1)
	v_add_co_u32 v1, s4, s25, v1
	v_add_co_ci_u32_e64 v2, null, s26, 0, s4
	flat_load_b64 v[15:16], v[1:2] offset:1024
.LBB278_74:
	s_or_b32 exec_lo, exec_lo, s3
	v_or_b32_e32 v1, 0xc0, v0
                                        ; implicit-def: $vgpr19_vgpr20
	s_delay_alu instid0(VALU_DEP_1) | instskip(NEXT) | instid1(VALU_DEP_1)
	v_cmp_gt_u32_e64 s3, s15, v1
	s_and_saveexec_b32 s4, s3
	s_cbranch_execz .LBB278_76
; %bb.75:
	v_lshlrev_b32_e32 v1, 3, v0
	s_delay_alu instid0(VALU_DEP_1) | instskip(NEXT) | instid1(VALU_DEP_1)
	v_add_co_u32 v1, s5, s25, v1
	v_add_co_ci_u32_e64 v2, null, s26, 0, s5
	flat_load_b64 v[19:20], v[1:2] offset:1536
.LBB278_76:
	s_or_b32 exec_lo, exec_lo, s4
	v_or_b32_e32 v1, 0x100, v0
                                        ; implicit-def: $vgpr23_vgpr24
	s_delay_alu instid0(VALU_DEP_1) | instskip(NEXT) | instid1(VALU_DEP_1)
	v_cmp_gt_u32_e64 s4, s15, v1
	s_and_saveexec_b32 s5, s4
	s_cbranch_execz .LBB278_78
; %bb.77:
	v_lshlrev_b32_e32 v1, 3, v0
	s_delay_alu instid0(VALU_DEP_1) | instskip(NEXT) | instid1(VALU_DEP_1)
	v_add_co_u32 v1, s6, s25, v1
	v_add_co_ci_u32_e64 v2, null, s26, 0, s6
	flat_load_b64 v[23:24], v[1:2] offset:2048
.LBB278_78:
	s_or_b32 exec_lo, exec_lo, s5
	v_or_b32_e32 v1, 0x140, v0
                                        ; implicit-def: $vgpr27_vgpr28
	s_delay_alu instid0(VALU_DEP_1) | instskip(NEXT) | instid1(VALU_DEP_1)
	v_cmp_gt_u32_e64 s5, s15, v1
	s_and_saveexec_b32 s6, s5
	s_cbranch_execz .LBB278_80
; %bb.79:
	v_lshlrev_b32_e32 v1, 3, v0
	s_delay_alu instid0(VALU_DEP_1) | instskip(NEXT) | instid1(VALU_DEP_1)
	v_add_co_u32 v1, s7, s25, v1
	v_add_co_ci_u32_e64 v2, null, s26, 0, s7
	flat_load_b64 v[27:28], v[1:2] offset:2560
.LBB278_80:
	s_or_b32 exec_lo, exec_lo, s6
	v_or_b32_e32 v1, 0x180, v0
                                        ; implicit-def: $vgpr31_vgpr32
	s_delay_alu instid0(VALU_DEP_1) | instskip(NEXT) | instid1(VALU_DEP_1)
	v_cmp_gt_u32_e64 s6, s15, v1
	s_and_saveexec_b32 s7, s6
	s_cbranch_execz .LBB278_82
; %bb.81:
	v_lshlrev_b32_e32 v1, 3, v0
	s_delay_alu instid0(VALU_DEP_1) | instskip(NEXT) | instid1(VALU_DEP_1)
	v_add_co_u32 v1, s8, s25, v1
	v_add_co_ci_u32_e64 v2, null, s26, 0, s8
	flat_load_b64 v[31:32], v[1:2] offset:3072
.LBB278_82:
	s_or_b32 exec_lo, exec_lo, s7
	v_or_b32_e32 v1, 0x1c0, v0
                                        ; implicit-def: $vgpr33_vgpr34
	s_delay_alu instid0(VALU_DEP_1) | instskip(NEXT) | instid1(VALU_DEP_1)
	v_cmp_gt_u32_e64 s7, s15, v1
	s_and_saveexec_b32 s8, s7
	s_cbranch_execz .LBB278_84
; %bb.83:
	v_lshlrev_b32_e32 v1, 3, v0
	s_delay_alu instid0(VALU_DEP_1) | instskip(NEXT) | instid1(VALU_DEP_1)
	v_add_co_u32 v1, s9, s25, v1
	v_add_co_ci_u32_e64 v2, null, s26, 0, s9
	flat_load_b64 v[33:34], v[1:2] offset:3584
.LBB278_84:
	s_or_b32 exec_lo, exec_lo, s8
	v_or_b32_e32 v1, 0x200, v0
                                        ; implicit-def: $vgpr29_vgpr30
	s_delay_alu instid0(VALU_DEP_1) | instskip(NEXT) | instid1(VALU_DEP_1)
	v_cmp_gt_u32_e64 s8, s15, v1
	s_and_saveexec_b32 s9, s8
	s_cbranch_execz .LBB278_86
; %bb.85:
	v_lshlrev_b32_e32 v1, 3, v1
	s_delay_alu instid0(VALU_DEP_1) | instskip(NEXT) | instid1(VALU_DEP_1)
	v_add_co_u32 v1, s10, s25, v1
	v_add_co_ci_u32_e64 v2, null, s26, 0, s10
	flat_load_b64 v[29:30], v[1:2]
.LBB278_86:
	s_or_b32 exec_lo, exec_lo, s9
	v_or_b32_e32 v1, 0x240, v0
                                        ; implicit-def: $vgpr25_vgpr26
	s_delay_alu instid0(VALU_DEP_1) | instskip(NEXT) | instid1(VALU_DEP_1)
	v_cmp_gt_u32_e64 s9, s15, v1
	s_and_saveexec_b32 s10, s9
	s_cbranch_execz .LBB278_88
; %bb.87:
	v_lshlrev_b32_e32 v1, 3, v1
	s_delay_alu instid0(VALU_DEP_1) | instskip(NEXT) | instid1(VALU_DEP_1)
	v_add_co_u32 v1, s11, s25, v1
	v_add_co_ci_u32_e64 v2, null, s26, 0, s11
	flat_load_b64 v[25:26], v[1:2]
.LBB278_88:
	s_or_b32 exec_lo, exec_lo, s10
	v_or_b32_e32 v1, 0x280, v0
                                        ; implicit-def: $vgpr21_vgpr22
	s_delay_alu instid0(VALU_DEP_1) | instskip(NEXT) | instid1(VALU_DEP_1)
	v_cmp_gt_u32_e64 s10, s15, v1
	s_and_saveexec_b32 s11, s10
	s_cbranch_execz .LBB278_90
; %bb.89:
	v_lshlrev_b32_e32 v1, 3, v1
	s_delay_alu instid0(VALU_DEP_1) | instskip(NEXT) | instid1(VALU_DEP_1)
	v_add_co_u32 v1, s12, s25, v1
	v_add_co_ci_u32_e64 v2, null, s26, 0, s12
	flat_load_b64 v[21:22], v[1:2]
.LBB278_90:
	s_or_b32 exec_lo, exec_lo, s11
	v_or_b32_e32 v1, 0x2c0, v0
                                        ; implicit-def: $vgpr17_vgpr18
	s_delay_alu instid0(VALU_DEP_1) | instskip(NEXT) | instid1(VALU_DEP_1)
	v_cmp_gt_u32_e64 s11, s15, v1
	s_and_saveexec_b32 s12, s11
	s_cbranch_execz .LBB278_92
; %bb.91:
	v_lshlrev_b32_e32 v1, 3, v1
	s_delay_alu instid0(VALU_DEP_1) | instskip(NEXT) | instid1(VALU_DEP_1)
	v_add_co_u32 v1, s13, s25, v1
	v_add_co_ci_u32_e64 v2, null, s26, 0, s13
	flat_load_b64 v[17:18], v[1:2]
.LBB278_92:
	s_or_b32 exec_lo, exec_lo, s12
	v_or_b32_e32 v1, 0x300, v0
                                        ; implicit-def: $vgpr13_vgpr14
	s_delay_alu instid0(VALU_DEP_1) | instskip(NEXT) | instid1(VALU_DEP_1)
	v_cmp_gt_u32_e64 s12, s15, v1
	s_and_saveexec_b32 s13, s12
	s_cbranch_execz .LBB278_94
; %bb.93:
	v_lshlrev_b32_e32 v1, 3, v1
	s_delay_alu instid0(VALU_DEP_1) | instskip(NEXT) | instid1(VALU_DEP_1)
	v_add_co_u32 v1, s14, s25, v1
	v_add_co_ci_u32_e64 v2, null, s26, 0, s14
	flat_load_b64 v[13:14], v[1:2]
.LBB278_94:
	s_or_b32 exec_lo, exec_lo, s13
	v_or_b32_e32 v1, 0x340, v0
                                        ; implicit-def: $vgpr9_vgpr10
	s_delay_alu instid0(VALU_DEP_1) | instskip(NEXT) | instid1(VALU_DEP_1)
	v_cmp_gt_u32_e64 s13, s15, v1
	s_and_saveexec_b32 s14, s13
	s_cbranch_execz .LBB278_96
; %bb.95:
	v_lshlrev_b32_e32 v1, 3, v1
	s_delay_alu instid0(VALU_DEP_1) | instskip(NEXT) | instid1(VALU_DEP_1)
	v_add_co_u32 v1, s24, s25, v1
	v_add_co_ci_u32_e64 v2, null, s26, 0, s24
	flat_load_b64 v[9:10], v[1:2]
.LBB278_96:
	s_or_b32 exec_lo, exec_lo, s14
	v_or_b32_e32 v1, 0x380, v0
                                        ; implicit-def: $vgpr7_vgpr8
	s_delay_alu instid0(VALU_DEP_1) | instskip(NEXT) | instid1(VALU_DEP_1)
	v_cmp_gt_u32_e64 s14, s15, v1
	s_and_saveexec_b32 s24, s14
	s_cbranch_execz .LBB278_98
; %bb.97:
	v_lshlrev_b32_e32 v1, 3, v1
	s_delay_alu instid0(VALU_DEP_1) | instskip(NEXT) | instid1(VALU_DEP_1)
	v_add_co_u32 v1, s27, s25, v1
	v_add_co_ci_u32_e64 v2, null, s26, 0, s27
	flat_load_b64 v[7:8], v[1:2]
.LBB278_98:
	s_or_b32 exec_lo, exec_lo, s24
	v_or_b32_e32 v1, 0x3c0, v0
                                        ; implicit-def: $vgpr3_vgpr4
	s_delay_alu instid0(VALU_DEP_1) | instskip(NEXT) | instid1(VALU_DEP_1)
	v_cmp_gt_u32_e64 s24, s15, v1
	s_and_saveexec_b32 s15, s24
	s_cbranch_execz .LBB278_100
; %bb.99:
	v_lshlrev_b32_e32 v1, 3, v1
	s_delay_alu instid0(VALU_DEP_1) | instskip(NEXT) | instid1(VALU_DEP_1)
	v_add_co_u32 v1, s25, s25, v1
	v_add_co_ci_u32_e64 v2, null, s26, 0, s25
	flat_load_b64 v[3:4], v[1:2]
.LBB278_100:
	s_or_b32 exec_lo, exec_lo, s15
	s_cmp_lg_u64 s[18:19], 0
                                        ; implicit-def: $vgpr1
	s_cselect_b32 s25, -1, 0
	s_and_saveexec_b32 s26, s0
	s_cbranch_execz .LBB278_105
; %bb.101:
	v_mov_b32_e32 v1, 0
	v_mov_b32_e32 v2, 0
	s_and_not1_b32 vcc_lo, exec_lo, s25
	s_cbranch_vccnz .LBB278_105
; %bb.102:
	v_dual_mov_b32 v36, s19 :: v_dual_mov_b32 v35, s18
	s_mov_b32 s27, 0
	s_set_inst_prefetch_distance 0x1
	.p2align	6
.LBB278_103:                            ; =>This Inner Loop Header: Depth=1
	s_delay_alu instid0(VALU_DEP_1) | instskip(NEXT) | instid1(VALU_DEP_2)
	v_sub_co_u32 v37, vcc_lo, v35, v1
	v_sub_co_ci_u32_e32 v38, vcc_lo, v36, v2, vcc_lo
	s_delay_alu instid0(VALU_DEP_1) | instskip(SKIP_1) | instid1(VALU_DEP_2)
	v_lshrrev_b64 v[39:40], 1, v[37:38]
	v_lshrrev_b64 v[37:38], 6, v[37:38]
	v_add_co_u32 v39, vcc_lo, v39, v1
	s_delay_alu instid0(VALU_DEP_3) | instskip(NEXT) | instid1(VALU_DEP_2)
	v_add_co_ci_u32_e32 v40, vcc_lo, v40, v2, vcc_lo
	v_add_co_u32 v37, vcc_lo, v39, v37
	s_delay_alu instid0(VALU_DEP_2) | instskip(NEXT) | instid1(VALU_DEP_1)
	v_add_co_ci_u32_e32 v38, vcc_lo, v40, v38, vcc_lo
	v_lshlrev_b64 v[39:40], 3, v[37:38]
	s_delay_alu instid0(VALU_DEP_1) | instskip(NEXT) | instid1(VALU_DEP_2)
	v_add_co_u32 v39, vcc_lo, s16, v39
	v_add_co_ci_u32_e32 v40, vcc_lo, s17, v40, vcc_lo
	v_add_co_u32 v41, vcc_lo, v37, 1
	global_load_b64 v[39:40], v[39:40], off
	s_waitcnt vmcnt(0) lgkmcnt(0)
	v_cmp_lt_u64_e64 s15, v[39:40], v[5:6]
	v_add_co_ci_u32_e32 v39, vcc_lo, 0, v38, vcc_lo
	s_delay_alu instid0(VALU_DEP_2) | instskip(SKIP_1) | instid1(VALU_DEP_3)
	v_cndmask_b32_e64 v36, v38, v36, s15
	v_cndmask_b32_e64 v35, v37, v35, s15
	;; [unrolled: 1-line block ×4, first 2 shown]
	s_delay_alu instid0(VALU_DEP_1) | instskip(SKIP_1) | instid1(SALU_CYCLE_1)
	v_cmp_ge_u64_e32 vcc_lo, v[1:2], v[35:36]
	s_or_b32 s27, vcc_lo, s27
	s_and_not1_b32 exec_lo, exec_lo, s27
	s_cbranch_execnz .LBB278_103
; %bb.104:
	s_set_inst_prefetch_distance 0x2
	s_or_b32 exec_lo, exec_lo, s27
.LBB278_105:
	s_delay_alu instid0(SALU_CYCLE_1)
	s_or_b32 exec_lo, exec_lo, s26
                                        ; implicit-def: $vgpr5
	s_and_saveexec_b32 s26, s1
	s_cbranch_execz .LBB278_110
; %bb.106:
	s_waitcnt vmcnt(0) lgkmcnt(0)
	v_mov_b32_e32 v5, 0
	v_mov_b32_e32 v6, 0
	s_and_not1_b32 vcc_lo, exec_lo, s25
	s_cbranch_vccnz .LBB278_110
; %bb.107:
	v_dual_mov_b32 v36, s19 :: v_dual_mov_b32 v35, s18
	s_mov_b32 s27, 0
	s_set_inst_prefetch_distance 0x1
	.p2align	6
.LBB278_108:                            ; =>This Inner Loop Header: Depth=1
	s_delay_alu instid0(VALU_DEP_1) | instskip(NEXT) | instid1(VALU_DEP_2)
	v_sub_co_u32 v37, vcc_lo, v35, v5
	v_sub_co_ci_u32_e32 v38, vcc_lo, v36, v6, vcc_lo
	s_delay_alu instid0(VALU_DEP_1) | instskip(SKIP_1) | instid1(VALU_DEP_2)
	v_lshrrev_b64 v[39:40], 1, v[37:38]
	v_lshrrev_b64 v[37:38], 6, v[37:38]
	v_add_co_u32 v2, vcc_lo, v39, v5
	s_delay_alu instid0(VALU_DEP_3) | instskip(NEXT) | instid1(VALU_DEP_2)
	v_add_co_ci_u32_e32 v39, vcc_lo, v40, v6, vcc_lo
	v_add_co_u32 v37, vcc_lo, v2, v37
	s_delay_alu instid0(VALU_DEP_2) | instskip(NEXT) | instid1(VALU_DEP_1)
	v_add_co_ci_u32_e32 v38, vcc_lo, v39, v38, vcc_lo
	v_lshlrev_b64 v[39:40], 3, v[37:38]
	s_delay_alu instid0(VALU_DEP_1) | instskip(NEXT) | instid1(VALU_DEP_2)
	v_add_co_u32 v39, vcc_lo, s16, v39
	v_add_co_ci_u32_e32 v40, vcc_lo, s17, v40, vcc_lo
	v_add_co_u32 v2, vcc_lo, v37, 1
	global_load_b64 v[39:40], v[39:40], off
	s_waitcnt vmcnt(0)
	v_cmp_lt_u64_e64 s15, v[39:40], v[11:12]
	v_add_co_ci_u32_e32 v39, vcc_lo, 0, v38, vcc_lo
	s_delay_alu instid0(VALU_DEP_2) | instskip(SKIP_1) | instid1(VALU_DEP_3)
	v_cndmask_b32_e64 v36, v38, v36, s15
	v_cndmask_b32_e64 v35, v37, v35, s15
	;; [unrolled: 1-line block ×4, first 2 shown]
	s_delay_alu instid0(VALU_DEP_1) | instskip(SKIP_1) | instid1(SALU_CYCLE_1)
	v_cmp_ge_u64_e32 vcc_lo, v[5:6], v[35:36]
	s_or_b32 s27, vcc_lo, s27
	s_and_not1_b32 exec_lo, exec_lo, s27
	s_cbranch_execnz .LBB278_108
; %bb.109:
	s_set_inst_prefetch_distance 0x2
	s_or_b32 exec_lo, exec_lo, s27
.LBB278_110:
	s_delay_alu instid0(SALU_CYCLE_1)
	s_or_b32 exec_lo, exec_lo, s26
                                        ; implicit-def: $vgpr11
	s_and_saveexec_b32 s26, s2
	s_cbranch_execz .LBB278_115
; %bb.111:
	s_waitcnt vmcnt(0) lgkmcnt(0)
	v_mov_b32_e32 v11, 0
	v_mov_b32_e32 v12, 0
	s_and_not1_b32 vcc_lo, exec_lo, s25
	s_cbranch_vccnz .LBB278_115
; %bb.112:
	v_dual_mov_b32 v36, s19 :: v_dual_mov_b32 v35, s18
	s_mov_b32 s27, 0
	s_set_inst_prefetch_distance 0x1
	.p2align	6
.LBB278_113:                            ; =>This Inner Loop Header: Depth=1
	s_delay_alu instid0(VALU_DEP_1) | instskip(NEXT) | instid1(VALU_DEP_2)
	v_sub_co_u32 v37, vcc_lo, v35, v11
	v_sub_co_ci_u32_e32 v38, vcc_lo, v36, v12, vcc_lo
	s_delay_alu instid0(VALU_DEP_1) | instskip(SKIP_1) | instid1(VALU_DEP_2)
	v_lshrrev_b64 v[39:40], 1, v[37:38]
	v_lshrrev_b64 v[37:38], 6, v[37:38]
	v_add_co_u32 v2, vcc_lo, v39, v11
	s_delay_alu instid0(VALU_DEP_3) | instskip(NEXT) | instid1(VALU_DEP_2)
	v_add_co_ci_u32_e32 v6, vcc_lo, v40, v12, vcc_lo
	v_add_co_u32 v37, vcc_lo, v2, v37
	s_delay_alu instid0(VALU_DEP_2) | instskip(NEXT) | instid1(VALU_DEP_1)
	v_add_co_ci_u32_e32 v38, vcc_lo, v6, v38, vcc_lo
	v_lshlrev_b64 v[39:40], 3, v[37:38]
	s_delay_alu instid0(VALU_DEP_1) | instskip(NEXT) | instid1(VALU_DEP_2)
	v_add_co_u32 v39, vcc_lo, s16, v39
	v_add_co_ci_u32_e32 v40, vcc_lo, s17, v40, vcc_lo
	v_add_co_u32 v2, vcc_lo, v37, 1
	v_add_co_ci_u32_e32 v6, vcc_lo, 0, v38, vcc_lo
	global_load_b64 v[39:40], v[39:40], off
	s_waitcnt vmcnt(0)
	v_cmp_lt_u64_e64 s15, v[39:40], v[15:16]
	s_delay_alu instid0(VALU_DEP_1) | instskip(SKIP_3) | instid1(VALU_DEP_1)
	v_cndmask_b32_e64 v36, v38, v36, s15
	v_cndmask_b32_e64 v35, v37, v35, s15
	;; [unrolled: 1-line block ×4, first 2 shown]
	v_cmp_ge_u64_e32 vcc_lo, v[11:12], v[35:36]
	s_or_b32 s27, vcc_lo, s27
	s_delay_alu instid0(SALU_CYCLE_1)
	s_and_not1_b32 exec_lo, exec_lo, s27
	s_cbranch_execnz .LBB278_113
; %bb.114:
	s_set_inst_prefetch_distance 0x2
	s_or_b32 exec_lo, exec_lo, s27
.LBB278_115:
	s_delay_alu instid0(SALU_CYCLE_1)
	s_or_b32 exec_lo, exec_lo, s26
                                        ; implicit-def: $vgpr15
	s_and_saveexec_b32 s26, s3
	s_cbranch_execz .LBB278_120
; %bb.116:
	s_waitcnt vmcnt(0) lgkmcnt(0)
	v_mov_b32_e32 v15, 0
	v_mov_b32_e32 v16, 0
	s_and_not1_b32 vcc_lo, exec_lo, s25
	s_cbranch_vccnz .LBB278_120
; %bb.117:
	v_dual_mov_b32 v36, s19 :: v_dual_mov_b32 v35, s18
	s_mov_b32 s27, 0
	s_set_inst_prefetch_distance 0x1
	.p2align	6
.LBB278_118:                            ; =>This Inner Loop Header: Depth=1
	s_delay_alu instid0(VALU_DEP_1) | instskip(NEXT) | instid1(VALU_DEP_2)
	v_sub_co_u32 v37, vcc_lo, v35, v15
	v_sub_co_ci_u32_e32 v38, vcc_lo, v36, v16, vcc_lo
	s_delay_alu instid0(VALU_DEP_1) | instskip(SKIP_1) | instid1(VALU_DEP_2)
	v_lshrrev_b64 v[39:40], 1, v[37:38]
	v_lshrrev_b64 v[37:38], 6, v[37:38]
	v_add_co_u32 v2, vcc_lo, v39, v15
	s_delay_alu instid0(VALU_DEP_3) | instskip(NEXT) | instid1(VALU_DEP_2)
	v_add_co_ci_u32_e32 v6, vcc_lo, v40, v16, vcc_lo
	v_add_co_u32 v37, vcc_lo, v2, v37
	s_delay_alu instid0(VALU_DEP_2) | instskip(NEXT) | instid1(VALU_DEP_1)
	v_add_co_ci_u32_e32 v38, vcc_lo, v6, v38, vcc_lo
	v_lshlrev_b64 v[39:40], 3, v[37:38]
	s_delay_alu instid0(VALU_DEP_1) | instskip(NEXT) | instid1(VALU_DEP_2)
	v_add_co_u32 v39, vcc_lo, s16, v39
	v_add_co_ci_u32_e32 v40, vcc_lo, s17, v40, vcc_lo
	v_add_co_u32 v2, vcc_lo, v37, 1
	v_add_co_ci_u32_e32 v6, vcc_lo, 0, v38, vcc_lo
	global_load_b64 v[39:40], v[39:40], off
	s_waitcnt vmcnt(0)
	v_cmp_lt_u64_e64 s15, v[39:40], v[19:20]
	s_delay_alu instid0(VALU_DEP_1) | instskip(SKIP_3) | instid1(VALU_DEP_1)
	v_cndmask_b32_e64 v36, v38, v36, s15
	v_cndmask_b32_e64 v35, v37, v35, s15
	;; [unrolled: 1-line block ×4, first 2 shown]
	v_cmp_ge_u64_e32 vcc_lo, v[15:16], v[35:36]
	s_or_b32 s27, vcc_lo, s27
	s_delay_alu instid0(SALU_CYCLE_1)
	s_and_not1_b32 exec_lo, exec_lo, s27
	s_cbranch_execnz .LBB278_118
; %bb.119:
	s_set_inst_prefetch_distance 0x2
	s_or_b32 exec_lo, exec_lo, s27
.LBB278_120:
	s_delay_alu instid0(SALU_CYCLE_1)
	s_or_b32 exec_lo, exec_lo, s26
                                        ; implicit-def: $vgpr19
	s_and_saveexec_b32 s26, s4
	s_cbranch_execz .LBB278_125
; %bb.121:
	s_waitcnt vmcnt(0) lgkmcnt(0)
	v_mov_b32_e32 v19, 0
	v_mov_b32_e32 v20, 0
	s_and_not1_b32 vcc_lo, exec_lo, s25
	s_cbranch_vccnz .LBB278_125
; %bb.122:
	v_dual_mov_b32 v36, s19 :: v_dual_mov_b32 v35, s18
	s_mov_b32 s27, 0
	s_set_inst_prefetch_distance 0x1
	.p2align	6
.LBB278_123:                            ; =>This Inner Loop Header: Depth=1
	s_delay_alu instid0(VALU_DEP_1) | instskip(NEXT) | instid1(VALU_DEP_2)
	v_sub_co_u32 v37, vcc_lo, v35, v19
	v_sub_co_ci_u32_e32 v38, vcc_lo, v36, v20, vcc_lo
	s_delay_alu instid0(VALU_DEP_1) | instskip(SKIP_1) | instid1(VALU_DEP_2)
	v_lshrrev_b64 v[39:40], 1, v[37:38]
	v_lshrrev_b64 v[37:38], 6, v[37:38]
	v_add_co_u32 v2, vcc_lo, v39, v19
	s_delay_alu instid0(VALU_DEP_3) | instskip(NEXT) | instid1(VALU_DEP_2)
	v_add_co_ci_u32_e32 v6, vcc_lo, v40, v20, vcc_lo
	v_add_co_u32 v37, vcc_lo, v2, v37
	s_delay_alu instid0(VALU_DEP_2) | instskip(NEXT) | instid1(VALU_DEP_1)
	v_add_co_ci_u32_e32 v38, vcc_lo, v6, v38, vcc_lo
	v_lshlrev_b64 v[39:40], 3, v[37:38]
	s_delay_alu instid0(VALU_DEP_1) | instskip(NEXT) | instid1(VALU_DEP_2)
	v_add_co_u32 v39, vcc_lo, s16, v39
	v_add_co_ci_u32_e32 v40, vcc_lo, s17, v40, vcc_lo
	v_add_co_u32 v2, vcc_lo, v37, 1
	v_add_co_ci_u32_e32 v6, vcc_lo, 0, v38, vcc_lo
	global_load_b64 v[39:40], v[39:40], off
	s_waitcnt vmcnt(0)
	v_cmp_lt_u64_e64 s15, v[39:40], v[23:24]
	s_delay_alu instid0(VALU_DEP_1) | instskip(SKIP_3) | instid1(VALU_DEP_1)
	v_cndmask_b32_e64 v36, v38, v36, s15
	v_cndmask_b32_e64 v35, v37, v35, s15
	;; [unrolled: 1-line block ×4, first 2 shown]
	v_cmp_ge_u64_e32 vcc_lo, v[19:20], v[35:36]
	s_or_b32 s27, vcc_lo, s27
	s_delay_alu instid0(SALU_CYCLE_1)
	s_and_not1_b32 exec_lo, exec_lo, s27
	s_cbranch_execnz .LBB278_123
; %bb.124:
	s_set_inst_prefetch_distance 0x2
	s_or_b32 exec_lo, exec_lo, s27
.LBB278_125:
	s_delay_alu instid0(SALU_CYCLE_1)
	s_or_b32 exec_lo, exec_lo, s26
                                        ; implicit-def: $vgpr23
	s_and_saveexec_b32 s26, s5
	s_cbranch_execz .LBB278_130
; %bb.126:
	s_waitcnt vmcnt(0) lgkmcnt(0)
	v_mov_b32_e32 v23, 0
	v_mov_b32_e32 v24, 0
	s_and_not1_b32 vcc_lo, exec_lo, s25
	s_cbranch_vccnz .LBB278_130
; %bb.127:
	v_dual_mov_b32 v36, s19 :: v_dual_mov_b32 v35, s18
	s_mov_b32 s27, 0
	s_set_inst_prefetch_distance 0x1
	.p2align	6
.LBB278_128:                            ; =>This Inner Loop Header: Depth=1
	s_delay_alu instid0(VALU_DEP_1) | instskip(NEXT) | instid1(VALU_DEP_2)
	v_sub_co_u32 v37, vcc_lo, v35, v23
	v_sub_co_ci_u32_e32 v38, vcc_lo, v36, v24, vcc_lo
	s_delay_alu instid0(VALU_DEP_1) | instskip(SKIP_1) | instid1(VALU_DEP_2)
	v_lshrrev_b64 v[39:40], 1, v[37:38]
	v_lshrrev_b64 v[37:38], 6, v[37:38]
	v_add_co_u32 v2, vcc_lo, v39, v23
	s_delay_alu instid0(VALU_DEP_3) | instskip(NEXT) | instid1(VALU_DEP_2)
	v_add_co_ci_u32_e32 v6, vcc_lo, v40, v24, vcc_lo
	v_add_co_u32 v37, vcc_lo, v2, v37
	s_delay_alu instid0(VALU_DEP_2) | instskip(NEXT) | instid1(VALU_DEP_1)
	v_add_co_ci_u32_e32 v38, vcc_lo, v6, v38, vcc_lo
	v_lshlrev_b64 v[39:40], 3, v[37:38]
	s_delay_alu instid0(VALU_DEP_1) | instskip(NEXT) | instid1(VALU_DEP_2)
	v_add_co_u32 v39, vcc_lo, s16, v39
	v_add_co_ci_u32_e32 v40, vcc_lo, s17, v40, vcc_lo
	v_add_co_u32 v2, vcc_lo, v37, 1
	v_add_co_ci_u32_e32 v6, vcc_lo, 0, v38, vcc_lo
	global_load_b64 v[39:40], v[39:40], off
	s_waitcnt vmcnt(0)
	v_cmp_lt_u64_e64 s15, v[39:40], v[27:28]
	s_delay_alu instid0(VALU_DEP_1) | instskip(SKIP_3) | instid1(VALU_DEP_1)
	v_cndmask_b32_e64 v36, v38, v36, s15
	v_cndmask_b32_e64 v35, v37, v35, s15
	;; [unrolled: 1-line block ×4, first 2 shown]
	v_cmp_ge_u64_e32 vcc_lo, v[23:24], v[35:36]
	s_or_b32 s27, vcc_lo, s27
	s_delay_alu instid0(SALU_CYCLE_1)
	s_and_not1_b32 exec_lo, exec_lo, s27
	s_cbranch_execnz .LBB278_128
; %bb.129:
	s_set_inst_prefetch_distance 0x2
	s_or_b32 exec_lo, exec_lo, s27
.LBB278_130:
	s_delay_alu instid0(SALU_CYCLE_1)
	s_or_b32 exec_lo, exec_lo, s26
                                        ; implicit-def: $vgpr27
	s_and_saveexec_b32 s26, s6
	s_cbranch_execz .LBB278_135
; %bb.131:
	s_waitcnt vmcnt(0) lgkmcnt(0)
	v_mov_b32_e32 v27, 0
	v_mov_b32_e32 v28, 0
	s_and_not1_b32 vcc_lo, exec_lo, s25
	s_cbranch_vccnz .LBB278_135
; %bb.132:
	v_dual_mov_b32 v36, s19 :: v_dual_mov_b32 v35, s18
	s_mov_b32 s27, 0
	s_set_inst_prefetch_distance 0x1
	.p2align	6
.LBB278_133:                            ; =>This Inner Loop Header: Depth=1
	s_delay_alu instid0(VALU_DEP_1) | instskip(NEXT) | instid1(VALU_DEP_2)
	v_sub_co_u32 v37, vcc_lo, v35, v27
	v_sub_co_ci_u32_e32 v38, vcc_lo, v36, v28, vcc_lo
	s_delay_alu instid0(VALU_DEP_1) | instskip(SKIP_1) | instid1(VALU_DEP_2)
	v_lshrrev_b64 v[39:40], 1, v[37:38]
	v_lshrrev_b64 v[37:38], 6, v[37:38]
	v_add_co_u32 v2, vcc_lo, v39, v27
	s_delay_alu instid0(VALU_DEP_3) | instskip(NEXT) | instid1(VALU_DEP_2)
	v_add_co_ci_u32_e32 v6, vcc_lo, v40, v28, vcc_lo
	v_add_co_u32 v37, vcc_lo, v2, v37
	s_delay_alu instid0(VALU_DEP_2) | instskip(NEXT) | instid1(VALU_DEP_1)
	v_add_co_ci_u32_e32 v38, vcc_lo, v6, v38, vcc_lo
	v_lshlrev_b64 v[39:40], 3, v[37:38]
	s_delay_alu instid0(VALU_DEP_1) | instskip(NEXT) | instid1(VALU_DEP_2)
	v_add_co_u32 v39, vcc_lo, s16, v39
	v_add_co_ci_u32_e32 v40, vcc_lo, s17, v40, vcc_lo
	v_add_co_u32 v2, vcc_lo, v37, 1
	v_add_co_ci_u32_e32 v6, vcc_lo, 0, v38, vcc_lo
	global_load_b64 v[39:40], v[39:40], off
	s_waitcnt vmcnt(0)
	v_cmp_lt_u64_e64 s15, v[39:40], v[31:32]
	s_delay_alu instid0(VALU_DEP_1) | instskip(SKIP_3) | instid1(VALU_DEP_1)
	v_cndmask_b32_e64 v36, v38, v36, s15
	v_cndmask_b32_e64 v35, v37, v35, s15
	;; [unrolled: 1-line block ×4, first 2 shown]
	v_cmp_ge_u64_e32 vcc_lo, v[27:28], v[35:36]
	s_or_b32 s27, vcc_lo, s27
	s_delay_alu instid0(SALU_CYCLE_1)
	s_and_not1_b32 exec_lo, exec_lo, s27
	s_cbranch_execnz .LBB278_133
; %bb.134:
	s_set_inst_prefetch_distance 0x2
	s_or_b32 exec_lo, exec_lo, s27
.LBB278_135:
	s_delay_alu instid0(SALU_CYCLE_1)
	s_or_b32 exec_lo, exec_lo, s26
                                        ; implicit-def: $vgpr31
	s_and_saveexec_b32 s26, s7
	s_cbranch_execz .LBB278_140
; %bb.136:
	s_waitcnt vmcnt(0) lgkmcnt(0)
	v_mov_b32_e32 v31, 0
	v_mov_b32_e32 v32, 0
	s_and_not1_b32 vcc_lo, exec_lo, s25
	s_cbranch_vccnz .LBB278_140
; %bb.137:
	v_dual_mov_b32 v36, s19 :: v_dual_mov_b32 v35, s18
	s_mov_b32 s27, 0
	s_set_inst_prefetch_distance 0x1
	.p2align	6
.LBB278_138:                            ; =>This Inner Loop Header: Depth=1
	s_delay_alu instid0(VALU_DEP_1) | instskip(NEXT) | instid1(VALU_DEP_2)
	v_sub_co_u32 v37, vcc_lo, v35, v31
	v_sub_co_ci_u32_e32 v38, vcc_lo, v36, v32, vcc_lo
	s_delay_alu instid0(VALU_DEP_1) | instskip(SKIP_1) | instid1(VALU_DEP_2)
	v_lshrrev_b64 v[39:40], 1, v[37:38]
	v_lshrrev_b64 v[37:38], 6, v[37:38]
	v_add_co_u32 v2, vcc_lo, v39, v31
	s_delay_alu instid0(VALU_DEP_3) | instskip(NEXT) | instid1(VALU_DEP_2)
	v_add_co_ci_u32_e32 v6, vcc_lo, v40, v32, vcc_lo
	v_add_co_u32 v37, vcc_lo, v2, v37
	s_delay_alu instid0(VALU_DEP_2) | instskip(NEXT) | instid1(VALU_DEP_1)
	v_add_co_ci_u32_e32 v38, vcc_lo, v6, v38, vcc_lo
	v_lshlrev_b64 v[39:40], 3, v[37:38]
	s_delay_alu instid0(VALU_DEP_1) | instskip(NEXT) | instid1(VALU_DEP_2)
	v_add_co_u32 v39, vcc_lo, s16, v39
	v_add_co_ci_u32_e32 v40, vcc_lo, s17, v40, vcc_lo
	v_add_co_u32 v2, vcc_lo, v37, 1
	v_add_co_ci_u32_e32 v6, vcc_lo, 0, v38, vcc_lo
	global_load_b64 v[39:40], v[39:40], off
	s_waitcnt vmcnt(0)
	v_cmp_lt_u64_e64 s15, v[39:40], v[33:34]
	s_delay_alu instid0(VALU_DEP_1) | instskip(SKIP_3) | instid1(VALU_DEP_1)
	v_cndmask_b32_e64 v36, v38, v36, s15
	v_cndmask_b32_e64 v35, v37, v35, s15
	;; [unrolled: 1-line block ×4, first 2 shown]
	v_cmp_ge_u64_e32 vcc_lo, v[31:32], v[35:36]
	s_or_b32 s27, vcc_lo, s27
	s_delay_alu instid0(SALU_CYCLE_1)
	s_and_not1_b32 exec_lo, exec_lo, s27
	s_cbranch_execnz .LBB278_138
; %bb.139:
	s_set_inst_prefetch_distance 0x2
	s_or_b32 exec_lo, exec_lo, s27
.LBB278_140:
	s_delay_alu instid0(SALU_CYCLE_1)
	s_or_b32 exec_lo, exec_lo, s26
                                        ; implicit-def: $vgpr32
	s_and_saveexec_b32 s26, s8
	s_cbranch_execz .LBB278_145
; %bb.141:
	s_waitcnt vmcnt(0) lgkmcnt(0)
	v_mov_b32_e32 v32, 0
	v_mov_b32_e32 v33, 0
	s_and_not1_b32 vcc_lo, exec_lo, s25
	s_cbranch_vccnz .LBB278_145
; %bb.142:
	v_dual_mov_b32 v35, s19 :: v_dual_mov_b32 v34, s18
	s_mov_b32 s27, 0
	s_set_inst_prefetch_distance 0x1
	.p2align	6
.LBB278_143:                            ; =>This Inner Loop Header: Depth=1
	s_delay_alu instid0(VALU_DEP_1) | instskip(NEXT) | instid1(VALU_DEP_2)
	v_sub_co_u32 v36, vcc_lo, v34, v32
	v_sub_co_ci_u32_e32 v37, vcc_lo, v35, v33, vcc_lo
	s_delay_alu instid0(VALU_DEP_1) | instskip(SKIP_1) | instid1(VALU_DEP_2)
	v_lshrrev_b64 v[38:39], 1, v[36:37]
	v_lshrrev_b64 v[36:37], 6, v[36:37]
	v_add_co_u32 v2, vcc_lo, v38, v32
	s_delay_alu instid0(VALU_DEP_3) | instskip(NEXT) | instid1(VALU_DEP_2)
	v_add_co_ci_u32_e32 v6, vcc_lo, v39, v33, vcc_lo
	v_add_co_u32 v36, vcc_lo, v2, v36
	s_delay_alu instid0(VALU_DEP_2) | instskip(NEXT) | instid1(VALU_DEP_1)
	v_add_co_ci_u32_e32 v37, vcc_lo, v6, v37, vcc_lo
	v_lshlrev_b64 v[38:39], 3, v[36:37]
	s_delay_alu instid0(VALU_DEP_1) | instskip(NEXT) | instid1(VALU_DEP_2)
	v_add_co_u32 v38, vcc_lo, s16, v38
	v_add_co_ci_u32_e32 v39, vcc_lo, s17, v39, vcc_lo
	v_add_co_u32 v2, vcc_lo, v36, 1
	v_add_co_ci_u32_e32 v6, vcc_lo, 0, v37, vcc_lo
	global_load_b64 v[38:39], v[38:39], off
	s_waitcnt vmcnt(0)
	v_cmp_lt_u64_e64 s15, v[38:39], v[29:30]
	s_delay_alu instid0(VALU_DEP_1) | instskip(SKIP_3) | instid1(VALU_DEP_1)
	v_cndmask_b32_e64 v35, v37, v35, s15
	v_cndmask_b32_e64 v34, v36, v34, s15
	;; [unrolled: 1-line block ×4, first 2 shown]
	v_cmp_ge_u64_e32 vcc_lo, v[32:33], v[34:35]
	s_or_b32 s27, vcc_lo, s27
	s_delay_alu instid0(SALU_CYCLE_1)
	s_and_not1_b32 exec_lo, exec_lo, s27
	s_cbranch_execnz .LBB278_143
; %bb.144:
	s_set_inst_prefetch_distance 0x2
	s_or_b32 exec_lo, exec_lo, s27
.LBB278_145:
	s_delay_alu instid0(SALU_CYCLE_1)
	s_or_b32 exec_lo, exec_lo, s26
                                        ; implicit-def: $vgpr28
	s_and_saveexec_b32 s26, s9
	s_cbranch_execz .LBB278_150
; %bb.146:
	s_waitcnt vmcnt(0) lgkmcnt(0)
	v_mov_b32_e32 v28, 0
	v_mov_b32_e32 v29, 0
	s_and_not1_b32 vcc_lo, exec_lo, s25
	s_cbranch_vccnz .LBB278_150
; %bb.147:
	v_dual_mov_b32 v34, s19 :: v_dual_mov_b32 v33, s18
	s_mov_b32 s27, 0
	s_set_inst_prefetch_distance 0x1
	.p2align	6
.LBB278_148:                            ; =>This Inner Loop Header: Depth=1
	s_delay_alu instid0(VALU_DEP_1) | instskip(NEXT) | instid1(VALU_DEP_2)
	v_sub_co_u32 v35, vcc_lo, v33, v28
	v_sub_co_ci_u32_e32 v36, vcc_lo, v34, v29, vcc_lo
	s_delay_alu instid0(VALU_DEP_1) | instskip(SKIP_1) | instid1(VALU_DEP_2)
	v_lshrrev_b64 v[37:38], 1, v[35:36]
	v_lshrrev_b64 v[35:36], 6, v[35:36]
	v_add_co_u32 v2, vcc_lo, v37, v28
	s_delay_alu instid0(VALU_DEP_3) | instskip(NEXT) | instid1(VALU_DEP_2)
	v_add_co_ci_u32_e32 v6, vcc_lo, v38, v29, vcc_lo
	v_add_co_u32 v35, vcc_lo, v2, v35
	s_delay_alu instid0(VALU_DEP_2) | instskip(NEXT) | instid1(VALU_DEP_1)
	v_add_co_ci_u32_e32 v36, vcc_lo, v6, v36, vcc_lo
	v_lshlrev_b64 v[37:38], 3, v[35:36]
	s_delay_alu instid0(VALU_DEP_1) | instskip(NEXT) | instid1(VALU_DEP_2)
	v_add_co_u32 v37, vcc_lo, s16, v37
	v_add_co_ci_u32_e32 v38, vcc_lo, s17, v38, vcc_lo
	v_add_co_u32 v2, vcc_lo, v35, 1
	v_add_co_ci_u32_e32 v6, vcc_lo, 0, v36, vcc_lo
	global_load_b64 v[37:38], v[37:38], off
	s_waitcnt vmcnt(0)
	v_cmp_lt_u64_e64 s15, v[37:38], v[25:26]
	s_delay_alu instid0(VALU_DEP_1) | instskip(SKIP_3) | instid1(VALU_DEP_1)
	v_cndmask_b32_e64 v34, v36, v34, s15
	v_cndmask_b32_e64 v33, v35, v33, s15
	;; [unrolled: 1-line block ×4, first 2 shown]
	v_cmp_ge_u64_e32 vcc_lo, v[28:29], v[33:34]
	s_or_b32 s27, vcc_lo, s27
	s_delay_alu instid0(SALU_CYCLE_1)
	s_and_not1_b32 exec_lo, exec_lo, s27
	s_cbranch_execnz .LBB278_148
; %bb.149:
	s_set_inst_prefetch_distance 0x2
	s_or_b32 exec_lo, exec_lo, s27
.LBB278_150:
	s_delay_alu instid0(SALU_CYCLE_1)
	s_or_b32 exec_lo, exec_lo, s26
                                        ; implicit-def: $vgpr24
	s_and_saveexec_b32 s26, s10
	s_cbranch_execz .LBB278_155
; %bb.151:
	s_waitcnt vmcnt(0) lgkmcnt(0)
	v_mov_b32_e32 v24, 0
	v_mov_b32_e32 v25, 0
	s_and_not1_b32 vcc_lo, exec_lo, s25
	s_cbranch_vccnz .LBB278_155
; %bb.152:
	v_dual_mov_b32 v30, s19 :: v_dual_mov_b32 v29, s18
	s_mov_b32 s27, 0
	s_set_inst_prefetch_distance 0x1
	.p2align	6
.LBB278_153:                            ; =>This Inner Loop Header: Depth=1
	s_delay_alu instid0(VALU_DEP_1) | instskip(NEXT) | instid1(VALU_DEP_2)
	v_sub_co_u32 v33, vcc_lo, v29, v24
	v_sub_co_ci_u32_e32 v34, vcc_lo, v30, v25, vcc_lo
	s_delay_alu instid0(VALU_DEP_1) | instskip(SKIP_1) | instid1(VALU_DEP_2)
	v_lshrrev_b64 v[35:36], 1, v[33:34]
	v_lshrrev_b64 v[33:34], 6, v[33:34]
	v_add_co_u32 v2, vcc_lo, v35, v24
	s_delay_alu instid0(VALU_DEP_3) | instskip(NEXT) | instid1(VALU_DEP_2)
	v_add_co_ci_u32_e32 v6, vcc_lo, v36, v25, vcc_lo
	v_add_co_u32 v33, vcc_lo, v2, v33
	s_delay_alu instid0(VALU_DEP_2) | instskip(NEXT) | instid1(VALU_DEP_1)
	v_add_co_ci_u32_e32 v34, vcc_lo, v6, v34, vcc_lo
	v_lshlrev_b64 v[35:36], 3, v[33:34]
	s_delay_alu instid0(VALU_DEP_1) | instskip(NEXT) | instid1(VALU_DEP_2)
	v_add_co_u32 v35, vcc_lo, s16, v35
	v_add_co_ci_u32_e32 v36, vcc_lo, s17, v36, vcc_lo
	v_add_co_u32 v2, vcc_lo, v33, 1
	v_add_co_ci_u32_e32 v6, vcc_lo, 0, v34, vcc_lo
	global_load_b64 v[35:36], v[35:36], off
	s_waitcnt vmcnt(0)
	v_cmp_lt_u64_e64 s15, v[35:36], v[21:22]
	s_delay_alu instid0(VALU_DEP_1) | instskip(SKIP_3) | instid1(VALU_DEP_1)
	v_cndmask_b32_e64 v30, v34, v30, s15
	v_cndmask_b32_e64 v29, v33, v29, s15
	;; [unrolled: 1-line block ×4, first 2 shown]
	v_cmp_ge_u64_e32 vcc_lo, v[24:25], v[29:30]
	s_or_b32 s27, vcc_lo, s27
	s_delay_alu instid0(SALU_CYCLE_1)
	s_and_not1_b32 exec_lo, exec_lo, s27
	s_cbranch_execnz .LBB278_153
; %bb.154:
	s_set_inst_prefetch_distance 0x2
	s_or_b32 exec_lo, exec_lo, s27
.LBB278_155:
	s_delay_alu instid0(SALU_CYCLE_1)
	s_or_b32 exec_lo, exec_lo, s26
                                        ; implicit-def: $vgpr20
	s_and_saveexec_b32 s26, s11
	s_cbranch_execz .LBB278_160
; %bb.156:
	s_waitcnt vmcnt(0) lgkmcnt(0)
	v_mov_b32_e32 v20, 0
	v_mov_b32_e32 v21, 0
	s_and_not1_b32 vcc_lo, exec_lo, s25
	s_cbranch_vccnz .LBB278_160
; %bb.157:
	v_dual_mov_b32 v26, s19 :: v_dual_mov_b32 v25, s18
	s_mov_b32 s27, 0
	s_set_inst_prefetch_distance 0x1
	.p2align	6
.LBB278_158:                            ; =>This Inner Loop Header: Depth=1
	s_delay_alu instid0(VALU_DEP_1) | instskip(NEXT) | instid1(VALU_DEP_2)
	v_sub_co_u32 v29, vcc_lo, v25, v20
	v_sub_co_ci_u32_e32 v30, vcc_lo, v26, v21, vcc_lo
	s_delay_alu instid0(VALU_DEP_1) | instskip(SKIP_1) | instid1(VALU_DEP_2)
	v_lshrrev_b64 v[33:34], 1, v[29:30]
	v_lshrrev_b64 v[29:30], 6, v[29:30]
	v_add_co_u32 v2, vcc_lo, v33, v20
	s_delay_alu instid0(VALU_DEP_3) | instskip(NEXT) | instid1(VALU_DEP_2)
	v_add_co_ci_u32_e32 v6, vcc_lo, v34, v21, vcc_lo
	v_add_co_u32 v29, vcc_lo, v2, v29
	s_delay_alu instid0(VALU_DEP_2) | instskip(NEXT) | instid1(VALU_DEP_1)
	v_add_co_ci_u32_e32 v30, vcc_lo, v6, v30, vcc_lo
	v_lshlrev_b64 v[33:34], 3, v[29:30]
	s_delay_alu instid0(VALU_DEP_1) | instskip(NEXT) | instid1(VALU_DEP_2)
	v_add_co_u32 v33, vcc_lo, s16, v33
	v_add_co_ci_u32_e32 v34, vcc_lo, s17, v34, vcc_lo
	v_add_co_u32 v2, vcc_lo, v29, 1
	v_add_co_ci_u32_e32 v6, vcc_lo, 0, v30, vcc_lo
	global_load_b64 v[33:34], v[33:34], off
	s_waitcnt vmcnt(0)
	v_cmp_lt_u64_e64 s15, v[33:34], v[17:18]
	s_delay_alu instid0(VALU_DEP_1) | instskip(SKIP_3) | instid1(VALU_DEP_1)
	v_cndmask_b32_e64 v26, v30, v26, s15
	v_cndmask_b32_e64 v25, v29, v25, s15
	;; [unrolled: 1-line block ×4, first 2 shown]
	v_cmp_ge_u64_e32 vcc_lo, v[20:21], v[25:26]
	s_or_b32 s27, vcc_lo, s27
	s_delay_alu instid0(SALU_CYCLE_1)
	s_and_not1_b32 exec_lo, exec_lo, s27
	s_cbranch_execnz .LBB278_158
; %bb.159:
	s_set_inst_prefetch_distance 0x2
	s_or_b32 exec_lo, exec_lo, s27
.LBB278_160:
	s_delay_alu instid0(SALU_CYCLE_1)
	s_or_b32 exec_lo, exec_lo, s26
                                        ; implicit-def: $vgpr16
	s_and_saveexec_b32 s26, s12
	s_cbranch_execz .LBB278_165
; %bb.161:
	s_waitcnt vmcnt(0) lgkmcnt(0)
	v_mov_b32_e32 v16, 0
	v_mov_b32_e32 v17, 0
	s_and_not1_b32 vcc_lo, exec_lo, s25
	s_cbranch_vccnz .LBB278_165
; %bb.162:
	v_dual_mov_b32 v22, s19 :: v_dual_mov_b32 v21, s18
	s_mov_b32 s27, 0
	s_set_inst_prefetch_distance 0x1
	.p2align	6
.LBB278_163:                            ; =>This Inner Loop Header: Depth=1
	s_delay_alu instid0(VALU_DEP_1) | instskip(NEXT) | instid1(VALU_DEP_2)
	v_sub_co_u32 v25, vcc_lo, v21, v16
	v_sub_co_ci_u32_e32 v26, vcc_lo, v22, v17, vcc_lo
	s_delay_alu instid0(VALU_DEP_1) | instskip(SKIP_1) | instid1(VALU_DEP_2)
	v_lshrrev_b64 v[29:30], 1, v[25:26]
	v_lshrrev_b64 v[25:26], 6, v[25:26]
	v_add_co_u32 v2, vcc_lo, v29, v16
	s_delay_alu instid0(VALU_DEP_3) | instskip(NEXT) | instid1(VALU_DEP_2)
	v_add_co_ci_u32_e32 v6, vcc_lo, v30, v17, vcc_lo
	v_add_co_u32 v25, vcc_lo, v2, v25
	s_delay_alu instid0(VALU_DEP_2) | instskip(NEXT) | instid1(VALU_DEP_1)
	v_add_co_ci_u32_e32 v26, vcc_lo, v6, v26, vcc_lo
	v_lshlrev_b64 v[29:30], 3, v[25:26]
	s_delay_alu instid0(VALU_DEP_1) | instskip(NEXT) | instid1(VALU_DEP_2)
	v_add_co_u32 v29, vcc_lo, s16, v29
	v_add_co_ci_u32_e32 v30, vcc_lo, s17, v30, vcc_lo
	v_add_co_u32 v2, vcc_lo, v25, 1
	v_add_co_ci_u32_e32 v6, vcc_lo, 0, v26, vcc_lo
	global_load_b64 v[29:30], v[29:30], off
	s_waitcnt vmcnt(0)
	v_cmp_lt_u64_e64 s15, v[29:30], v[13:14]
	s_delay_alu instid0(VALU_DEP_1) | instskip(SKIP_3) | instid1(VALU_DEP_1)
	v_cndmask_b32_e64 v22, v26, v22, s15
	v_cndmask_b32_e64 v21, v25, v21, s15
	;; [unrolled: 1-line block ×4, first 2 shown]
	v_cmp_ge_u64_e32 vcc_lo, v[16:17], v[21:22]
	s_or_b32 s27, vcc_lo, s27
	s_delay_alu instid0(SALU_CYCLE_1)
	s_and_not1_b32 exec_lo, exec_lo, s27
	s_cbranch_execnz .LBB278_163
; %bb.164:
	s_set_inst_prefetch_distance 0x2
	s_or_b32 exec_lo, exec_lo, s27
.LBB278_165:
	s_delay_alu instid0(SALU_CYCLE_1)
	s_or_b32 exec_lo, exec_lo, s26
                                        ; implicit-def: $vgpr12
	s_and_saveexec_b32 s26, s13
	s_cbranch_execz .LBB278_170
; %bb.166:
	s_waitcnt vmcnt(0) lgkmcnt(0)
	v_mov_b32_e32 v12, 0
	v_mov_b32_e32 v13, 0
	s_and_not1_b32 vcc_lo, exec_lo, s25
	s_cbranch_vccnz .LBB278_170
; %bb.167:
	v_dual_mov_b32 v17, s18 :: v_dual_mov_b32 v18, s19
	s_mov_b32 s27, 0
	s_set_inst_prefetch_distance 0x1
	.p2align	6
.LBB278_168:                            ; =>This Inner Loop Header: Depth=1
	s_delay_alu instid0(VALU_DEP_1) | instskip(NEXT) | instid1(VALU_DEP_2)
	v_sub_co_u32 v21, vcc_lo, v17, v12
	v_sub_co_ci_u32_e32 v22, vcc_lo, v18, v13, vcc_lo
	s_delay_alu instid0(VALU_DEP_1) | instskip(SKIP_1) | instid1(VALU_DEP_2)
	v_lshrrev_b64 v[25:26], 1, v[21:22]
	v_lshrrev_b64 v[21:22], 6, v[21:22]
	v_add_co_u32 v2, vcc_lo, v25, v12
	s_delay_alu instid0(VALU_DEP_3) | instskip(NEXT) | instid1(VALU_DEP_2)
	v_add_co_ci_u32_e32 v6, vcc_lo, v26, v13, vcc_lo
	v_add_co_u32 v21, vcc_lo, v2, v21
	s_delay_alu instid0(VALU_DEP_2) | instskip(NEXT) | instid1(VALU_DEP_1)
	v_add_co_ci_u32_e32 v22, vcc_lo, v6, v22, vcc_lo
	v_lshlrev_b64 v[25:26], 3, v[21:22]
	s_delay_alu instid0(VALU_DEP_1) | instskip(NEXT) | instid1(VALU_DEP_2)
	v_add_co_u32 v25, vcc_lo, s16, v25
	v_add_co_ci_u32_e32 v26, vcc_lo, s17, v26, vcc_lo
	v_add_co_u32 v2, vcc_lo, v21, 1
	v_add_co_ci_u32_e32 v6, vcc_lo, 0, v22, vcc_lo
	global_load_b64 v[25:26], v[25:26], off
	s_waitcnt vmcnt(0)
	v_cmp_lt_u64_e64 s15, v[25:26], v[9:10]
	s_delay_alu instid0(VALU_DEP_1) | instskip(SKIP_3) | instid1(VALU_DEP_1)
	v_cndmask_b32_e64 v18, v22, v18, s15
	v_cndmask_b32_e64 v17, v21, v17, s15
	;; [unrolled: 1-line block ×4, first 2 shown]
	v_cmp_ge_u64_e32 vcc_lo, v[12:13], v[17:18]
	s_or_b32 s27, vcc_lo, s27
	s_delay_alu instid0(SALU_CYCLE_1)
	s_and_not1_b32 exec_lo, exec_lo, s27
	s_cbranch_execnz .LBB278_168
; %bb.169:
	s_set_inst_prefetch_distance 0x2
	s_or_b32 exec_lo, exec_lo, s27
.LBB278_170:
	s_delay_alu instid0(SALU_CYCLE_1)
	s_or_b32 exec_lo, exec_lo, s26
                                        ; implicit-def: $vgpr9
	s_and_saveexec_b32 s26, s14
	s_cbranch_execz .LBB278_175
; %bb.171:
	s_waitcnt vmcnt(0) lgkmcnt(0)
	v_mov_b32_e32 v9, 0
	v_mov_b32_e32 v10, 0
	s_and_not1_b32 vcc_lo, exec_lo, s25
	s_cbranch_vccnz .LBB278_175
; %bb.172:
	v_dual_mov_b32 v13, s18 :: v_dual_mov_b32 v14, s19
	s_mov_b32 s27, 0
	s_set_inst_prefetch_distance 0x1
	.p2align	6
.LBB278_173:                            ; =>This Inner Loop Header: Depth=1
	s_delay_alu instid0(VALU_DEP_1) | instskip(NEXT) | instid1(VALU_DEP_2)
	v_sub_co_u32 v17, vcc_lo, v13, v9
	v_sub_co_ci_u32_e32 v18, vcc_lo, v14, v10, vcc_lo
	s_delay_alu instid0(VALU_DEP_1) | instskip(SKIP_1) | instid1(VALU_DEP_2)
	v_lshrrev_b64 v[21:22], 1, v[17:18]
	v_lshrrev_b64 v[17:18], 6, v[17:18]
	v_add_co_u32 v2, vcc_lo, v21, v9
	s_delay_alu instid0(VALU_DEP_3) | instskip(NEXT) | instid1(VALU_DEP_2)
	v_add_co_ci_u32_e32 v6, vcc_lo, v22, v10, vcc_lo
	v_add_co_u32 v17, vcc_lo, v2, v17
	s_delay_alu instid0(VALU_DEP_2) | instskip(NEXT) | instid1(VALU_DEP_1)
	v_add_co_ci_u32_e32 v18, vcc_lo, v6, v18, vcc_lo
	v_lshlrev_b64 v[21:22], 3, v[17:18]
	s_delay_alu instid0(VALU_DEP_1) | instskip(NEXT) | instid1(VALU_DEP_2)
	v_add_co_u32 v21, vcc_lo, s16, v21
	v_add_co_ci_u32_e32 v22, vcc_lo, s17, v22, vcc_lo
	v_add_co_u32 v2, vcc_lo, v17, 1
	v_add_co_ci_u32_e32 v6, vcc_lo, 0, v18, vcc_lo
	global_load_b64 v[21:22], v[21:22], off
	s_waitcnt vmcnt(0)
	v_cmp_lt_u64_e64 s15, v[21:22], v[7:8]
	s_delay_alu instid0(VALU_DEP_1) | instskip(SKIP_3) | instid1(VALU_DEP_1)
	v_cndmask_b32_e64 v14, v18, v14, s15
	v_cndmask_b32_e64 v13, v17, v13, s15
	;; [unrolled: 1-line block ×4, first 2 shown]
	v_cmp_ge_u64_e32 vcc_lo, v[9:10], v[13:14]
	s_or_b32 s27, vcc_lo, s27
	s_delay_alu instid0(SALU_CYCLE_1)
	s_and_not1_b32 exec_lo, exec_lo, s27
	s_cbranch_execnz .LBB278_173
; %bb.174:
	s_set_inst_prefetch_distance 0x2
	s_or_b32 exec_lo, exec_lo, s27
.LBB278_175:
	s_delay_alu instid0(SALU_CYCLE_1)
	s_or_b32 exec_lo, exec_lo, s26
                                        ; implicit-def: $vgpr6
	s_and_saveexec_b32 s26, s24
	s_cbranch_execz .LBB278_180
; %bb.176:
	s_waitcnt vmcnt(0) lgkmcnt(0)
	v_mov_b32_e32 v6, 0
	v_mov_b32_e32 v7, 0
	s_and_not1_b32 vcc_lo, exec_lo, s25
	s_cbranch_vccnz .LBB278_180
; %bb.177:
	v_dual_mov_b32 v13, s18 :: v_dual_mov_b32 v14, s19
	s_mov_b32 s18, 0
	s_set_inst_prefetch_distance 0x1
	.p2align	6
.LBB278_178:                            ; =>This Inner Loop Header: Depth=1
	s_delay_alu instid0(VALU_DEP_1) | instskip(NEXT) | instid1(VALU_DEP_2)
	v_sub_co_u32 v17, vcc_lo, v13, v6
	v_sub_co_ci_u32_e32 v18, vcc_lo, v14, v7, vcc_lo
	s_delay_alu instid0(VALU_DEP_1) | instskip(SKIP_1) | instid1(VALU_DEP_2)
	v_lshrrev_b64 v[21:22], 1, v[17:18]
	v_lshrrev_b64 v[17:18], 6, v[17:18]
	v_add_co_u32 v2, vcc_lo, v21, v6
	s_delay_alu instid0(VALU_DEP_3) | instskip(NEXT) | instid1(VALU_DEP_2)
	v_add_co_ci_u32_e32 v8, vcc_lo, v22, v7, vcc_lo
	v_add_co_u32 v17, vcc_lo, v2, v17
	s_delay_alu instid0(VALU_DEP_2) | instskip(NEXT) | instid1(VALU_DEP_1)
	v_add_co_ci_u32_e32 v18, vcc_lo, v8, v18, vcc_lo
	v_lshlrev_b64 v[21:22], 3, v[17:18]
	s_delay_alu instid0(VALU_DEP_1) | instskip(NEXT) | instid1(VALU_DEP_2)
	v_add_co_u32 v21, vcc_lo, s16, v21
	v_add_co_ci_u32_e32 v22, vcc_lo, s17, v22, vcc_lo
	v_add_co_u32 v2, vcc_lo, v17, 1
	v_add_co_ci_u32_e32 v8, vcc_lo, 0, v18, vcc_lo
	global_load_b64 v[21:22], v[21:22], off
	s_waitcnt vmcnt(0)
	v_cmp_lt_u64_e64 s15, v[21:22], v[3:4]
	s_delay_alu instid0(VALU_DEP_1) | instskip(SKIP_3) | instid1(VALU_DEP_1)
	v_cndmask_b32_e64 v14, v18, v14, s15
	v_cndmask_b32_e64 v13, v17, v13, s15
	;; [unrolled: 1-line block ×4, first 2 shown]
	v_cmp_ge_u64_e32 vcc_lo, v[6:7], v[13:14]
	s_or_b32 s18, vcc_lo, s18
	s_delay_alu instid0(SALU_CYCLE_1)
	s_and_not1_b32 exec_lo, exec_lo, s18
	s_cbranch_execnz .LBB278_178
; %bb.179:
	s_set_inst_prefetch_distance 0x2
	s_or_b32 exec_lo, exec_lo, s18
.LBB278_180:
	s_delay_alu instid0(SALU_CYCLE_1) | instskip(SKIP_2) | instid1(SALU_CYCLE_1)
	s_or_b32 exec_lo, exec_lo, s26
	v_lshlrev_b32_e32 v0, 2, v0
	s_lshl_b64 s[16:17], s[20:21], 2
	s_add_u32 s15, s22, s16
	s_addc_u32 s16, s23, s17
	s_delay_alu instid0(VALU_DEP_1) | instskip(SKIP_3) | instid1(SALU_CYCLE_1)
	v_add_co_u32 v2, s15, s15, v0
	s_waitcnt vmcnt(0) lgkmcnt(0)
	v_add_co_ci_u32_e64 v3, null, s16, 0, s15
	s_and_saveexec_b32 s15, s0
	s_xor_b32 s0, exec_lo, s15
	s_cbranch_execnz .LBB278_200
; %bb.181:
	s_or_b32 exec_lo, exec_lo, s0
	s_and_saveexec_b32 s0, s1
	s_cbranch_execnz .LBB278_201
.LBB278_182:
	s_or_b32 exec_lo, exec_lo, s0
	s_and_saveexec_b32 s0, s2
	s_cbranch_execnz .LBB278_202
.LBB278_183:
	s_or_b32 exec_lo, exec_lo, s0
	s_and_saveexec_b32 s0, s3
	s_cbranch_execnz .LBB278_203
.LBB278_184:
	s_or_b32 exec_lo, exec_lo, s0
	s_and_saveexec_b32 s0, s4
	s_cbranch_execnz .LBB278_204
.LBB278_185:
	s_or_b32 exec_lo, exec_lo, s0
	s_and_saveexec_b32 s0, s5
	s_cbranch_execnz .LBB278_205
.LBB278_186:
	s_or_b32 exec_lo, exec_lo, s0
	s_and_saveexec_b32 s0, s6
	s_cbranch_execnz .LBB278_206
.LBB278_187:
	s_or_b32 exec_lo, exec_lo, s0
	s_and_saveexec_b32 s0, s7
	s_cbranch_execnz .LBB278_207
.LBB278_188:
	s_or_b32 exec_lo, exec_lo, s0
	s_and_saveexec_b32 s0, s8
	s_cbranch_execnz .LBB278_208
.LBB278_189:
	s_or_b32 exec_lo, exec_lo, s0
	s_and_saveexec_b32 s0, s9
	s_cbranch_execnz .LBB278_209
.LBB278_190:
	s_or_b32 exec_lo, exec_lo, s0
	s_and_saveexec_b32 s0, s10
	s_cbranch_execnz .LBB278_210
.LBB278_191:
	s_or_b32 exec_lo, exec_lo, s0
	s_and_saveexec_b32 s0, s11
	s_cbranch_execnz .LBB278_211
.LBB278_192:
	s_or_b32 exec_lo, exec_lo, s0
	s_and_saveexec_b32 s0, s12
	s_cbranch_execnz .LBB278_212
.LBB278_193:
	s_or_b32 exec_lo, exec_lo, s0
	s_and_saveexec_b32 s0, s13
	s_cbranch_execnz .LBB278_213
.LBB278_194:
	s_or_b32 exec_lo, exec_lo, s0
	s_and_saveexec_b32 s0, s14
	s_cbranch_execz .LBB278_196
.LBB278_195:
	flat_store_b32 v[2:3], v9 offset:3584
.LBB278_196:
	s_or_b32 exec_lo, exec_lo, s0
.LBB278_197:
	s_and_saveexec_b32 s0, s24
	s_cbranch_execnz .LBB278_199
; %bb.198:
	s_endpgm
.LBB278_199:
	flat_store_b32 v[2:3], v6 offset:3840
	s_endpgm
.LBB278_200:
	flat_store_b32 v[2:3], v1
	s_or_b32 exec_lo, exec_lo, s0
	s_and_saveexec_b32 s0, s1
	s_cbranch_execz .LBB278_182
.LBB278_201:
	flat_store_b32 v[2:3], v5 offset:256
	s_or_b32 exec_lo, exec_lo, s0
	s_and_saveexec_b32 s0, s2
	s_cbranch_execz .LBB278_183
.LBB278_202:
	flat_store_b32 v[2:3], v11 offset:512
	s_or_b32 exec_lo, exec_lo, s0
	s_and_saveexec_b32 s0, s3
	s_cbranch_execz .LBB278_184
.LBB278_203:
	flat_store_b32 v[2:3], v15 offset:768
	s_or_b32 exec_lo, exec_lo, s0
	s_and_saveexec_b32 s0, s4
	s_cbranch_execz .LBB278_185
.LBB278_204:
	flat_store_b32 v[2:3], v19 offset:1024
	s_or_b32 exec_lo, exec_lo, s0
	s_and_saveexec_b32 s0, s5
	s_cbranch_execz .LBB278_186
.LBB278_205:
	flat_store_b32 v[2:3], v23 offset:1280
	s_or_b32 exec_lo, exec_lo, s0
	s_and_saveexec_b32 s0, s6
	s_cbranch_execz .LBB278_187
.LBB278_206:
	flat_store_b32 v[2:3], v27 offset:1536
	s_or_b32 exec_lo, exec_lo, s0
	s_and_saveexec_b32 s0, s7
	s_cbranch_execz .LBB278_188
.LBB278_207:
	flat_store_b32 v[2:3], v31 offset:1792
	s_or_b32 exec_lo, exec_lo, s0
	s_and_saveexec_b32 s0, s8
	s_cbranch_execz .LBB278_189
.LBB278_208:
	flat_store_b32 v[2:3], v32 offset:2048
	s_or_b32 exec_lo, exec_lo, s0
	s_and_saveexec_b32 s0, s9
	s_cbranch_execz .LBB278_190
.LBB278_209:
	flat_store_b32 v[2:3], v28 offset:2304
	s_or_b32 exec_lo, exec_lo, s0
	s_and_saveexec_b32 s0, s10
	s_cbranch_execz .LBB278_191
.LBB278_210:
	flat_store_b32 v[2:3], v24 offset:2560
	s_or_b32 exec_lo, exec_lo, s0
	s_and_saveexec_b32 s0, s11
	s_cbranch_execz .LBB278_192
.LBB278_211:
	flat_store_b32 v[2:3], v20 offset:2816
	s_or_b32 exec_lo, exec_lo, s0
	s_and_saveexec_b32 s0, s12
	s_cbranch_execz .LBB278_193
.LBB278_212:
	flat_store_b32 v[2:3], v16 offset:3072
	s_or_b32 exec_lo, exec_lo, s0
	s_and_saveexec_b32 s0, s13
	s_cbranch_execz .LBB278_194
.LBB278_213:
	flat_store_b32 v[2:3], v12 offset:3328
	s_or_b32 exec_lo, exec_lo, s0
	s_and_saveexec_b32 s0, s14
	s_cbranch_execnz .LBB278_195
	s_branch .LBB278_196
	.section	.rodata,"a",@progbits
	.p2align	6, 0x0
	.amdhsa_kernel _ZN7rocprim17ROCPRIM_400000_NS6detail17trampoline_kernelINS0_14default_configENS1_27lower_bound_config_selectorIyiEEZNS1_14transform_implILb0ES3_S5_N6thrust23THRUST_200600_302600_NS6detail15normal_iteratorINS8_10device_ptrIyEEEENSA_INSB_IiEEEEZNS1_13binary_searchIS3_S5_SD_SD_SF_NS1_21lower_bound_search_opENS9_16wrapped_functionINS0_4lessIvEEbEEEE10hipError_tPvRmT1_T2_T3_mmT4_T5_P12ihipStream_tbEUlRKyE_EESM_SQ_SR_mSS_SV_bEUlT_E_NS1_11comp_targetILNS1_3genE9ELNS1_11target_archE1100ELNS1_3gpuE3ELNS1_3repE0EEENS1_30default_config_static_selectorELNS0_4arch9wavefront6targetE0EEEvSP_
		.amdhsa_group_segment_fixed_size 0
		.amdhsa_private_segment_fixed_size 0
		.amdhsa_kernarg_size 312
		.amdhsa_user_sgpr_count 15
		.amdhsa_user_sgpr_dispatch_ptr 0
		.amdhsa_user_sgpr_queue_ptr 0
		.amdhsa_user_sgpr_kernarg_segment_ptr 1
		.amdhsa_user_sgpr_dispatch_id 0
		.amdhsa_user_sgpr_private_segment_size 0
		.amdhsa_wavefront_size32 1
		.amdhsa_uses_dynamic_stack 0
		.amdhsa_enable_private_segment 0
		.amdhsa_system_sgpr_workgroup_id_x 1
		.amdhsa_system_sgpr_workgroup_id_y 0
		.amdhsa_system_sgpr_workgroup_id_z 0
		.amdhsa_system_sgpr_workgroup_info 0
		.amdhsa_system_vgpr_workitem_id 0
		.amdhsa_next_free_vgpr 42
		.amdhsa_next_free_sgpr 28
		.amdhsa_reserve_vcc 1
		.amdhsa_float_round_mode_32 0
		.amdhsa_float_round_mode_16_64 0
		.amdhsa_float_denorm_mode_32 3
		.amdhsa_float_denorm_mode_16_64 3
		.amdhsa_dx10_clamp 1
		.amdhsa_ieee_mode 1
		.amdhsa_fp16_overflow 0
		.amdhsa_workgroup_processor_mode 1
		.amdhsa_memory_ordered 1
		.amdhsa_forward_progress 0
		.amdhsa_shared_vgpr_count 0
		.amdhsa_exception_fp_ieee_invalid_op 0
		.amdhsa_exception_fp_denorm_src 0
		.amdhsa_exception_fp_ieee_div_zero 0
		.amdhsa_exception_fp_ieee_overflow 0
		.amdhsa_exception_fp_ieee_underflow 0
		.amdhsa_exception_fp_ieee_inexact 0
		.amdhsa_exception_int_div_zero 0
	.end_amdhsa_kernel
	.section	.text._ZN7rocprim17ROCPRIM_400000_NS6detail17trampoline_kernelINS0_14default_configENS1_27lower_bound_config_selectorIyiEEZNS1_14transform_implILb0ES3_S5_N6thrust23THRUST_200600_302600_NS6detail15normal_iteratorINS8_10device_ptrIyEEEENSA_INSB_IiEEEEZNS1_13binary_searchIS3_S5_SD_SD_SF_NS1_21lower_bound_search_opENS9_16wrapped_functionINS0_4lessIvEEbEEEE10hipError_tPvRmT1_T2_T3_mmT4_T5_P12ihipStream_tbEUlRKyE_EESM_SQ_SR_mSS_SV_bEUlT_E_NS1_11comp_targetILNS1_3genE9ELNS1_11target_archE1100ELNS1_3gpuE3ELNS1_3repE0EEENS1_30default_config_static_selectorELNS0_4arch9wavefront6targetE0EEEvSP_,"axG",@progbits,_ZN7rocprim17ROCPRIM_400000_NS6detail17trampoline_kernelINS0_14default_configENS1_27lower_bound_config_selectorIyiEEZNS1_14transform_implILb0ES3_S5_N6thrust23THRUST_200600_302600_NS6detail15normal_iteratorINS8_10device_ptrIyEEEENSA_INSB_IiEEEEZNS1_13binary_searchIS3_S5_SD_SD_SF_NS1_21lower_bound_search_opENS9_16wrapped_functionINS0_4lessIvEEbEEEE10hipError_tPvRmT1_T2_T3_mmT4_T5_P12ihipStream_tbEUlRKyE_EESM_SQ_SR_mSS_SV_bEUlT_E_NS1_11comp_targetILNS1_3genE9ELNS1_11target_archE1100ELNS1_3gpuE3ELNS1_3repE0EEENS1_30default_config_static_selectorELNS0_4arch9wavefront6targetE0EEEvSP_,comdat
.Lfunc_end278:
	.size	_ZN7rocprim17ROCPRIM_400000_NS6detail17trampoline_kernelINS0_14default_configENS1_27lower_bound_config_selectorIyiEEZNS1_14transform_implILb0ES3_S5_N6thrust23THRUST_200600_302600_NS6detail15normal_iteratorINS8_10device_ptrIyEEEENSA_INSB_IiEEEEZNS1_13binary_searchIS3_S5_SD_SD_SF_NS1_21lower_bound_search_opENS9_16wrapped_functionINS0_4lessIvEEbEEEE10hipError_tPvRmT1_T2_T3_mmT4_T5_P12ihipStream_tbEUlRKyE_EESM_SQ_SR_mSS_SV_bEUlT_E_NS1_11comp_targetILNS1_3genE9ELNS1_11target_archE1100ELNS1_3gpuE3ELNS1_3repE0EEENS1_30default_config_static_selectorELNS0_4arch9wavefront6targetE0EEEvSP_, .Lfunc_end278-_ZN7rocprim17ROCPRIM_400000_NS6detail17trampoline_kernelINS0_14default_configENS1_27lower_bound_config_selectorIyiEEZNS1_14transform_implILb0ES3_S5_N6thrust23THRUST_200600_302600_NS6detail15normal_iteratorINS8_10device_ptrIyEEEENSA_INSB_IiEEEEZNS1_13binary_searchIS3_S5_SD_SD_SF_NS1_21lower_bound_search_opENS9_16wrapped_functionINS0_4lessIvEEbEEEE10hipError_tPvRmT1_T2_T3_mmT4_T5_P12ihipStream_tbEUlRKyE_EESM_SQ_SR_mSS_SV_bEUlT_E_NS1_11comp_targetILNS1_3genE9ELNS1_11target_archE1100ELNS1_3gpuE3ELNS1_3repE0EEENS1_30default_config_static_selectorELNS0_4arch9wavefront6targetE0EEEvSP_
                                        ; -- End function
	.section	.AMDGPU.csdata,"",@progbits
; Kernel info:
; codeLenInByte = 9560
; NumSgprs: 30
; NumVgprs: 42
; ScratchSize: 0
; MemoryBound: 0
; FloatMode: 240
; IeeeMode: 1
; LDSByteSize: 0 bytes/workgroup (compile time only)
; SGPRBlocks: 3
; VGPRBlocks: 5
; NumSGPRsForWavesPerEU: 30
; NumVGPRsForWavesPerEU: 42
; Occupancy: 16
; WaveLimiterHint : 1
; COMPUTE_PGM_RSRC2:SCRATCH_EN: 0
; COMPUTE_PGM_RSRC2:USER_SGPR: 15
; COMPUTE_PGM_RSRC2:TRAP_HANDLER: 0
; COMPUTE_PGM_RSRC2:TGID_X_EN: 1
; COMPUTE_PGM_RSRC2:TGID_Y_EN: 0
; COMPUTE_PGM_RSRC2:TGID_Z_EN: 0
; COMPUTE_PGM_RSRC2:TIDIG_COMP_CNT: 0
	.section	.text._ZN7rocprim17ROCPRIM_400000_NS6detail17trampoline_kernelINS0_14default_configENS1_27lower_bound_config_selectorIyiEEZNS1_14transform_implILb0ES3_S5_N6thrust23THRUST_200600_302600_NS6detail15normal_iteratorINS8_10device_ptrIyEEEENSA_INSB_IiEEEEZNS1_13binary_searchIS3_S5_SD_SD_SF_NS1_21lower_bound_search_opENS9_16wrapped_functionINS0_4lessIvEEbEEEE10hipError_tPvRmT1_T2_T3_mmT4_T5_P12ihipStream_tbEUlRKyE_EESM_SQ_SR_mSS_SV_bEUlT_E_NS1_11comp_targetILNS1_3genE8ELNS1_11target_archE1030ELNS1_3gpuE2ELNS1_3repE0EEENS1_30default_config_static_selectorELNS0_4arch9wavefront6targetE0EEEvSP_,"axG",@progbits,_ZN7rocprim17ROCPRIM_400000_NS6detail17trampoline_kernelINS0_14default_configENS1_27lower_bound_config_selectorIyiEEZNS1_14transform_implILb0ES3_S5_N6thrust23THRUST_200600_302600_NS6detail15normal_iteratorINS8_10device_ptrIyEEEENSA_INSB_IiEEEEZNS1_13binary_searchIS3_S5_SD_SD_SF_NS1_21lower_bound_search_opENS9_16wrapped_functionINS0_4lessIvEEbEEEE10hipError_tPvRmT1_T2_T3_mmT4_T5_P12ihipStream_tbEUlRKyE_EESM_SQ_SR_mSS_SV_bEUlT_E_NS1_11comp_targetILNS1_3genE8ELNS1_11target_archE1030ELNS1_3gpuE2ELNS1_3repE0EEENS1_30default_config_static_selectorELNS0_4arch9wavefront6targetE0EEEvSP_,comdat
	.protected	_ZN7rocprim17ROCPRIM_400000_NS6detail17trampoline_kernelINS0_14default_configENS1_27lower_bound_config_selectorIyiEEZNS1_14transform_implILb0ES3_S5_N6thrust23THRUST_200600_302600_NS6detail15normal_iteratorINS8_10device_ptrIyEEEENSA_INSB_IiEEEEZNS1_13binary_searchIS3_S5_SD_SD_SF_NS1_21lower_bound_search_opENS9_16wrapped_functionINS0_4lessIvEEbEEEE10hipError_tPvRmT1_T2_T3_mmT4_T5_P12ihipStream_tbEUlRKyE_EESM_SQ_SR_mSS_SV_bEUlT_E_NS1_11comp_targetILNS1_3genE8ELNS1_11target_archE1030ELNS1_3gpuE2ELNS1_3repE0EEENS1_30default_config_static_selectorELNS0_4arch9wavefront6targetE0EEEvSP_ ; -- Begin function _ZN7rocprim17ROCPRIM_400000_NS6detail17trampoline_kernelINS0_14default_configENS1_27lower_bound_config_selectorIyiEEZNS1_14transform_implILb0ES3_S5_N6thrust23THRUST_200600_302600_NS6detail15normal_iteratorINS8_10device_ptrIyEEEENSA_INSB_IiEEEEZNS1_13binary_searchIS3_S5_SD_SD_SF_NS1_21lower_bound_search_opENS9_16wrapped_functionINS0_4lessIvEEbEEEE10hipError_tPvRmT1_T2_T3_mmT4_T5_P12ihipStream_tbEUlRKyE_EESM_SQ_SR_mSS_SV_bEUlT_E_NS1_11comp_targetILNS1_3genE8ELNS1_11target_archE1030ELNS1_3gpuE2ELNS1_3repE0EEENS1_30default_config_static_selectorELNS0_4arch9wavefront6targetE0EEEvSP_
	.globl	_ZN7rocprim17ROCPRIM_400000_NS6detail17trampoline_kernelINS0_14default_configENS1_27lower_bound_config_selectorIyiEEZNS1_14transform_implILb0ES3_S5_N6thrust23THRUST_200600_302600_NS6detail15normal_iteratorINS8_10device_ptrIyEEEENSA_INSB_IiEEEEZNS1_13binary_searchIS3_S5_SD_SD_SF_NS1_21lower_bound_search_opENS9_16wrapped_functionINS0_4lessIvEEbEEEE10hipError_tPvRmT1_T2_T3_mmT4_T5_P12ihipStream_tbEUlRKyE_EESM_SQ_SR_mSS_SV_bEUlT_E_NS1_11comp_targetILNS1_3genE8ELNS1_11target_archE1030ELNS1_3gpuE2ELNS1_3repE0EEENS1_30default_config_static_selectorELNS0_4arch9wavefront6targetE0EEEvSP_
	.p2align	8
	.type	_ZN7rocprim17ROCPRIM_400000_NS6detail17trampoline_kernelINS0_14default_configENS1_27lower_bound_config_selectorIyiEEZNS1_14transform_implILb0ES3_S5_N6thrust23THRUST_200600_302600_NS6detail15normal_iteratorINS8_10device_ptrIyEEEENSA_INSB_IiEEEEZNS1_13binary_searchIS3_S5_SD_SD_SF_NS1_21lower_bound_search_opENS9_16wrapped_functionINS0_4lessIvEEbEEEE10hipError_tPvRmT1_T2_T3_mmT4_T5_P12ihipStream_tbEUlRKyE_EESM_SQ_SR_mSS_SV_bEUlT_E_NS1_11comp_targetILNS1_3genE8ELNS1_11target_archE1030ELNS1_3gpuE2ELNS1_3repE0EEENS1_30default_config_static_selectorELNS0_4arch9wavefront6targetE0EEEvSP_,@function
_ZN7rocprim17ROCPRIM_400000_NS6detail17trampoline_kernelINS0_14default_configENS1_27lower_bound_config_selectorIyiEEZNS1_14transform_implILb0ES3_S5_N6thrust23THRUST_200600_302600_NS6detail15normal_iteratorINS8_10device_ptrIyEEEENSA_INSB_IiEEEEZNS1_13binary_searchIS3_S5_SD_SD_SF_NS1_21lower_bound_search_opENS9_16wrapped_functionINS0_4lessIvEEbEEEE10hipError_tPvRmT1_T2_T3_mmT4_T5_P12ihipStream_tbEUlRKyE_EESM_SQ_SR_mSS_SV_bEUlT_E_NS1_11comp_targetILNS1_3genE8ELNS1_11target_archE1030ELNS1_3gpuE2ELNS1_3repE0EEENS1_30default_config_static_selectorELNS0_4arch9wavefront6targetE0EEEvSP_: ; @_ZN7rocprim17ROCPRIM_400000_NS6detail17trampoline_kernelINS0_14default_configENS1_27lower_bound_config_selectorIyiEEZNS1_14transform_implILb0ES3_S5_N6thrust23THRUST_200600_302600_NS6detail15normal_iteratorINS8_10device_ptrIyEEEENSA_INSB_IiEEEEZNS1_13binary_searchIS3_S5_SD_SD_SF_NS1_21lower_bound_search_opENS9_16wrapped_functionINS0_4lessIvEEbEEEE10hipError_tPvRmT1_T2_T3_mmT4_T5_P12ihipStream_tbEUlRKyE_EESM_SQ_SR_mSS_SV_bEUlT_E_NS1_11comp_targetILNS1_3genE8ELNS1_11target_archE1030ELNS1_3gpuE2ELNS1_3repE0EEENS1_30default_config_static_selectorELNS0_4arch9wavefront6targetE0EEEvSP_
; %bb.0:
	.section	.rodata,"a",@progbits
	.p2align	6, 0x0
	.amdhsa_kernel _ZN7rocprim17ROCPRIM_400000_NS6detail17trampoline_kernelINS0_14default_configENS1_27lower_bound_config_selectorIyiEEZNS1_14transform_implILb0ES3_S5_N6thrust23THRUST_200600_302600_NS6detail15normal_iteratorINS8_10device_ptrIyEEEENSA_INSB_IiEEEEZNS1_13binary_searchIS3_S5_SD_SD_SF_NS1_21lower_bound_search_opENS9_16wrapped_functionINS0_4lessIvEEbEEEE10hipError_tPvRmT1_T2_T3_mmT4_T5_P12ihipStream_tbEUlRKyE_EESM_SQ_SR_mSS_SV_bEUlT_E_NS1_11comp_targetILNS1_3genE8ELNS1_11target_archE1030ELNS1_3gpuE2ELNS1_3repE0EEENS1_30default_config_static_selectorELNS0_4arch9wavefront6targetE0EEEvSP_
		.amdhsa_group_segment_fixed_size 0
		.amdhsa_private_segment_fixed_size 0
		.amdhsa_kernarg_size 56
		.amdhsa_user_sgpr_count 15
		.amdhsa_user_sgpr_dispatch_ptr 0
		.amdhsa_user_sgpr_queue_ptr 0
		.amdhsa_user_sgpr_kernarg_segment_ptr 1
		.amdhsa_user_sgpr_dispatch_id 0
		.amdhsa_user_sgpr_private_segment_size 0
		.amdhsa_wavefront_size32 1
		.amdhsa_uses_dynamic_stack 0
		.amdhsa_enable_private_segment 0
		.amdhsa_system_sgpr_workgroup_id_x 1
		.amdhsa_system_sgpr_workgroup_id_y 0
		.amdhsa_system_sgpr_workgroup_id_z 0
		.amdhsa_system_sgpr_workgroup_info 0
		.amdhsa_system_vgpr_workitem_id 0
		.amdhsa_next_free_vgpr 1
		.amdhsa_next_free_sgpr 1
		.amdhsa_reserve_vcc 0
		.amdhsa_float_round_mode_32 0
		.amdhsa_float_round_mode_16_64 0
		.amdhsa_float_denorm_mode_32 3
		.amdhsa_float_denorm_mode_16_64 3
		.amdhsa_dx10_clamp 1
		.amdhsa_ieee_mode 1
		.amdhsa_fp16_overflow 0
		.amdhsa_workgroup_processor_mode 1
		.amdhsa_memory_ordered 1
		.amdhsa_forward_progress 0
		.amdhsa_shared_vgpr_count 0
		.amdhsa_exception_fp_ieee_invalid_op 0
		.amdhsa_exception_fp_denorm_src 0
		.amdhsa_exception_fp_ieee_div_zero 0
		.amdhsa_exception_fp_ieee_overflow 0
		.amdhsa_exception_fp_ieee_underflow 0
		.amdhsa_exception_fp_ieee_inexact 0
		.amdhsa_exception_int_div_zero 0
	.end_amdhsa_kernel
	.section	.text._ZN7rocprim17ROCPRIM_400000_NS6detail17trampoline_kernelINS0_14default_configENS1_27lower_bound_config_selectorIyiEEZNS1_14transform_implILb0ES3_S5_N6thrust23THRUST_200600_302600_NS6detail15normal_iteratorINS8_10device_ptrIyEEEENSA_INSB_IiEEEEZNS1_13binary_searchIS3_S5_SD_SD_SF_NS1_21lower_bound_search_opENS9_16wrapped_functionINS0_4lessIvEEbEEEE10hipError_tPvRmT1_T2_T3_mmT4_T5_P12ihipStream_tbEUlRKyE_EESM_SQ_SR_mSS_SV_bEUlT_E_NS1_11comp_targetILNS1_3genE8ELNS1_11target_archE1030ELNS1_3gpuE2ELNS1_3repE0EEENS1_30default_config_static_selectorELNS0_4arch9wavefront6targetE0EEEvSP_,"axG",@progbits,_ZN7rocprim17ROCPRIM_400000_NS6detail17trampoline_kernelINS0_14default_configENS1_27lower_bound_config_selectorIyiEEZNS1_14transform_implILb0ES3_S5_N6thrust23THRUST_200600_302600_NS6detail15normal_iteratorINS8_10device_ptrIyEEEENSA_INSB_IiEEEEZNS1_13binary_searchIS3_S5_SD_SD_SF_NS1_21lower_bound_search_opENS9_16wrapped_functionINS0_4lessIvEEbEEEE10hipError_tPvRmT1_T2_T3_mmT4_T5_P12ihipStream_tbEUlRKyE_EESM_SQ_SR_mSS_SV_bEUlT_E_NS1_11comp_targetILNS1_3genE8ELNS1_11target_archE1030ELNS1_3gpuE2ELNS1_3repE0EEENS1_30default_config_static_selectorELNS0_4arch9wavefront6targetE0EEEvSP_,comdat
.Lfunc_end279:
	.size	_ZN7rocprim17ROCPRIM_400000_NS6detail17trampoline_kernelINS0_14default_configENS1_27lower_bound_config_selectorIyiEEZNS1_14transform_implILb0ES3_S5_N6thrust23THRUST_200600_302600_NS6detail15normal_iteratorINS8_10device_ptrIyEEEENSA_INSB_IiEEEEZNS1_13binary_searchIS3_S5_SD_SD_SF_NS1_21lower_bound_search_opENS9_16wrapped_functionINS0_4lessIvEEbEEEE10hipError_tPvRmT1_T2_T3_mmT4_T5_P12ihipStream_tbEUlRKyE_EESM_SQ_SR_mSS_SV_bEUlT_E_NS1_11comp_targetILNS1_3genE8ELNS1_11target_archE1030ELNS1_3gpuE2ELNS1_3repE0EEENS1_30default_config_static_selectorELNS0_4arch9wavefront6targetE0EEEvSP_, .Lfunc_end279-_ZN7rocprim17ROCPRIM_400000_NS6detail17trampoline_kernelINS0_14default_configENS1_27lower_bound_config_selectorIyiEEZNS1_14transform_implILb0ES3_S5_N6thrust23THRUST_200600_302600_NS6detail15normal_iteratorINS8_10device_ptrIyEEEENSA_INSB_IiEEEEZNS1_13binary_searchIS3_S5_SD_SD_SF_NS1_21lower_bound_search_opENS9_16wrapped_functionINS0_4lessIvEEbEEEE10hipError_tPvRmT1_T2_T3_mmT4_T5_P12ihipStream_tbEUlRKyE_EESM_SQ_SR_mSS_SV_bEUlT_E_NS1_11comp_targetILNS1_3genE8ELNS1_11target_archE1030ELNS1_3gpuE2ELNS1_3repE0EEENS1_30default_config_static_selectorELNS0_4arch9wavefront6targetE0EEEvSP_
                                        ; -- End function
	.section	.AMDGPU.csdata,"",@progbits
; Kernel info:
; codeLenInByte = 0
; NumSgprs: 0
; NumVgprs: 0
; ScratchSize: 0
; MemoryBound: 0
; FloatMode: 240
; IeeeMode: 1
; LDSByteSize: 0 bytes/workgroup (compile time only)
; SGPRBlocks: 0
; VGPRBlocks: 0
; NumSGPRsForWavesPerEU: 1
; NumVGPRsForWavesPerEU: 1
; Occupancy: 16
; WaveLimiterHint : 0
; COMPUTE_PGM_RSRC2:SCRATCH_EN: 0
; COMPUTE_PGM_RSRC2:USER_SGPR: 15
; COMPUTE_PGM_RSRC2:TRAP_HANDLER: 0
; COMPUTE_PGM_RSRC2:TGID_X_EN: 1
; COMPUTE_PGM_RSRC2:TGID_Y_EN: 0
; COMPUTE_PGM_RSRC2:TGID_Z_EN: 0
; COMPUTE_PGM_RSRC2:TIDIG_COMP_CNT: 0
	.section	.text._ZN6thrust23THRUST_200600_302600_NS11hip_rocprim14__parallel_for6kernelILj256ENS1_10__tabulate7functorINS0_6detail15normal_iteratorINS0_10device_ptrIjEEEENS0_6system6detail7generic6detail22compute_sequence_valueIjvEElEElLj1EEEvT0_T1_SJ_,"axG",@progbits,_ZN6thrust23THRUST_200600_302600_NS11hip_rocprim14__parallel_for6kernelILj256ENS1_10__tabulate7functorINS0_6detail15normal_iteratorINS0_10device_ptrIjEEEENS0_6system6detail7generic6detail22compute_sequence_valueIjvEElEElLj1EEEvT0_T1_SJ_,comdat
	.protected	_ZN6thrust23THRUST_200600_302600_NS11hip_rocprim14__parallel_for6kernelILj256ENS1_10__tabulate7functorINS0_6detail15normal_iteratorINS0_10device_ptrIjEEEENS0_6system6detail7generic6detail22compute_sequence_valueIjvEElEElLj1EEEvT0_T1_SJ_ ; -- Begin function _ZN6thrust23THRUST_200600_302600_NS11hip_rocprim14__parallel_for6kernelILj256ENS1_10__tabulate7functorINS0_6detail15normal_iteratorINS0_10device_ptrIjEEEENS0_6system6detail7generic6detail22compute_sequence_valueIjvEElEElLj1EEEvT0_T1_SJ_
	.globl	_ZN6thrust23THRUST_200600_302600_NS11hip_rocprim14__parallel_for6kernelILj256ENS1_10__tabulate7functorINS0_6detail15normal_iteratorINS0_10device_ptrIjEEEENS0_6system6detail7generic6detail22compute_sequence_valueIjvEElEElLj1EEEvT0_T1_SJ_
	.p2align	8
	.type	_ZN6thrust23THRUST_200600_302600_NS11hip_rocprim14__parallel_for6kernelILj256ENS1_10__tabulate7functorINS0_6detail15normal_iteratorINS0_10device_ptrIjEEEENS0_6system6detail7generic6detail22compute_sequence_valueIjvEElEElLj1EEEvT0_T1_SJ_,@function
_ZN6thrust23THRUST_200600_302600_NS11hip_rocprim14__parallel_for6kernelILj256ENS1_10__tabulate7functorINS0_6detail15normal_iteratorINS0_10device_ptrIjEEEENS0_6system6detail7generic6detail22compute_sequence_valueIjvEElEElLj1EEEvT0_T1_SJ_: ; @_ZN6thrust23THRUST_200600_302600_NS11hip_rocprim14__parallel_for6kernelILj256ENS1_10__tabulate7functorINS0_6detail15normal_iteratorINS0_10device_ptrIjEEEENS0_6system6detail7generic6detail22compute_sequence_valueIjvEElEElLj1EEEvT0_T1_SJ_
; %bb.0:
	s_load_b128 s[4:7], s[0:1], 0x10
	s_lshl_b32 s2, s15, 8
	s_waitcnt lgkmcnt(0)
	s_add_u32 s2, s2, s6
	s_addc_u32 s3, 0, s7
	s_sub_u32 s4, s4, s2
	s_subb_u32 s5, s5, s3
	s_delay_alu instid0(SALU_CYCLE_1) | instskip(NEXT) | instid1(VALU_DEP_1)
	v_cmp_gt_i64_e64 s5, 0x100, s[4:5]
	s_and_b32 s5, s5, exec_lo
	s_cselect_b32 s4, s4, 0x100
	s_delay_alu instid0(SALU_CYCLE_1) | instskip(SKIP_2) | instid1(SALU_CYCLE_1)
	v_cmp_gt_u32_e32 vcc_lo, s4, v0
	s_cmpk_eq_i32 s4, 0x100
	s_cselect_b32 s4, -1, 0
	s_or_b32 s4, s4, vcc_lo
	s_delay_alu instid0(SALU_CYCLE_1)
	s_and_saveexec_b32 s5, s4
	s_cbranch_execz .LBB280_2
; %bb.1:
	s_load_b128 s[4:7], s[0:1], 0x0
	v_add_co_u32 v0, s0, s2, v0
	s_delay_alu instid0(VALU_DEP_1) | instskip(NEXT) | instid1(VALU_DEP_1)
	v_add_co_ci_u32_e64 v1, null, s3, 0, s0
	v_lshlrev_b64 v[1:2], 2, v[0:1]
	s_waitcnt lgkmcnt(0)
	v_mad_u64_u32 v[3:4], null, s7, v0, s[6:7]
	s_delay_alu instid0(VALU_DEP_2) | instskip(NEXT) | instid1(VALU_DEP_3)
	v_add_co_u32 v0, vcc_lo, s4, v1
	v_add_co_ci_u32_e32 v1, vcc_lo, s5, v2, vcc_lo
	flat_store_b32 v[0:1], v3
.LBB280_2:
	s_endpgm
	.section	.rodata,"a",@progbits
	.p2align	6, 0x0
	.amdhsa_kernel _ZN6thrust23THRUST_200600_302600_NS11hip_rocprim14__parallel_for6kernelILj256ENS1_10__tabulate7functorINS0_6detail15normal_iteratorINS0_10device_ptrIjEEEENS0_6system6detail7generic6detail22compute_sequence_valueIjvEElEElLj1EEEvT0_T1_SJ_
		.amdhsa_group_segment_fixed_size 0
		.amdhsa_private_segment_fixed_size 0
		.amdhsa_kernarg_size 32
		.amdhsa_user_sgpr_count 15
		.amdhsa_user_sgpr_dispatch_ptr 0
		.amdhsa_user_sgpr_queue_ptr 0
		.amdhsa_user_sgpr_kernarg_segment_ptr 1
		.amdhsa_user_sgpr_dispatch_id 0
		.amdhsa_user_sgpr_private_segment_size 0
		.amdhsa_wavefront_size32 1
		.amdhsa_uses_dynamic_stack 0
		.amdhsa_enable_private_segment 0
		.amdhsa_system_sgpr_workgroup_id_x 1
		.amdhsa_system_sgpr_workgroup_id_y 0
		.amdhsa_system_sgpr_workgroup_id_z 0
		.amdhsa_system_sgpr_workgroup_info 0
		.amdhsa_system_vgpr_workitem_id 0
		.amdhsa_next_free_vgpr 5
		.amdhsa_next_free_sgpr 16
		.amdhsa_reserve_vcc 1
		.amdhsa_float_round_mode_32 0
		.amdhsa_float_round_mode_16_64 0
		.amdhsa_float_denorm_mode_32 3
		.amdhsa_float_denorm_mode_16_64 3
		.amdhsa_dx10_clamp 1
		.amdhsa_ieee_mode 1
		.amdhsa_fp16_overflow 0
		.amdhsa_workgroup_processor_mode 1
		.amdhsa_memory_ordered 1
		.amdhsa_forward_progress 0
		.amdhsa_shared_vgpr_count 0
		.amdhsa_exception_fp_ieee_invalid_op 0
		.amdhsa_exception_fp_denorm_src 0
		.amdhsa_exception_fp_ieee_div_zero 0
		.amdhsa_exception_fp_ieee_overflow 0
		.amdhsa_exception_fp_ieee_underflow 0
		.amdhsa_exception_fp_ieee_inexact 0
		.amdhsa_exception_int_div_zero 0
	.end_amdhsa_kernel
	.section	.text._ZN6thrust23THRUST_200600_302600_NS11hip_rocprim14__parallel_for6kernelILj256ENS1_10__tabulate7functorINS0_6detail15normal_iteratorINS0_10device_ptrIjEEEENS0_6system6detail7generic6detail22compute_sequence_valueIjvEElEElLj1EEEvT0_T1_SJ_,"axG",@progbits,_ZN6thrust23THRUST_200600_302600_NS11hip_rocprim14__parallel_for6kernelILj256ENS1_10__tabulate7functorINS0_6detail15normal_iteratorINS0_10device_ptrIjEEEENS0_6system6detail7generic6detail22compute_sequence_valueIjvEElEElLj1EEEvT0_T1_SJ_,comdat
.Lfunc_end280:
	.size	_ZN6thrust23THRUST_200600_302600_NS11hip_rocprim14__parallel_for6kernelILj256ENS1_10__tabulate7functorINS0_6detail15normal_iteratorINS0_10device_ptrIjEEEENS0_6system6detail7generic6detail22compute_sequence_valueIjvEElEElLj1EEEvT0_T1_SJ_, .Lfunc_end280-_ZN6thrust23THRUST_200600_302600_NS11hip_rocprim14__parallel_for6kernelILj256ENS1_10__tabulate7functorINS0_6detail15normal_iteratorINS0_10device_ptrIjEEEENS0_6system6detail7generic6detail22compute_sequence_valueIjvEElEElLj1EEEvT0_T1_SJ_
                                        ; -- End function
	.section	.AMDGPU.csdata,"",@progbits
; Kernel info:
; codeLenInByte = 168
; NumSgprs: 18
; NumVgprs: 5
; ScratchSize: 0
; MemoryBound: 0
; FloatMode: 240
; IeeeMode: 1
; LDSByteSize: 0 bytes/workgroup (compile time only)
; SGPRBlocks: 2
; VGPRBlocks: 0
; NumSGPRsForWavesPerEU: 18
; NumVGPRsForWavesPerEU: 5
; Occupancy: 16
; WaveLimiterHint : 0
; COMPUTE_PGM_RSRC2:SCRATCH_EN: 0
; COMPUTE_PGM_RSRC2:USER_SGPR: 15
; COMPUTE_PGM_RSRC2:TRAP_HANDLER: 0
; COMPUTE_PGM_RSRC2:TGID_X_EN: 1
; COMPUTE_PGM_RSRC2:TGID_Y_EN: 0
; COMPUTE_PGM_RSRC2:TGID_Z_EN: 0
; COMPUTE_PGM_RSRC2:TIDIG_COMP_CNT: 0
	.section	.text._ZN7rocprim17ROCPRIM_400000_NS6detail17trampoline_kernelINS0_14default_configENS1_27lower_bound_config_selectorIjiEEZNS1_14transform_implILb0ES3_S5_N6thrust23THRUST_200600_302600_NS6detail15normal_iteratorINS8_10device_ptrIjEEEENSA_INSB_IiEEEEZNS1_13binary_searchIS3_S5_SD_SD_SF_NS1_21lower_bound_search_opENS9_16wrapped_functionINS0_4lessIvEEbEEEE10hipError_tPvRmT1_T2_T3_mmT4_T5_P12ihipStream_tbEUlRKjE_EESM_SQ_SR_mSS_SV_bEUlT_E_NS1_11comp_targetILNS1_3genE0ELNS1_11target_archE4294967295ELNS1_3gpuE0ELNS1_3repE0EEENS1_30default_config_static_selectorELNS0_4arch9wavefront6targetE0EEEvSP_,"axG",@progbits,_ZN7rocprim17ROCPRIM_400000_NS6detail17trampoline_kernelINS0_14default_configENS1_27lower_bound_config_selectorIjiEEZNS1_14transform_implILb0ES3_S5_N6thrust23THRUST_200600_302600_NS6detail15normal_iteratorINS8_10device_ptrIjEEEENSA_INSB_IiEEEEZNS1_13binary_searchIS3_S5_SD_SD_SF_NS1_21lower_bound_search_opENS9_16wrapped_functionINS0_4lessIvEEbEEEE10hipError_tPvRmT1_T2_T3_mmT4_T5_P12ihipStream_tbEUlRKjE_EESM_SQ_SR_mSS_SV_bEUlT_E_NS1_11comp_targetILNS1_3genE0ELNS1_11target_archE4294967295ELNS1_3gpuE0ELNS1_3repE0EEENS1_30default_config_static_selectorELNS0_4arch9wavefront6targetE0EEEvSP_,comdat
	.protected	_ZN7rocprim17ROCPRIM_400000_NS6detail17trampoline_kernelINS0_14default_configENS1_27lower_bound_config_selectorIjiEEZNS1_14transform_implILb0ES3_S5_N6thrust23THRUST_200600_302600_NS6detail15normal_iteratorINS8_10device_ptrIjEEEENSA_INSB_IiEEEEZNS1_13binary_searchIS3_S5_SD_SD_SF_NS1_21lower_bound_search_opENS9_16wrapped_functionINS0_4lessIvEEbEEEE10hipError_tPvRmT1_T2_T3_mmT4_T5_P12ihipStream_tbEUlRKjE_EESM_SQ_SR_mSS_SV_bEUlT_E_NS1_11comp_targetILNS1_3genE0ELNS1_11target_archE4294967295ELNS1_3gpuE0ELNS1_3repE0EEENS1_30default_config_static_selectorELNS0_4arch9wavefront6targetE0EEEvSP_ ; -- Begin function _ZN7rocprim17ROCPRIM_400000_NS6detail17trampoline_kernelINS0_14default_configENS1_27lower_bound_config_selectorIjiEEZNS1_14transform_implILb0ES3_S5_N6thrust23THRUST_200600_302600_NS6detail15normal_iteratorINS8_10device_ptrIjEEEENSA_INSB_IiEEEEZNS1_13binary_searchIS3_S5_SD_SD_SF_NS1_21lower_bound_search_opENS9_16wrapped_functionINS0_4lessIvEEbEEEE10hipError_tPvRmT1_T2_T3_mmT4_T5_P12ihipStream_tbEUlRKjE_EESM_SQ_SR_mSS_SV_bEUlT_E_NS1_11comp_targetILNS1_3genE0ELNS1_11target_archE4294967295ELNS1_3gpuE0ELNS1_3repE0EEENS1_30default_config_static_selectorELNS0_4arch9wavefront6targetE0EEEvSP_
	.globl	_ZN7rocprim17ROCPRIM_400000_NS6detail17trampoline_kernelINS0_14default_configENS1_27lower_bound_config_selectorIjiEEZNS1_14transform_implILb0ES3_S5_N6thrust23THRUST_200600_302600_NS6detail15normal_iteratorINS8_10device_ptrIjEEEENSA_INSB_IiEEEEZNS1_13binary_searchIS3_S5_SD_SD_SF_NS1_21lower_bound_search_opENS9_16wrapped_functionINS0_4lessIvEEbEEEE10hipError_tPvRmT1_T2_T3_mmT4_T5_P12ihipStream_tbEUlRKjE_EESM_SQ_SR_mSS_SV_bEUlT_E_NS1_11comp_targetILNS1_3genE0ELNS1_11target_archE4294967295ELNS1_3gpuE0ELNS1_3repE0EEENS1_30default_config_static_selectorELNS0_4arch9wavefront6targetE0EEEvSP_
	.p2align	8
	.type	_ZN7rocprim17ROCPRIM_400000_NS6detail17trampoline_kernelINS0_14default_configENS1_27lower_bound_config_selectorIjiEEZNS1_14transform_implILb0ES3_S5_N6thrust23THRUST_200600_302600_NS6detail15normal_iteratorINS8_10device_ptrIjEEEENSA_INSB_IiEEEEZNS1_13binary_searchIS3_S5_SD_SD_SF_NS1_21lower_bound_search_opENS9_16wrapped_functionINS0_4lessIvEEbEEEE10hipError_tPvRmT1_T2_T3_mmT4_T5_P12ihipStream_tbEUlRKjE_EESM_SQ_SR_mSS_SV_bEUlT_E_NS1_11comp_targetILNS1_3genE0ELNS1_11target_archE4294967295ELNS1_3gpuE0ELNS1_3repE0EEENS1_30default_config_static_selectorELNS0_4arch9wavefront6targetE0EEEvSP_,@function
_ZN7rocprim17ROCPRIM_400000_NS6detail17trampoline_kernelINS0_14default_configENS1_27lower_bound_config_selectorIjiEEZNS1_14transform_implILb0ES3_S5_N6thrust23THRUST_200600_302600_NS6detail15normal_iteratorINS8_10device_ptrIjEEEENSA_INSB_IiEEEEZNS1_13binary_searchIS3_S5_SD_SD_SF_NS1_21lower_bound_search_opENS9_16wrapped_functionINS0_4lessIvEEbEEEE10hipError_tPvRmT1_T2_T3_mmT4_T5_P12ihipStream_tbEUlRKjE_EESM_SQ_SR_mSS_SV_bEUlT_E_NS1_11comp_targetILNS1_3genE0ELNS1_11target_archE4294967295ELNS1_3gpuE0ELNS1_3repE0EEENS1_30default_config_static_selectorELNS0_4arch9wavefront6targetE0EEEvSP_: ; @_ZN7rocprim17ROCPRIM_400000_NS6detail17trampoline_kernelINS0_14default_configENS1_27lower_bound_config_selectorIjiEEZNS1_14transform_implILb0ES3_S5_N6thrust23THRUST_200600_302600_NS6detail15normal_iteratorINS8_10device_ptrIjEEEENSA_INSB_IiEEEEZNS1_13binary_searchIS3_S5_SD_SD_SF_NS1_21lower_bound_search_opENS9_16wrapped_functionINS0_4lessIvEEbEEEE10hipError_tPvRmT1_T2_T3_mmT4_T5_P12ihipStream_tbEUlRKjE_EESM_SQ_SR_mSS_SV_bEUlT_E_NS1_11comp_targetILNS1_3genE0ELNS1_11target_archE4294967295ELNS1_3gpuE0ELNS1_3repE0EEENS1_30default_config_static_selectorELNS0_4arch9wavefront6targetE0EEEvSP_
; %bb.0:
	.section	.rodata,"a",@progbits
	.p2align	6, 0x0
	.amdhsa_kernel _ZN7rocprim17ROCPRIM_400000_NS6detail17trampoline_kernelINS0_14default_configENS1_27lower_bound_config_selectorIjiEEZNS1_14transform_implILb0ES3_S5_N6thrust23THRUST_200600_302600_NS6detail15normal_iteratorINS8_10device_ptrIjEEEENSA_INSB_IiEEEEZNS1_13binary_searchIS3_S5_SD_SD_SF_NS1_21lower_bound_search_opENS9_16wrapped_functionINS0_4lessIvEEbEEEE10hipError_tPvRmT1_T2_T3_mmT4_T5_P12ihipStream_tbEUlRKjE_EESM_SQ_SR_mSS_SV_bEUlT_E_NS1_11comp_targetILNS1_3genE0ELNS1_11target_archE4294967295ELNS1_3gpuE0ELNS1_3repE0EEENS1_30default_config_static_selectorELNS0_4arch9wavefront6targetE0EEEvSP_
		.amdhsa_group_segment_fixed_size 0
		.amdhsa_private_segment_fixed_size 0
		.amdhsa_kernarg_size 56
		.amdhsa_user_sgpr_count 15
		.amdhsa_user_sgpr_dispatch_ptr 0
		.amdhsa_user_sgpr_queue_ptr 0
		.amdhsa_user_sgpr_kernarg_segment_ptr 1
		.amdhsa_user_sgpr_dispatch_id 0
		.amdhsa_user_sgpr_private_segment_size 0
		.amdhsa_wavefront_size32 1
		.amdhsa_uses_dynamic_stack 0
		.amdhsa_enable_private_segment 0
		.amdhsa_system_sgpr_workgroup_id_x 1
		.amdhsa_system_sgpr_workgroup_id_y 0
		.amdhsa_system_sgpr_workgroup_id_z 0
		.amdhsa_system_sgpr_workgroup_info 0
		.amdhsa_system_vgpr_workitem_id 0
		.amdhsa_next_free_vgpr 1
		.amdhsa_next_free_sgpr 1
		.amdhsa_reserve_vcc 0
		.amdhsa_float_round_mode_32 0
		.amdhsa_float_round_mode_16_64 0
		.amdhsa_float_denorm_mode_32 3
		.amdhsa_float_denorm_mode_16_64 3
		.amdhsa_dx10_clamp 1
		.amdhsa_ieee_mode 1
		.amdhsa_fp16_overflow 0
		.amdhsa_workgroup_processor_mode 1
		.amdhsa_memory_ordered 1
		.amdhsa_forward_progress 0
		.amdhsa_shared_vgpr_count 0
		.amdhsa_exception_fp_ieee_invalid_op 0
		.amdhsa_exception_fp_denorm_src 0
		.amdhsa_exception_fp_ieee_div_zero 0
		.amdhsa_exception_fp_ieee_overflow 0
		.amdhsa_exception_fp_ieee_underflow 0
		.amdhsa_exception_fp_ieee_inexact 0
		.amdhsa_exception_int_div_zero 0
	.end_amdhsa_kernel
	.section	.text._ZN7rocprim17ROCPRIM_400000_NS6detail17trampoline_kernelINS0_14default_configENS1_27lower_bound_config_selectorIjiEEZNS1_14transform_implILb0ES3_S5_N6thrust23THRUST_200600_302600_NS6detail15normal_iteratorINS8_10device_ptrIjEEEENSA_INSB_IiEEEEZNS1_13binary_searchIS3_S5_SD_SD_SF_NS1_21lower_bound_search_opENS9_16wrapped_functionINS0_4lessIvEEbEEEE10hipError_tPvRmT1_T2_T3_mmT4_T5_P12ihipStream_tbEUlRKjE_EESM_SQ_SR_mSS_SV_bEUlT_E_NS1_11comp_targetILNS1_3genE0ELNS1_11target_archE4294967295ELNS1_3gpuE0ELNS1_3repE0EEENS1_30default_config_static_selectorELNS0_4arch9wavefront6targetE0EEEvSP_,"axG",@progbits,_ZN7rocprim17ROCPRIM_400000_NS6detail17trampoline_kernelINS0_14default_configENS1_27lower_bound_config_selectorIjiEEZNS1_14transform_implILb0ES3_S5_N6thrust23THRUST_200600_302600_NS6detail15normal_iteratorINS8_10device_ptrIjEEEENSA_INSB_IiEEEEZNS1_13binary_searchIS3_S5_SD_SD_SF_NS1_21lower_bound_search_opENS9_16wrapped_functionINS0_4lessIvEEbEEEE10hipError_tPvRmT1_T2_T3_mmT4_T5_P12ihipStream_tbEUlRKjE_EESM_SQ_SR_mSS_SV_bEUlT_E_NS1_11comp_targetILNS1_3genE0ELNS1_11target_archE4294967295ELNS1_3gpuE0ELNS1_3repE0EEENS1_30default_config_static_selectorELNS0_4arch9wavefront6targetE0EEEvSP_,comdat
.Lfunc_end281:
	.size	_ZN7rocprim17ROCPRIM_400000_NS6detail17trampoline_kernelINS0_14default_configENS1_27lower_bound_config_selectorIjiEEZNS1_14transform_implILb0ES3_S5_N6thrust23THRUST_200600_302600_NS6detail15normal_iteratorINS8_10device_ptrIjEEEENSA_INSB_IiEEEEZNS1_13binary_searchIS3_S5_SD_SD_SF_NS1_21lower_bound_search_opENS9_16wrapped_functionINS0_4lessIvEEbEEEE10hipError_tPvRmT1_T2_T3_mmT4_T5_P12ihipStream_tbEUlRKjE_EESM_SQ_SR_mSS_SV_bEUlT_E_NS1_11comp_targetILNS1_3genE0ELNS1_11target_archE4294967295ELNS1_3gpuE0ELNS1_3repE0EEENS1_30default_config_static_selectorELNS0_4arch9wavefront6targetE0EEEvSP_, .Lfunc_end281-_ZN7rocprim17ROCPRIM_400000_NS6detail17trampoline_kernelINS0_14default_configENS1_27lower_bound_config_selectorIjiEEZNS1_14transform_implILb0ES3_S5_N6thrust23THRUST_200600_302600_NS6detail15normal_iteratorINS8_10device_ptrIjEEEENSA_INSB_IiEEEEZNS1_13binary_searchIS3_S5_SD_SD_SF_NS1_21lower_bound_search_opENS9_16wrapped_functionINS0_4lessIvEEbEEEE10hipError_tPvRmT1_T2_T3_mmT4_T5_P12ihipStream_tbEUlRKjE_EESM_SQ_SR_mSS_SV_bEUlT_E_NS1_11comp_targetILNS1_3genE0ELNS1_11target_archE4294967295ELNS1_3gpuE0ELNS1_3repE0EEENS1_30default_config_static_selectorELNS0_4arch9wavefront6targetE0EEEvSP_
                                        ; -- End function
	.section	.AMDGPU.csdata,"",@progbits
; Kernel info:
; codeLenInByte = 0
; NumSgprs: 0
; NumVgprs: 0
; ScratchSize: 0
; MemoryBound: 0
; FloatMode: 240
; IeeeMode: 1
; LDSByteSize: 0 bytes/workgroup (compile time only)
; SGPRBlocks: 0
; VGPRBlocks: 0
; NumSGPRsForWavesPerEU: 1
; NumVGPRsForWavesPerEU: 1
; Occupancy: 16
; WaveLimiterHint : 0
; COMPUTE_PGM_RSRC2:SCRATCH_EN: 0
; COMPUTE_PGM_RSRC2:USER_SGPR: 15
; COMPUTE_PGM_RSRC2:TRAP_HANDLER: 0
; COMPUTE_PGM_RSRC2:TGID_X_EN: 1
; COMPUTE_PGM_RSRC2:TGID_Y_EN: 0
; COMPUTE_PGM_RSRC2:TGID_Z_EN: 0
; COMPUTE_PGM_RSRC2:TIDIG_COMP_CNT: 0
	.section	.text._ZN7rocprim17ROCPRIM_400000_NS6detail17trampoline_kernelINS0_14default_configENS1_27lower_bound_config_selectorIjiEEZNS1_14transform_implILb0ES3_S5_N6thrust23THRUST_200600_302600_NS6detail15normal_iteratorINS8_10device_ptrIjEEEENSA_INSB_IiEEEEZNS1_13binary_searchIS3_S5_SD_SD_SF_NS1_21lower_bound_search_opENS9_16wrapped_functionINS0_4lessIvEEbEEEE10hipError_tPvRmT1_T2_T3_mmT4_T5_P12ihipStream_tbEUlRKjE_EESM_SQ_SR_mSS_SV_bEUlT_E_NS1_11comp_targetILNS1_3genE5ELNS1_11target_archE942ELNS1_3gpuE9ELNS1_3repE0EEENS1_30default_config_static_selectorELNS0_4arch9wavefront6targetE0EEEvSP_,"axG",@progbits,_ZN7rocprim17ROCPRIM_400000_NS6detail17trampoline_kernelINS0_14default_configENS1_27lower_bound_config_selectorIjiEEZNS1_14transform_implILb0ES3_S5_N6thrust23THRUST_200600_302600_NS6detail15normal_iteratorINS8_10device_ptrIjEEEENSA_INSB_IiEEEEZNS1_13binary_searchIS3_S5_SD_SD_SF_NS1_21lower_bound_search_opENS9_16wrapped_functionINS0_4lessIvEEbEEEE10hipError_tPvRmT1_T2_T3_mmT4_T5_P12ihipStream_tbEUlRKjE_EESM_SQ_SR_mSS_SV_bEUlT_E_NS1_11comp_targetILNS1_3genE5ELNS1_11target_archE942ELNS1_3gpuE9ELNS1_3repE0EEENS1_30default_config_static_selectorELNS0_4arch9wavefront6targetE0EEEvSP_,comdat
	.protected	_ZN7rocprim17ROCPRIM_400000_NS6detail17trampoline_kernelINS0_14default_configENS1_27lower_bound_config_selectorIjiEEZNS1_14transform_implILb0ES3_S5_N6thrust23THRUST_200600_302600_NS6detail15normal_iteratorINS8_10device_ptrIjEEEENSA_INSB_IiEEEEZNS1_13binary_searchIS3_S5_SD_SD_SF_NS1_21lower_bound_search_opENS9_16wrapped_functionINS0_4lessIvEEbEEEE10hipError_tPvRmT1_T2_T3_mmT4_T5_P12ihipStream_tbEUlRKjE_EESM_SQ_SR_mSS_SV_bEUlT_E_NS1_11comp_targetILNS1_3genE5ELNS1_11target_archE942ELNS1_3gpuE9ELNS1_3repE0EEENS1_30default_config_static_selectorELNS0_4arch9wavefront6targetE0EEEvSP_ ; -- Begin function _ZN7rocprim17ROCPRIM_400000_NS6detail17trampoline_kernelINS0_14default_configENS1_27lower_bound_config_selectorIjiEEZNS1_14transform_implILb0ES3_S5_N6thrust23THRUST_200600_302600_NS6detail15normal_iteratorINS8_10device_ptrIjEEEENSA_INSB_IiEEEEZNS1_13binary_searchIS3_S5_SD_SD_SF_NS1_21lower_bound_search_opENS9_16wrapped_functionINS0_4lessIvEEbEEEE10hipError_tPvRmT1_T2_T3_mmT4_T5_P12ihipStream_tbEUlRKjE_EESM_SQ_SR_mSS_SV_bEUlT_E_NS1_11comp_targetILNS1_3genE5ELNS1_11target_archE942ELNS1_3gpuE9ELNS1_3repE0EEENS1_30default_config_static_selectorELNS0_4arch9wavefront6targetE0EEEvSP_
	.globl	_ZN7rocprim17ROCPRIM_400000_NS6detail17trampoline_kernelINS0_14default_configENS1_27lower_bound_config_selectorIjiEEZNS1_14transform_implILb0ES3_S5_N6thrust23THRUST_200600_302600_NS6detail15normal_iteratorINS8_10device_ptrIjEEEENSA_INSB_IiEEEEZNS1_13binary_searchIS3_S5_SD_SD_SF_NS1_21lower_bound_search_opENS9_16wrapped_functionINS0_4lessIvEEbEEEE10hipError_tPvRmT1_T2_T3_mmT4_T5_P12ihipStream_tbEUlRKjE_EESM_SQ_SR_mSS_SV_bEUlT_E_NS1_11comp_targetILNS1_3genE5ELNS1_11target_archE942ELNS1_3gpuE9ELNS1_3repE0EEENS1_30default_config_static_selectorELNS0_4arch9wavefront6targetE0EEEvSP_
	.p2align	8
	.type	_ZN7rocprim17ROCPRIM_400000_NS6detail17trampoline_kernelINS0_14default_configENS1_27lower_bound_config_selectorIjiEEZNS1_14transform_implILb0ES3_S5_N6thrust23THRUST_200600_302600_NS6detail15normal_iteratorINS8_10device_ptrIjEEEENSA_INSB_IiEEEEZNS1_13binary_searchIS3_S5_SD_SD_SF_NS1_21lower_bound_search_opENS9_16wrapped_functionINS0_4lessIvEEbEEEE10hipError_tPvRmT1_T2_T3_mmT4_T5_P12ihipStream_tbEUlRKjE_EESM_SQ_SR_mSS_SV_bEUlT_E_NS1_11comp_targetILNS1_3genE5ELNS1_11target_archE942ELNS1_3gpuE9ELNS1_3repE0EEENS1_30default_config_static_selectorELNS0_4arch9wavefront6targetE0EEEvSP_,@function
_ZN7rocprim17ROCPRIM_400000_NS6detail17trampoline_kernelINS0_14default_configENS1_27lower_bound_config_selectorIjiEEZNS1_14transform_implILb0ES3_S5_N6thrust23THRUST_200600_302600_NS6detail15normal_iteratorINS8_10device_ptrIjEEEENSA_INSB_IiEEEEZNS1_13binary_searchIS3_S5_SD_SD_SF_NS1_21lower_bound_search_opENS9_16wrapped_functionINS0_4lessIvEEbEEEE10hipError_tPvRmT1_T2_T3_mmT4_T5_P12ihipStream_tbEUlRKjE_EESM_SQ_SR_mSS_SV_bEUlT_E_NS1_11comp_targetILNS1_3genE5ELNS1_11target_archE942ELNS1_3gpuE9ELNS1_3repE0EEENS1_30default_config_static_selectorELNS0_4arch9wavefront6targetE0EEEvSP_: ; @_ZN7rocprim17ROCPRIM_400000_NS6detail17trampoline_kernelINS0_14default_configENS1_27lower_bound_config_selectorIjiEEZNS1_14transform_implILb0ES3_S5_N6thrust23THRUST_200600_302600_NS6detail15normal_iteratorINS8_10device_ptrIjEEEENSA_INSB_IiEEEEZNS1_13binary_searchIS3_S5_SD_SD_SF_NS1_21lower_bound_search_opENS9_16wrapped_functionINS0_4lessIvEEbEEEE10hipError_tPvRmT1_T2_T3_mmT4_T5_P12ihipStream_tbEUlRKjE_EESM_SQ_SR_mSS_SV_bEUlT_E_NS1_11comp_targetILNS1_3genE5ELNS1_11target_archE942ELNS1_3gpuE9ELNS1_3repE0EEENS1_30default_config_static_selectorELNS0_4arch9wavefront6targetE0EEEvSP_
; %bb.0:
	.section	.rodata,"a",@progbits
	.p2align	6, 0x0
	.amdhsa_kernel _ZN7rocprim17ROCPRIM_400000_NS6detail17trampoline_kernelINS0_14default_configENS1_27lower_bound_config_selectorIjiEEZNS1_14transform_implILb0ES3_S5_N6thrust23THRUST_200600_302600_NS6detail15normal_iteratorINS8_10device_ptrIjEEEENSA_INSB_IiEEEEZNS1_13binary_searchIS3_S5_SD_SD_SF_NS1_21lower_bound_search_opENS9_16wrapped_functionINS0_4lessIvEEbEEEE10hipError_tPvRmT1_T2_T3_mmT4_T5_P12ihipStream_tbEUlRKjE_EESM_SQ_SR_mSS_SV_bEUlT_E_NS1_11comp_targetILNS1_3genE5ELNS1_11target_archE942ELNS1_3gpuE9ELNS1_3repE0EEENS1_30default_config_static_selectorELNS0_4arch9wavefront6targetE0EEEvSP_
		.amdhsa_group_segment_fixed_size 0
		.amdhsa_private_segment_fixed_size 0
		.amdhsa_kernarg_size 56
		.amdhsa_user_sgpr_count 15
		.amdhsa_user_sgpr_dispatch_ptr 0
		.amdhsa_user_sgpr_queue_ptr 0
		.amdhsa_user_sgpr_kernarg_segment_ptr 1
		.amdhsa_user_sgpr_dispatch_id 0
		.amdhsa_user_sgpr_private_segment_size 0
		.amdhsa_wavefront_size32 1
		.amdhsa_uses_dynamic_stack 0
		.amdhsa_enable_private_segment 0
		.amdhsa_system_sgpr_workgroup_id_x 1
		.amdhsa_system_sgpr_workgroup_id_y 0
		.amdhsa_system_sgpr_workgroup_id_z 0
		.amdhsa_system_sgpr_workgroup_info 0
		.amdhsa_system_vgpr_workitem_id 0
		.amdhsa_next_free_vgpr 1
		.amdhsa_next_free_sgpr 1
		.amdhsa_reserve_vcc 0
		.amdhsa_float_round_mode_32 0
		.amdhsa_float_round_mode_16_64 0
		.amdhsa_float_denorm_mode_32 3
		.amdhsa_float_denorm_mode_16_64 3
		.amdhsa_dx10_clamp 1
		.amdhsa_ieee_mode 1
		.amdhsa_fp16_overflow 0
		.amdhsa_workgroup_processor_mode 1
		.amdhsa_memory_ordered 1
		.amdhsa_forward_progress 0
		.amdhsa_shared_vgpr_count 0
		.amdhsa_exception_fp_ieee_invalid_op 0
		.amdhsa_exception_fp_denorm_src 0
		.amdhsa_exception_fp_ieee_div_zero 0
		.amdhsa_exception_fp_ieee_overflow 0
		.amdhsa_exception_fp_ieee_underflow 0
		.amdhsa_exception_fp_ieee_inexact 0
		.amdhsa_exception_int_div_zero 0
	.end_amdhsa_kernel
	.section	.text._ZN7rocprim17ROCPRIM_400000_NS6detail17trampoline_kernelINS0_14default_configENS1_27lower_bound_config_selectorIjiEEZNS1_14transform_implILb0ES3_S5_N6thrust23THRUST_200600_302600_NS6detail15normal_iteratorINS8_10device_ptrIjEEEENSA_INSB_IiEEEEZNS1_13binary_searchIS3_S5_SD_SD_SF_NS1_21lower_bound_search_opENS9_16wrapped_functionINS0_4lessIvEEbEEEE10hipError_tPvRmT1_T2_T3_mmT4_T5_P12ihipStream_tbEUlRKjE_EESM_SQ_SR_mSS_SV_bEUlT_E_NS1_11comp_targetILNS1_3genE5ELNS1_11target_archE942ELNS1_3gpuE9ELNS1_3repE0EEENS1_30default_config_static_selectorELNS0_4arch9wavefront6targetE0EEEvSP_,"axG",@progbits,_ZN7rocprim17ROCPRIM_400000_NS6detail17trampoline_kernelINS0_14default_configENS1_27lower_bound_config_selectorIjiEEZNS1_14transform_implILb0ES3_S5_N6thrust23THRUST_200600_302600_NS6detail15normal_iteratorINS8_10device_ptrIjEEEENSA_INSB_IiEEEEZNS1_13binary_searchIS3_S5_SD_SD_SF_NS1_21lower_bound_search_opENS9_16wrapped_functionINS0_4lessIvEEbEEEE10hipError_tPvRmT1_T2_T3_mmT4_T5_P12ihipStream_tbEUlRKjE_EESM_SQ_SR_mSS_SV_bEUlT_E_NS1_11comp_targetILNS1_3genE5ELNS1_11target_archE942ELNS1_3gpuE9ELNS1_3repE0EEENS1_30default_config_static_selectorELNS0_4arch9wavefront6targetE0EEEvSP_,comdat
.Lfunc_end282:
	.size	_ZN7rocprim17ROCPRIM_400000_NS6detail17trampoline_kernelINS0_14default_configENS1_27lower_bound_config_selectorIjiEEZNS1_14transform_implILb0ES3_S5_N6thrust23THRUST_200600_302600_NS6detail15normal_iteratorINS8_10device_ptrIjEEEENSA_INSB_IiEEEEZNS1_13binary_searchIS3_S5_SD_SD_SF_NS1_21lower_bound_search_opENS9_16wrapped_functionINS0_4lessIvEEbEEEE10hipError_tPvRmT1_T2_T3_mmT4_T5_P12ihipStream_tbEUlRKjE_EESM_SQ_SR_mSS_SV_bEUlT_E_NS1_11comp_targetILNS1_3genE5ELNS1_11target_archE942ELNS1_3gpuE9ELNS1_3repE0EEENS1_30default_config_static_selectorELNS0_4arch9wavefront6targetE0EEEvSP_, .Lfunc_end282-_ZN7rocprim17ROCPRIM_400000_NS6detail17trampoline_kernelINS0_14default_configENS1_27lower_bound_config_selectorIjiEEZNS1_14transform_implILb0ES3_S5_N6thrust23THRUST_200600_302600_NS6detail15normal_iteratorINS8_10device_ptrIjEEEENSA_INSB_IiEEEEZNS1_13binary_searchIS3_S5_SD_SD_SF_NS1_21lower_bound_search_opENS9_16wrapped_functionINS0_4lessIvEEbEEEE10hipError_tPvRmT1_T2_T3_mmT4_T5_P12ihipStream_tbEUlRKjE_EESM_SQ_SR_mSS_SV_bEUlT_E_NS1_11comp_targetILNS1_3genE5ELNS1_11target_archE942ELNS1_3gpuE9ELNS1_3repE0EEENS1_30default_config_static_selectorELNS0_4arch9wavefront6targetE0EEEvSP_
                                        ; -- End function
	.section	.AMDGPU.csdata,"",@progbits
; Kernel info:
; codeLenInByte = 0
; NumSgprs: 0
; NumVgprs: 0
; ScratchSize: 0
; MemoryBound: 0
; FloatMode: 240
; IeeeMode: 1
; LDSByteSize: 0 bytes/workgroup (compile time only)
; SGPRBlocks: 0
; VGPRBlocks: 0
; NumSGPRsForWavesPerEU: 1
; NumVGPRsForWavesPerEU: 1
; Occupancy: 16
; WaveLimiterHint : 0
; COMPUTE_PGM_RSRC2:SCRATCH_EN: 0
; COMPUTE_PGM_RSRC2:USER_SGPR: 15
; COMPUTE_PGM_RSRC2:TRAP_HANDLER: 0
; COMPUTE_PGM_RSRC2:TGID_X_EN: 1
; COMPUTE_PGM_RSRC2:TGID_Y_EN: 0
; COMPUTE_PGM_RSRC2:TGID_Z_EN: 0
; COMPUTE_PGM_RSRC2:TIDIG_COMP_CNT: 0
	.section	.text._ZN7rocprim17ROCPRIM_400000_NS6detail17trampoline_kernelINS0_14default_configENS1_27lower_bound_config_selectorIjiEEZNS1_14transform_implILb0ES3_S5_N6thrust23THRUST_200600_302600_NS6detail15normal_iteratorINS8_10device_ptrIjEEEENSA_INSB_IiEEEEZNS1_13binary_searchIS3_S5_SD_SD_SF_NS1_21lower_bound_search_opENS9_16wrapped_functionINS0_4lessIvEEbEEEE10hipError_tPvRmT1_T2_T3_mmT4_T5_P12ihipStream_tbEUlRKjE_EESM_SQ_SR_mSS_SV_bEUlT_E_NS1_11comp_targetILNS1_3genE4ELNS1_11target_archE910ELNS1_3gpuE8ELNS1_3repE0EEENS1_30default_config_static_selectorELNS0_4arch9wavefront6targetE0EEEvSP_,"axG",@progbits,_ZN7rocprim17ROCPRIM_400000_NS6detail17trampoline_kernelINS0_14default_configENS1_27lower_bound_config_selectorIjiEEZNS1_14transform_implILb0ES3_S5_N6thrust23THRUST_200600_302600_NS6detail15normal_iteratorINS8_10device_ptrIjEEEENSA_INSB_IiEEEEZNS1_13binary_searchIS3_S5_SD_SD_SF_NS1_21lower_bound_search_opENS9_16wrapped_functionINS0_4lessIvEEbEEEE10hipError_tPvRmT1_T2_T3_mmT4_T5_P12ihipStream_tbEUlRKjE_EESM_SQ_SR_mSS_SV_bEUlT_E_NS1_11comp_targetILNS1_3genE4ELNS1_11target_archE910ELNS1_3gpuE8ELNS1_3repE0EEENS1_30default_config_static_selectorELNS0_4arch9wavefront6targetE0EEEvSP_,comdat
	.protected	_ZN7rocprim17ROCPRIM_400000_NS6detail17trampoline_kernelINS0_14default_configENS1_27lower_bound_config_selectorIjiEEZNS1_14transform_implILb0ES3_S5_N6thrust23THRUST_200600_302600_NS6detail15normal_iteratorINS8_10device_ptrIjEEEENSA_INSB_IiEEEEZNS1_13binary_searchIS3_S5_SD_SD_SF_NS1_21lower_bound_search_opENS9_16wrapped_functionINS0_4lessIvEEbEEEE10hipError_tPvRmT1_T2_T3_mmT4_T5_P12ihipStream_tbEUlRKjE_EESM_SQ_SR_mSS_SV_bEUlT_E_NS1_11comp_targetILNS1_3genE4ELNS1_11target_archE910ELNS1_3gpuE8ELNS1_3repE0EEENS1_30default_config_static_selectorELNS0_4arch9wavefront6targetE0EEEvSP_ ; -- Begin function _ZN7rocprim17ROCPRIM_400000_NS6detail17trampoline_kernelINS0_14default_configENS1_27lower_bound_config_selectorIjiEEZNS1_14transform_implILb0ES3_S5_N6thrust23THRUST_200600_302600_NS6detail15normal_iteratorINS8_10device_ptrIjEEEENSA_INSB_IiEEEEZNS1_13binary_searchIS3_S5_SD_SD_SF_NS1_21lower_bound_search_opENS9_16wrapped_functionINS0_4lessIvEEbEEEE10hipError_tPvRmT1_T2_T3_mmT4_T5_P12ihipStream_tbEUlRKjE_EESM_SQ_SR_mSS_SV_bEUlT_E_NS1_11comp_targetILNS1_3genE4ELNS1_11target_archE910ELNS1_3gpuE8ELNS1_3repE0EEENS1_30default_config_static_selectorELNS0_4arch9wavefront6targetE0EEEvSP_
	.globl	_ZN7rocprim17ROCPRIM_400000_NS6detail17trampoline_kernelINS0_14default_configENS1_27lower_bound_config_selectorIjiEEZNS1_14transform_implILb0ES3_S5_N6thrust23THRUST_200600_302600_NS6detail15normal_iteratorINS8_10device_ptrIjEEEENSA_INSB_IiEEEEZNS1_13binary_searchIS3_S5_SD_SD_SF_NS1_21lower_bound_search_opENS9_16wrapped_functionINS0_4lessIvEEbEEEE10hipError_tPvRmT1_T2_T3_mmT4_T5_P12ihipStream_tbEUlRKjE_EESM_SQ_SR_mSS_SV_bEUlT_E_NS1_11comp_targetILNS1_3genE4ELNS1_11target_archE910ELNS1_3gpuE8ELNS1_3repE0EEENS1_30default_config_static_selectorELNS0_4arch9wavefront6targetE0EEEvSP_
	.p2align	8
	.type	_ZN7rocprim17ROCPRIM_400000_NS6detail17trampoline_kernelINS0_14default_configENS1_27lower_bound_config_selectorIjiEEZNS1_14transform_implILb0ES3_S5_N6thrust23THRUST_200600_302600_NS6detail15normal_iteratorINS8_10device_ptrIjEEEENSA_INSB_IiEEEEZNS1_13binary_searchIS3_S5_SD_SD_SF_NS1_21lower_bound_search_opENS9_16wrapped_functionINS0_4lessIvEEbEEEE10hipError_tPvRmT1_T2_T3_mmT4_T5_P12ihipStream_tbEUlRKjE_EESM_SQ_SR_mSS_SV_bEUlT_E_NS1_11comp_targetILNS1_3genE4ELNS1_11target_archE910ELNS1_3gpuE8ELNS1_3repE0EEENS1_30default_config_static_selectorELNS0_4arch9wavefront6targetE0EEEvSP_,@function
_ZN7rocprim17ROCPRIM_400000_NS6detail17trampoline_kernelINS0_14default_configENS1_27lower_bound_config_selectorIjiEEZNS1_14transform_implILb0ES3_S5_N6thrust23THRUST_200600_302600_NS6detail15normal_iteratorINS8_10device_ptrIjEEEENSA_INSB_IiEEEEZNS1_13binary_searchIS3_S5_SD_SD_SF_NS1_21lower_bound_search_opENS9_16wrapped_functionINS0_4lessIvEEbEEEE10hipError_tPvRmT1_T2_T3_mmT4_T5_P12ihipStream_tbEUlRKjE_EESM_SQ_SR_mSS_SV_bEUlT_E_NS1_11comp_targetILNS1_3genE4ELNS1_11target_archE910ELNS1_3gpuE8ELNS1_3repE0EEENS1_30default_config_static_selectorELNS0_4arch9wavefront6targetE0EEEvSP_: ; @_ZN7rocprim17ROCPRIM_400000_NS6detail17trampoline_kernelINS0_14default_configENS1_27lower_bound_config_selectorIjiEEZNS1_14transform_implILb0ES3_S5_N6thrust23THRUST_200600_302600_NS6detail15normal_iteratorINS8_10device_ptrIjEEEENSA_INSB_IiEEEEZNS1_13binary_searchIS3_S5_SD_SD_SF_NS1_21lower_bound_search_opENS9_16wrapped_functionINS0_4lessIvEEbEEEE10hipError_tPvRmT1_T2_T3_mmT4_T5_P12ihipStream_tbEUlRKjE_EESM_SQ_SR_mSS_SV_bEUlT_E_NS1_11comp_targetILNS1_3genE4ELNS1_11target_archE910ELNS1_3gpuE8ELNS1_3repE0EEENS1_30default_config_static_selectorELNS0_4arch9wavefront6targetE0EEEvSP_
; %bb.0:
	.section	.rodata,"a",@progbits
	.p2align	6, 0x0
	.amdhsa_kernel _ZN7rocprim17ROCPRIM_400000_NS6detail17trampoline_kernelINS0_14default_configENS1_27lower_bound_config_selectorIjiEEZNS1_14transform_implILb0ES3_S5_N6thrust23THRUST_200600_302600_NS6detail15normal_iteratorINS8_10device_ptrIjEEEENSA_INSB_IiEEEEZNS1_13binary_searchIS3_S5_SD_SD_SF_NS1_21lower_bound_search_opENS9_16wrapped_functionINS0_4lessIvEEbEEEE10hipError_tPvRmT1_T2_T3_mmT4_T5_P12ihipStream_tbEUlRKjE_EESM_SQ_SR_mSS_SV_bEUlT_E_NS1_11comp_targetILNS1_3genE4ELNS1_11target_archE910ELNS1_3gpuE8ELNS1_3repE0EEENS1_30default_config_static_selectorELNS0_4arch9wavefront6targetE0EEEvSP_
		.amdhsa_group_segment_fixed_size 0
		.amdhsa_private_segment_fixed_size 0
		.amdhsa_kernarg_size 56
		.amdhsa_user_sgpr_count 15
		.amdhsa_user_sgpr_dispatch_ptr 0
		.amdhsa_user_sgpr_queue_ptr 0
		.amdhsa_user_sgpr_kernarg_segment_ptr 1
		.amdhsa_user_sgpr_dispatch_id 0
		.amdhsa_user_sgpr_private_segment_size 0
		.amdhsa_wavefront_size32 1
		.amdhsa_uses_dynamic_stack 0
		.amdhsa_enable_private_segment 0
		.amdhsa_system_sgpr_workgroup_id_x 1
		.amdhsa_system_sgpr_workgroup_id_y 0
		.amdhsa_system_sgpr_workgroup_id_z 0
		.amdhsa_system_sgpr_workgroup_info 0
		.amdhsa_system_vgpr_workitem_id 0
		.amdhsa_next_free_vgpr 1
		.amdhsa_next_free_sgpr 1
		.amdhsa_reserve_vcc 0
		.amdhsa_float_round_mode_32 0
		.amdhsa_float_round_mode_16_64 0
		.amdhsa_float_denorm_mode_32 3
		.amdhsa_float_denorm_mode_16_64 3
		.amdhsa_dx10_clamp 1
		.amdhsa_ieee_mode 1
		.amdhsa_fp16_overflow 0
		.amdhsa_workgroup_processor_mode 1
		.amdhsa_memory_ordered 1
		.amdhsa_forward_progress 0
		.amdhsa_shared_vgpr_count 0
		.amdhsa_exception_fp_ieee_invalid_op 0
		.amdhsa_exception_fp_denorm_src 0
		.amdhsa_exception_fp_ieee_div_zero 0
		.amdhsa_exception_fp_ieee_overflow 0
		.amdhsa_exception_fp_ieee_underflow 0
		.amdhsa_exception_fp_ieee_inexact 0
		.amdhsa_exception_int_div_zero 0
	.end_amdhsa_kernel
	.section	.text._ZN7rocprim17ROCPRIM_400000_NS6detail17trampoline_kernelINS0_14default_configENS1_27lower_bound_config_selectorIjiEEZNS1_14transform_implILb0ES3_S5_N6thrust23THRUST_200600_302600_NS6detail15normal_iteratorINS8_10device_ptrIjEEEENSA_INSB_IiEEEEZNS1_13binary_searchIS3_S5_SD_SD_SF_NS1_21lower_bound_search_opENS9_16wrapped_functionINS0_4lessIvEEbEEEE10hipError_tPvRmT1_T2_T3_mmT4_T5_P12ihipStream_tbEUlRKjE_EESM_SQ_SR_mSS_SV_bEUlT_E_NS1_11comp_targetILNS1_3genE4ELNS1_11target_archE910ELNS1_3gpuE8ELNS1_3repE0EEENS1_30default_config_static_selectorELNS0_4arch9wavefront6targetE0EEEvSP_,"axG",@progbits,_ZN7rocprim17ROCPRIM_400000_NS6detail17trampoline_kernelINS0_14default_configENS1_27lower_bound_config_selectorIjiEEZNS1_14transform_implILb0ES3_S5_N6thrust23THRUST_200600_302600_NS6detail15normal_iteratorINS8_10device_ptrIjEEEENSA_INSB_IiEEEEZNS1_13binary_searchIS3_S5_SD_SD_SF_NS1_21lower_bound_search_opENS9_16wrapped_functionINS0_4lessIvEEbEEEE10hipError_tPvRmT1_T2_T3_mmT4_T5_P12ihipStream_tbEUlRKjE_EESM_SQ_SR_mSS_SV_bEUlT_E_NS1_11comp_targetILNS1_3genE4ELNS1_11target_archE910ELNS1_3gpuE8ELNS1_3repE0EEENS1_30default_config_static_selectorELNS0_4arch9wavefront6targetE0EEEvSP_,comdat
.Lfunc_end283:
	.size	_ZN7rocprim17ROCPRIM_400000_NS6detail17trampoline_kernelINS0_14default_configENS1_27lower_bound_config_selectorIjiEEZNS1_14transform_implILb0ES3_S5_N6thrust23THRUST_200600_302600_NS6detail15normal_iteratorINS8_10device_ptrIjEEEENSA_INSB_IiEEEEZNS1_13binary_searchIS3_S5_SD_SD_SF_NS1_21lower_bound_search_opENS9_16wrapped_functionINS0_4lessIvEEbEEEE10hipError_tPvRmT1_T2_T3_mmT4_T5_P12ihipStream_tbEUlRKjE_EESM_SQ_SR_mSS_SV_bEUlT_E_NS1_11comp_targetILNS1_3genE4ELNS1_11target_archE910ELNS1_3gpuE8ELNS1_3repE0EEENS1_30default_config_static_selectorELNS0_4arch9wavefront6targetE0EEEvSP_, .Lfunc_end283-_ZN7rocprim17ROCPRIM_400000_NS6detail17trampoline_kernelINS0_14default_configENS1_27lower_bound_config_selectorIjiEEZNS1_14transform_implILb0ES3_S5_N6thrust23THRUST_200600_302600_NS6detail15normal_iteratorINS8_10device_ptrIjEEEENSA_INSB_IiEEEEZNS1_13binary_searchIS3_S5_SD_SD_SF_NS1_21lower_bound_search_opENS9_16wrapped_functionINS0_4lessIvEEbEEEE10hipError_tPvRmT1_T2_T3_mmT4_T5_P12ihipStream_tbEUlRKjE_EESM_SQ_SR_mSS_SV_bEUlT_E_NS1_11comp_targetILNS1_3genE4ELNS1_11target_archE910ELNS1_3gpuE8ELNS1_3repE0EEENS1_30default_config_static_selectorELNS0_4arch9wavefront6targetE0EEEvSP_
                                        ; -- End function
	.section	.AMDGPU.csdata,"",@progbits
; Kernel info:
; codeLenInByte = 0
; NumSgprs: 0
; NumVgprs: 0
; ScratchSize: 0
; MemoryBound: 0
; FloatMode: 240
; IeeeMode: 1
; LDSByteSize: 0 bytes/workgroup (compile time only)
; SGPRBlocks: 0
; VGPRBlocks: 0
; NumSGPRsForWavesPerEU: 1
; NumVGPRsForWavesPerEU: 1
; Occupancy: 16
; WaveLimiterHint : 0
; COMPUTE_PGM_RSRC2:SCRATCH_EN: 0
; COMPUTE_PGM_RSRC2:USER_SGPR: 15
; COMPUTE_PGM_RSRC2:TRAP_HANDLER: 0
; COMPUTE_PGM_RSRC2:TGID_X_EN: 1
; COMPUTE_PGM_RSRC2:TGID_Y_EN: 0
; COMPUTE_PGM_RSRC2:TGID_Z_EN: 0
; COMPUTE_PGM_RSRC2:TIDIG_COMP_CNT: 0
	.section	.text._ZN7rocprim17ROCPRIM_400000_NS6detail17trampoline_kernelINS0_14default_configENS1_27lower_bound_config_selectorIjiEEZNS1_14transform_implILb0ES3_S5_N6thrust23THRUST_200600_302600_NS6detail15normal_iteratorINS8_10device_ptrIjEEEENSA_INSB_IiEEEEZNS1_13binary_searchIS3_S5_SD_SD_SF_NS1_21lower_bound_search_opENS9_16wrapped_functionINS0_4lessIvEEbEEEE10hipError_tPvRmT1_T2_T3_mmT4_T5_P12ihipStream_tbEUlRKjE_EESM_SQ_SR_mSS_SV_bEUlT_E_NS1_11comp_targetILNS1_3genE3ELNS1_11target_archE908ELNS1_3gpuE7ELNS1_3repE0EEENS1_30default_config_static_selectorELNS0_4arch9wavefront6targetE0EEEvSP_,"axG",@progbits,_ZN7rocprim17ROCPRIM_400000_NS6detail17trampoline_kernelINS0_14default_configENS1_27lower_bound_config_selectorIjiEEZNS1_14transform_implILb0ES3_S5_N6thrust23THRUST_200600_302600_NS6detail15normal_iteratorINS8_10device_ptrIjEEEENSA_INSB_IiEEEEZNS1_13binary_searchIS3_S5_SD_SD_SF_NS1_21lower_bound_search_opENS9_16wrapped_functionINS0_4lessIvEEbEEEE10hipError_tPvRmT1_T2_T3_mmT4_T5_P12ihipStream_tbEUlRKjE_EESM_SQ_SR_mSS_SV_bEUlT_E_NS1_11comp_targetILNS1_3genE3ELNS1_11target_archE908ELNS1_3gpuE7ELNS1_3repE0EEENS1_30default_config_static_selectorELNS0_4arch9wavefront6targetE0EEEvSP_,comdat
	.protected	_ZN7rocprim17ROCPRIM_400000_NS6detail17trampoline_kernelINS0_14default_configENS1_27lower_bound_config_selectorIjiEEZNS1_14transform_implILb0ES3_S5_N6thrust23THRUST_200600_302600_NS6detail15normal_iteratorINS8_10device_ptrIjEEEENSA_INSB_IiEEEEZNS1_13binary_searchIS3_S5_SD_SD_SF_NS1_21lower_bound_search_opENS9_16wrapped_functionINS0_4lessIvEEbEEEE10hipError_tPvRmT1_T2_T3_mmT4_T5_P12ihipStream_tbEUlRKjE_EESM_SQ_SR_mSS_SV_bEUlT_E_NS1_11comp_targetILNS1_3genE3ELNS1_11target_archE908ELNS1_3gpuE7ELNS1_3repE0EEENS1_30default_config_static_selectorELNS0_4arch9wavefront6targetE0EEEvSP_ ; -- Begin function _ZN7rocprim17ROCPRIM_400000_NS6detail17trampoline_kernelINS0_14default_configENS1_27lower_bound_config_selectorIjiEEZNS1_14transform_implILb0ES3_S5_N6thrust23THRUST_200600_302600_NS6detail15normal_iteratorINS8_10device_ptrIjEEEENSA_INSB_IiEEEEZNS1_13binary_searchIS3_S5_SD_SD_SF_NS1_21lower_bound_search_opENS9_16wrapped_functionINS0_4lessIvEEbEEEE10hipError_tPvRmT1_T2_T3_mmT4_T5_P12ihipStream_tbEUlRKjE_EESM_SQ_SR_mSS_SV_bEUlT_E_NS1_11comp_targetILNS1_3genE3ELNS1_11target_archE908ELNS1_3gpuE7ELNS1_3repE0EEENS1_30default_config_static_selectorELNS0_4arch9wavefront6targetE0EEEvSP_
	.globl	_ZN7rocprim17ROCPRIM_400000_NS6detail17trampoline_kernelINS0_14default_configENS1_27lower_bound_config_selectorIjiEEZNS1_14transform_implILb0ES3_S5_N6thrust23THRUST_200600_302600_NS6detail15normal_iteratorINS8_10device_ptrIjEEEENSA_INSB_IiEEEEZNS1_13binary_searchIS3_S5_SD_SD_SF_NS1_21lower_bound_search_opENS9_16wrapped_functionINS0_4lessIvEEbEEEE10hipError_tPvRmT1_T2_T3_mmT4_T5_P12ihipStream_tbEUlRKjE_EESM_SQ_SR_mSS_SV_bEUlT_E_NS1_11comp_targetILNS1_3genE3ELNS1_11target_archE908ELNS1_3gpuE7ELNS1_3repE0EEENS1_30default_config_static_selectorELNS0_4arch9wavefront6targetE0EEEvSP_
	.p2align	8
	.type	_ZN7rocprim17ROCPRIM_400000_NS6detail17trampoline_kernelINS0_14default_configENS1_27lower_bound_config_selectorIjiEEZNS1_14transform_implILb0ES3_S5_N6thrust23THRUST_200600_302600_NS6detail15normal_iteratorINS8_10device_ptrIjEEEENSA_INSB_IiEEEEZNS1_13binary_searchIS3_S5_SD_SD_SF_NS1_21lower_bound_search_opENS9_16wrapped_functionINS0_4lessIvEEbEEEE10hipError_tPvRmT1_T2_T3_mmT4_T5_P12ihipStream_tbEUlRKjE_EESM_SQ_SR_mSS_SV_bEUlT_E_NS1_11comp_targetILNS1_3genE3ELNS1_11target_archE908ELNS1_3gpuE7ELNS1_3repE0EEENS1_30default_config_static_selectorELNS0_4arch9wavefront6targetE0EEEvSP_,@function
_ZN7rocprim17ROCPRIM_400000_NS6detail17trampoline_kernelINS0_14default_configENS1_27lower_bound_config_selectorIjiEEZNS1_14transform_implILb0ES3_S5_N6thrust23THRUST_200600_302600_NS6detail15normal_iteratorINS8_10device_ptrIjEEEENSA_INSB_IiEEEEZNS1_13binary_searchIS3_S5_SD_SD_SF_NS1_21lower_bound_search_opENS9_16wrapped_functionINS0_4lessIvEEbEEEE10hipError_tPvRmT1_T2_T3_mmT4_T5_P12ihipStream_tbEUlRKjE_EESM_SQ_SR_mSS_SV_bEUlT_E_NS1_11comp_targetILNS1_3genE3ELNS1_11target_archE908ELNS1_3gpuE7ELNS1_3repE0EEENS1_30default_config_static_selectorELNS0_4arch9wavefront6targetE0EEEvSP_: ; @_ZN7rocprim17ROCPRIM_400000_NS6detail17trampoline_kernelINS0_14default_configENS1_27lower_bound_config_selectorIjiEEZNS1_14transform_implILb0ES3_S5_N6thrust23THRUST_200600_302600_NS6detail15normal_iteratorINS8_10device_ptrIjEEEENSA_INSB_IiEEEEZNS1_13binary_searchIS3_S5_SD_SD_SF_NS1_21lower_bound_search_opENS9_16wrapped_functionINS0_4lessIvEEbEEEE10hipError_tPvRmT1_T2_T3_mmT4_T5_P12ihipStream_tbEUlRKjE_EESM_SQ_SR_mSS_SV_bEUlT_E_NS1_11comp_targetILNS1_3genE3ELNS1_11target_archE908ELNS1_3gpuE7ELNS1_3repE0EEENS1_30default_config_static_selectorELNS0_4arch9wavefront6targetE0EEEvSP_
; %bb.0:
	.section	.rodata,"a",@progbits
	.p2align	6, 0x0
	.amdhsa_kernel _ZN7rocprim17ROCPRIM_400000_NS6detail17trampoline_kernelINS0_14default_configENS1_27lower_bound_config_selectorIjiEEZNS1_14transform_implILb0ES3_S5_N6thrust23THRUST_200600_302600_NS6detail15normal_iteratorINS8_10device_ptrIjEEEENSA_INSB_IiEEEEZNS1_13binary_searchIS3_S5_SD_SD_SF_NS1_21lower_bound_search_opENS9_16wrapped_functionINS0_4lessIvEEbEEEE10hipError_tPvRmT1_T2_T3_mmT4_T5_P12ihipStream_tbEUlRKjE_EESM_SQ_SR_mSS_SV_bEUlT_E_NS1_11comp_targetILNS1_3genE3ELNS1_11target_archE908ELNS1_3gpuE7ELNS1_3repE0EEENS1_30default_config_static_selectorELNS0_4arch9wavefront6targetE0EEEvSP_
		.amdhsa_group_segment_fixed_size 0
		.amdhsa_private_segment_fixed_size 0
		.amdhsa_kernarg_size 56
		.amdhsa_user_sgpr_count 15
		.amdhsa_user_sgpr_dispatch_ptr 0
		.amdhsa_user_sgpr_queue_ptr 0
		.amdhsa_user_sgpr_kernarg_segment_ptr 1
		.amdhsa_user_sgpr_dispatch_id 0
		.amdhsa_user_sgpr_private_segment_size 0
		.amdhsa_wavefront_size32 1
		.amdhsa_uses_dynamic_stack 0
		.amdhsa_enable_private_segment 0
		.amdhsa_system_sgpr_workgroup_id_x 1
		.amdhsa_system_sgpr_workgroup_id_y 0
		.amdhsa_system_sgpr_workgroup_id_z 0
		.amdhsa_system_sgpr_workgroup_info 0
		.amdhsa_system_vgpr_workitem_id 0
		.amdhsa_next_free_vgpr 1
		.amdhsa_next_free_sgpr 1
		.amdhsa_reserve_vcc 0
		.amdhsa_float_round_mode_32 0
		.amdhsa_float_round_mode_16_64 0
		.amdhsa_float_denorm_mode_32 3
		.amdhsa_float_denorm_mode_16_64 3
		.amdhsa_dx10_clamp 1
		.amdhsa_ieee_mode 1
		.amdhsa_fp16_overflow 0
		.amdhsa_workgroup_processor_mode 1
		.amdhsa_memory_ordered 1
		.amdhsa_forward_progress 0
		.amdhsa_shared_vgpr_count 0
		.amdhsa_exception_fp_ieee_invalid_op 0
		.amdhsa_exception_fp_denorm_src 0
		.amdhsa_exception_fp_ieee_div_zero 0
		.amdhsa_exception_fp_ieee_overflow 0
		.amdhsa_exception_fp_ieee_underflow 0
		.amdhsa_exception_fp_ieee_inexact 0
		.amdhsa_exception_int_div_zero 0
	.end_amdhsa_kernel
	.section	.text._ZN7rocprim17ROCPRIM_400000_NS6detail17trampoline_kernelINS0_14default_configENS1_27lower_bound_config_selectorIjiEEZNS1_14transform_implILb0ES3_S5_N6thrust23THRUST_200600_302600_NS6detail15normal_iteratorINS8_10device_ptrIjEEEENSA_INSB_IiEEEEZNS1_13binary_searchIS3_S5_SD_SD_SF_NS1_21lower_bound_search_opENS9_16wrapped_functionINS0_4lessIvEEbEEEE10hipError_tPvRmT1_T2_T3_mmT4_T5_P12ihipStream_tbEUlRKjE_EESM_SQ_SR_mSS_SV_bEUlT_E_NS1_11comp_targetILNS1_3genE3ELNS1_11target_archE908ELNS1_3gpuE7ELNS1_3repE0EEENS1_30default_config_static_selectorELNS0_4arch9wavefront6targetE0EEEvSP_,"axG",@progbits,_ZN7rocprim17ROCPRIM_400000_NS6detail17trampoline_kernelINS0_14default_configENS1_27lower_bound_config_selectorIjiEEZNS1_14transform_implILb0ES3_S5_N6thrust23THRUST_200600_302600_NS6detail15normal_iteratorINS8_10device_ptrIjEEEENSA_INSB_IiEEEEZNS1_13binary_searchIS3_S5_SD_SD_SF_NS1_21lower_bound_search_opENS9_16wrapped_functionINS0_4lessIvEEbEEEE10hipError_tPvRmT1_T2_T3_mmT4_T5_P12ihipStream_tbEUlRKjE_EESM_SQ_SR_mSS_SV_bEUlT_E_NS1_11comp_targetILNS1_3genE3ELNS1_11target_archE908ELNS1_3gpuE7ELNS1_3repE0EEENS1_30default_config_static_selectorELNS0_4arch9wavefront6targetE0EEEvSP_,comdat
.Lfunc_end284:
	.size	_ZN7rocprim17ROCPRIM_400000_NS6detail17trampoline_kernelINS0_14default_configENS1_27lower_bound_config_selectorIjiEEZNS1_14transform_implILb0ES3_S5_N6thrust23THRUST_200600_302600_NS6detail15normal_iteratorINS8_10device_ptrIjEEEENSA_INSB_IiEEEEZNS1_13binary_searchIS3_S5_SD_SD_SF_NS1_21lower_bound_search_opENS9_16wrapped_functionINS0_4lessIvEEbEEEE10hipError_tPvRmT1_T2_T3_mmT4_T5_P12ihipStream_tbEUlRKjE_EESM_SQ_SR_mSS_SV_bEUlT_E_NS1_11comp_targetILNS1_3genE3ELNS1_11target_archE908ELNS1_3gpuE7ELNS1_3repE0EEENS1_30default_config_static_selectorELNS0_4arch9wavefront6targetE0EEEvSP_, .Lfunc_end284-_ZN7rocprim17ROCPRIM_400000_NS6detail17trampoline_kernelINS0_14default_configENS1_27lower_bound_config_selectorIjiEEZNS1_14transform_implILb0ES3_S5_N6thrust23THRUST_200600_302600_NS6detail15normal_iteratorINS8_10device_ptrIjEEEENSA_INSB_IiEEEEZNS1_13binary_searchIS3_S5_SD_SD_SF_NS1_21lower_bound_search_opENS9_16wrapped_functionINS0_4lessIvEEbEEEE10hipError_tPvRmT1_T2_T3_mmT4_T5_P12ihipStream_tbEUlRKjE_EESM_SQ_SR_mSS_SV_bEUlT_E_NS1_11comp_targetILNS1_3genE3ELNS1_11target_archE908ELNS1_3gpuE7ELNS1_3repE0EEENS1_30default_config_static_selectorELNS0_4arch9wavefront6targetE0EEEvSP_
                                        ; -- End function
	.section	.AMDGPU.csdata,"",@progbits
; Kernel info:
; codeLenInByte = 0
; NumSgprs: 0
; NumVgprs: 0
; ScratchSize: 0
; MemoryBound: 0
; FloatMode: 240
; IeeeMode: 1
; LDSByteSize: 0 bytes/workgroup (compile time only)
; SGPRBlocks: 0
; VGPRBlocks: 0
; NumSGPRsForWavesPerEU: 1
; NumVGPRsForWavesPerEU: 1
; Occupancy: 16
; WaveLimiterHint : 0
; COMPUTE_PGM_RSRC2:SCRATCH_EN: 0
; COMPUTE_PGM_RSRC2:USER_SGPR: 15
; COMPUTE_PGM_RSRC2:TRAP_HANDLER: 0
; COMPUTE_PGM_RSRC2:TGID_X_EN: 1
; COMPUTE_PGM_RSRC2:TGID_Y_EN: 0
; COMPUTE_PGM_RSRC2:TGID_Z_EN: 0
; COMPUTE_PGM_RSRC2:TIDIG_COMP_CNT: 0
	.section	.text._ZN7rocprim17ROCPRIM_400000_NS6detail17trampoline_kernelINS0_14default_configENS1_27lower_bound_config_selectorIjiEEZNS1_14transform_implILb0ES3_S5_N6thrust23THRUST_200600_302600_NS6detail15normal_iteratorINS8_10device_ptrIjEEEENSA_INSB_IiEEEEZNS1_13binary_searchIS3_S5_SD_SD_SF_NS1_21lower_bound_search_opENS9_16wrapped_functionINS0_4lessIvEEbEEEE10hipError_tPvRmT1_T2_T3_mmT4_T5_P12ihipStream_tbEUlRKjE_EESM_SQ_SR_mSS_SV_bEUlT_E_NS1_11comp_targetILNS1_3genE2ELNS1_11target_archE906ELNS1_3gpuE6ELNS1_3repE0EEENS1_30default_config_static_selectorELNS0_4arch9wavefront6targetE0EEEvSP_,"axG",@progbits,_ZN7rocprim17ROCPRIM_400000_NS6detail17trampoline_kernelINS0_14default_configENS1_27lower_bound_config_selectorIjiEEZNS1_14transform_implILb0ES3_S5_N6thrust23THRUST_200600_302600_NS6detail15normal_iteratorINS8_10device_ptrIjEEEENSA_INSB_IiEEEEZNS1_13binary_searchIS3_S5_SD_SD_SF_NS1_21lower_bound_search_opENS9_16wrapped_functionINS0_4lessIvEEbEEEE10hipError_tPvRmT1_T2_T3_mmT4_T5_P12ihipStream_tbEUlRKjE_EESM_SQ_SR_mSS_SV_bEUlT_E_NS1_11comp_targetILNS1_3genE2ELNS1_11target_archE906ELNS1_3gpuE6ELNS1_3repE0EEENS1_30default_config_static_selectorELNS0_4arch9wavefront6targetE0EEEvSP_,comdat
	.protected	_ZN7rocprim17ROCPRIM_400000_NS6detail17trampoline_kernelINS0_14default_configENS1_27lower_bound_config_selectorIjiEEZNS1_14transform_implILb0ES3_S5_N6thrust23THRUST_200600_302600_NS6detail15normal_iteratorINS8_10device_ptrIjEEEENSA_INSB_IiEEEEZNS1_13binary_searchIS3_S5_SD_SD_SF_NS1_21lower_bound_search_opENS9_16wrapped_functionINS0_4lessIvEEbEEEE10hipError_tPvRmT1_T2_T3_mmT4_T5_P12ihipStream_tbEUlRKjE_EESM_SQ_SR_mSS_SV_bEUlT_E_NS1_11comp_targetILNS1_3genE2ELNS1_11target_archE906ELNS1_3gpuE6ELNS1_3repE0EEENS1_30default_config_static_selectorELNS0_4arch9wavefront6targetE0EEEvSP_ ; -- Begin function _ZN7rocprim17ROCPRIM_400000_NS6detail17trampoline_kernelINS0_14default_configENS1_27lower_bound_config_selectorIjiEEZNS1_14transform_implILb0ES3_S5_N6thrust23THRUST_200600_302600_NS6detail15normal_iteratorINS8_10device_ptrIjEEEENSA_INSB_IiEEEEZNS1_13binary_searchIS3_S5_SD_SD_SF_NS1_21lower_bound_search_opENS9_16wrapped_functionINS0_4lessIvEEbEEEE10hipError_tPvRmT1_T2_T3_mmT4_T5_P12ihipStream_tbEUlRKjE_EESM_SQ_SR_mSS_SV_bEUlT_E_NS1_11comp_targetILNS1_3genE2ELNS1_11target_archE906ELNS1_3gpuE6ELNS1_3repE0EEENS1_30default_config_static_selectorELNS0_4arch9wavefront6targetE0EEEvSP_
	.globl	_ZN7rocprim17ROCPRIM_400000_NS6detail17trampoline_kernelINS0_14default_configENS1_27lower_bound_config_selectorIjiEEZNS1_14transform_implILb0ES3_S5_N6thrust23THRUST_200600_302600_NS6detail15normal_iteratorINS8_10device_ptrIjEEEENSA_INSB_IiEEEEZNS1_13binary_searchIS3_S5_SD_SD_SF_NS1_21lower_bound_search_opENS9_16wrapped_functionINS0_4lessIvEEbEEEE10hipError_tPvRmT1_T2_T3_mmT4_T5_P12ihipStream_tbEUlRKjE_EESM_SQ_SR_mSS_SV_bEUlT_E_NS1_11comp_targetILNS1_3genE2ELNS1_11target_archE906ELNS1_3gpuE6ELNS1_3repE0EEENS1_30default_config_static_selectorELNS0_4arch9wavefront6targetE0EEEvSP_
	.p2align	8
	.type	_ZN7rocprim17ROCPRIM_400000_NS6detail17trampoline_kernelINS0_14default_configENS1_27lower_bound_config_selectorIjiEEZNS1_14transform_implILb0ES3_S5_N6thrust23THRUST_200600_302600_NS6detail15normal_iteratorINS8_10device_ptrIjEEEENSA_INSB_IiEEEEZNS1_13binary_searchIS3_S5_SD_SD_SF_NS1_21lower_bound_search_opENS9_16wrapped_functionINS0_4lessIvEEbEEEE10hipError_tPvRmT1_T2_T3_mmT4_T5_P12ihipStream_tbEUlRKjE_EESM_SQ_SR_mSS_SV_bEUlT_E_NS1_11comp_targetILNS1_3genE2ELNS1_11target_archE906ELNS1_3gpuE6ELNS1_3repE0EEENS1_30default_config_static_selectorELNS0_4arch9wavefront6targetE0EEEvSP_,@function
_ZN7rocprim17ROCPRIM_400000_NS6detail17trampoline_kernelINS0_14default_configENS1_27lower_bound_config_selectorIjiEEZNS1_14transform_implILb0ES3_S5_N6thrust23THRUST_200600_302600_NS6detail15normal_iteratorINS8_10device_ptrIjEEEENSA_INSB_IiEEEEZNS1_13binary_searchIS3_S5_SD_SD_SF_NS1_21lower_bound_search_opENS9_16wrapped_functionINS0_4lessIvEEbEEEE10hipError_tPvRmT1_T2_T3_mmT4_T5_P12ihipStream_tbEUlRKjE_EESM_SQ_SR_mSS_SV_bEUlT_E_NS1_11comp_targetILNS1_3genE2ELNS1_11target_archE906ELNS1_3gpuE6ELNS1_3repE0EEENS1_30default_config_static_selectorELNS0_4arch9wavefront6targetE0EEEvSP_: ; @_ZN7rocprim17ROCPRIM_400000_NS6detail17trampoline_kernelINS0_14default_configENS1_27lower_bound_config_selectorIjiEEZNS1_14transform_implILb0ES3_S5_N6thrust23THRUST_200600_302600_NS6detail15normal_iteratorINS8_10device_ptrIjEEEENSA_INSB_IiEEEEZNS1_13binary_searchIS3_S5_SD_SD_SF_NS1_21lower_bound_search_opENS9_16wrapped_functionINS0_4lessIvEEbEEEE10hipError_tPvRmT1_T2_T3_mmT4_T5_P12ihipStream_tbEUlRKjE_EESM_SQ_SR_mSS_SV_bEUlT_E_NS1_11comp_targetILNS1_3genE2ELNS1_11target_archE906ELNS1_3gpuE6ELNS1_3repE0EEENS1_30default_config_static_selectorELNS0_4arch9wavefront6targetE0EEEvSP_
; %bb.0:
	.section	.rodata,"a",@progbits
	.p2align	6, 0x0
	.amdhsa_kernel _ZN7rocprim17ROCPRIM_400000_NS6detail17trampoline_kernelINS0_14default_configENS1_27lower_bound_config_selectorIjiEEZNS1_14transform_implILb0ES3_S5_N6thrust23THRUST_200600_302600_NS6detail15normal_iteratorINS8_10device_ptrIjEEEENSA_INSB_IiEEEEZNS1_13binary_searchIS3_S5_SD_SD_SF_NS1_21lower_bound_search_opENS9_16wrapped_functionINS0_4lessIvEEbEEEE10hipError_tPvRmT1_T2_T3_mmT4_T5_P12ihipStream_tbEUlRKjE_EESM_SQ_SR_mSS_SV_bEUlT_E_NS1_11comp_targetILNS1_3genE2ELNS1_11target_archE906ELNS1_3gpuE6ELNS1_3repE0EEENS1_30default_config_static_selectorELNS0_4arch9wavefront6targetE0EEEvSP_
		.amdhsa_group_segment_fixed_size 0
		.amdhsa_private_segment_fixed_size 0
		.amdhsa_kernarg_size 56
		.amdhsa_user_sgpr_count 15
		.amdhsa_user_sgpr_dispatch_ptr 0
		.amdhsa_user_sgpr_queue_ptr 0
		.amdhsa_user_sgpr_kernarg_segment_ptr 1
		.amdhsa_user_sgpr_dispatch_id 0
		.amdhsa_user_sgpr_private_segment_size 0
		.amdhsa_wavefront_size32 1
		.amdhsa_uses_dynamic_stack 0
		.amdhsa_enable_private_segment 0
		.amdhsa_system_sgpr_workgroup_id_x 1
		.amdhsa_system_sgpr_workgroup_id_y 0
		.amdhsa_system_sgpr_workgroup_id_z 0
		.amdhsa_system_sgpr_workgroup_info 0
		.amdhsa_system_vgpr_workitem_id 0
		.amdhsa_next_free_vgpr 1
		.amdhsa_next_free_sgpr 1
		.amdhsa_reserve_vcc 0
		.amdhsa_float_round_mode_32 0
		.amdhsa_float_round_mode_16_64 0
		.amdhsa_float_denorm_mode_32 3
		.amdhsa_float_denorm_mode_16_64 3
		.amdhsa_dx10_clamp 1
		.amdhsa_ieee_mode 1
		.amdhsa_fp16_overflow 0
		.amdhsa_workgroup_processor_mode 1
		.amdhsa_memory_ordered 1
		.amdhsa_forward_progress 0
		.amdhsa_shared_vgpr_count 0
		.amdhsa_exception_fp_ieee_invalid_op 0
		.amdhsa_exception_fp_denorm_src 0
		.amdhsa_exception_fp_ieee_div_zero 0
		.amdhsa_exception_fp_ieee_overflow 0
		.amdhsa_exception_fp_ieee_underflow 0
		.amdhsa_exception_fp_ieee_inexact 0
		.amdhsa_exception_int_div_zero 0
	.end_amdhsa_kernel
	.section	.text._ZN7rocprim17ROCPRIM_400000_NS6detail17trampoline_kernelINS0_14default_configENS1_27lower_bound_config_selectorIjiEEZNS1_14transform_implILb0ES3_S5_N6thrust23THRUST_200600_302600_NS6detail15normal_iteratorINS8_10device_ptrIjEEEENSA_INSB_IiEEEEZNS1_13binary_searchIS3_S5_SD_SD_SF_NS1_21lower_bound_search_opENS9_16wrapped_functionINS0_4lessIvEEbEEEE10hipError_tPvRmT1_T2_T3_mmT4_T5_P12ihipStream_tbEUlRKjE_EESM_SQ_SR_mSS_SV_bEUlT_E_NS1_11comp_targetILNS1_3genE2ELNS1_11target_archE906ELNS1_3gpuE6ELNS1_3repE0EEENS1_30default_config_static_selectorELNS0_4arch9wavefront6targetE0EEEvSP_,"axG",@progbits,_ZN7rocprim17ROCPRIM_400000_NS6detail17trampoline_kernelINS0_14default_configENS1_27lower_bound_config_selectorIjiEEZNS1_14transform_implILb0ES3_S5_N6thrust23THRUST_200600_302600_NS6detail15normal_iteratorINS8_10device_ptrIjEEEENSA_INSB_IiEEEEZNS1_13binary_searchIS3_S5_SD_SD_SF_NS1_21lower_bound_search_opENS9_16wrapped_functionINS0_4lessIvEEbEEEE10hipError_tPvRmT1_T2_T3_mmT4_T5_P12ihipStream_tbEUlRKjE_EESM_SQ_SR_mSS_SV_bEUlT_E_NS1_11comp_targetILNS1_3genE2ELNS1_11target_archE906ELNS1_3gpuE6ELNS1_3repE0EEENS1_30default_config_static_selectorELNS0_4arch9wavefront6targetE0EEEvSP_,comdat
.Lfunc_end285:
	.size	_ZN7rocprim17ROCPRIM_400000_NS6detail17trampoline_kernelINS0_14default_configENS1_27lower_bound_config_selectorIjiEEZNS1_14transform_implILb0ES3_S5_N6thrust23THRUST_200600_302600_NS6detail15normal_iteratorINS8_10device_ptrIjEEEENSA_INSB_IiEEEEZNS1_13binary_searchIS3_S5_SD_SD_SF_NS1_21lower_bound_search_opENS9_16wrapped_functionINS0_4lessIvEEbEEEE10hipError_tPvRmT1_T2_T3_mmT4_T5_P12ihipStream_tbEUlRKjE_EESM_SQ_SR_mSS_SV_bEUlT_E_NS1_11comp_targetILNS1_3genE2ELNS1_11target_archE906ELNS1_3gpuE6ELNS1_3repE0EEENS1_30default_config_static_selectorELNS0_4arch9wavefront6targetE0EEEvSP_, .Lfunc_end285-_ZN7rocprim17ROCPRIM_400000_NS6detail17trampoline_kernelINS0_14default_configENS1_27lower_bound_config_selectorIjiEEZNS1_14transform_implILb0ES3_S5_N6thrust23THRUST_200600_302600_NS6detail15normal_iteratorINS8_10device_ptrIjEEEENSA_INSB_IiEEEEZNS1_13binary_searchIS3_S5_SD_SD_SF_NS1_21lower_bound_search_opENS9_16wrapped_functionINS0_4lessIvEEbEEEE10hipError_tPvRmT1_T2_T3_mmT4_T5_P12ihipStream_tbEUlRKjE_EESM_SQ_SR_mSS_SV_bEUlT_E_NS1_11comp_targetILNS1_3genE2ELNS1_11target_archE906ELNS1_3gpuE6ELNS1_3repE0EEENS1_30default_config_static_selectorELNS0_4arch9wavefront6targetE0EEEvSP_
                                        ; -- End function
	.section	.AMDGPU.csdata,"",@progbits
; Kernel info:
; codeLenInByte = 0
; NumSgprs: 0
; NumVgprs: 0
; ScratchSize: 0
; MemoryBound: 0
; FloatMode: 240
; IeeeMode: 1
; LDSByteSize: 0 bytes/workgroup (compile time only)
; SGPRBlocks: 0
; VGPRBlocks: 0
; NumSGPRsForWavesPerEU: 1
; NumVGPRsForWavesPerEU: 1
; Occupancy: 16
; WaveLimiterHint : 0
; COMPUTE_PGM_RSRC2:SCRATCH_EN: 0
; COMPUTE_PGM_RSRC2:USER_SGPR: 15
; COMPUTE_PGM_RSRC2:TRAP_HANDLER: 0
; COMPUTE_PGM_RSRC2:TGID_X_EN: 1
; COMPUTE_PGM_RSRC2:TGID_Y_EN: 0
; COMPUTE_PGM_RSRC2:TGID_Z_EN: 0
; COMPUTE_PGM_RSRC2:TIDIG_COMP_CNT: 0
	.section	.text._ZN7rocprim17ROCPRIM_400000_NS6detail17trampoline_kernelINS0_14default_configENS1_27lower_bound_config_selectorIjiEEZNS1_14transform_implILb0ES3_S5_N6thrust23THRUST_200600_302600_NS6detail15normal_iteratorINS8_10device_ptrIjEEEENSA_INSB_IiEEEEZNS1_13binary_searchIS3_S5_SD_SD_SF_NS1_21lower_bound_search_opENS9_16wrapped_functionINS0_4lessIvEEbEEEE10hipError_tPvRmT1_T2_T3_mmT4_T5_P12ihipStream_tbEUlRKjE_EESM_SQ_SR_mSS_SV_bEUlT_E_NS1_11comp_targetILNS1_3genE10ELNS1_11target_archE1201ELNS1_3gpuE5ELNS1_3repE0EEENS1_30default_config_static_selectorELNS0_4arch9wavefront6targetE0EEEvSP_,"axG",@progbits,_ZN7rocprim17ROCPRIM_400000_NS6detail17trampoline_kernelINS0_14default_configENS1_27lower_bound_config_selectorIjiEEZNS1_14transform_implILb0ES3_S5_N6thrust23THRUST_200600_302600_NS6detail15normal_iteratorINS8_10device_ptrIjEEEENSA_INSB_IiEEEEZNS1_13binary_searchIS3_S5_SD_SD_SF_NS1_21lower_bound_search_opENS9_16wrapped_functionINS0_4lessIvEEbEEEE10hipError_tPvRmT1_T2_T3_mmT4_T5_P12ihipStream_tbEUlRKjE_EESM_SQ_SR_mSS_SV_bEUlT_E_NS1_11comp_targetILNS1_3genE10ELNS1_11target_archE1201ELNS1_3gpuE5ELNS1_3repE0EEENS1_30default_config_static_selectorELNS0_4arch9wavefront6targetE0EEEvSP_,comdat
	.protected	_ZN7rocprim17ROCPRIM_400000_NS6detail17trampoline_kernelINS0_14default_configENS1_27lower_bound_config_selectorIjiEEZNS1_14transform_implILb0ES3_S5_N6thrust23THRUST_200600_302600_NS6detail15normal_iteratorINS8_10device_ptrIjEEEENSA_INSB_IiEEEEZNS1_13binary_searchIS3_S5_SD_SD_SF_NS1_21lower_bound_search_opENS9_16wrapped_functionINS0_4lessIvEEbEEEE10hipError_tPvRmT1_T2_T3_mmT4_T5_P12ihipStream_tbEUlRKjE_EESM_SQ_SR_mSS_SV_bEUlT_E_NS1_11comp_targetILNS1_3genE10ELNS1_11target_archE1201ELNS1_3gpuE5ELNS1_3repE0EEENS1_30default_config_static_selectorELNS0_4arch9wavefront6targetE0EEEvSP_ ; -- Begin function _ZN7rocprim17ROCPRIM_400000_NS6detail17trampoline_kernelINS0_14default_configENS1_27lower_bound_config_selectorIjiEEZNS1_14transform_implILb0ES3_S5_N6thrust23THRUST_200600_302600_NS6detail15normal_iteratorINS8_10device_ptrIjEEEENSA_INSB_IiEEEEZNS1_13binary_searchIS3_S5_SD_SD_SF_NS1_21lower_bound_search_opENS9_16wrapped_functionINS0_4lessIvEEbEEEE10hipError_tPvRmT1_T2_T3_mmT4_T5_P12ihipStream_tbEUlRKjE_EESM_SQ_SR_mSS_SV_bEUlT_E_NS1_11comp_targetILNS1_3genE10ELNS1_11target_archE1201ELNS1_3gpuE5ELNS1_3repE0EEENS1_30default_config_static_selectorELNS0_4arch9wavefront6targetE0EEEvSP_
	.globl	_ZN7rocprim17ROCPRIM_400000_NS6detail17trampoline_kernelINS0_14default_configENS1_27lower_bound_config_selectorIjiEEZNS1_14transform_implILb0ES3_S5_N6thrust23THRUST_200600_302600_NS6detail15normal_iteratorINS8_10device_ptrIjEEEENSA_INSB_IiEEEEZNS1_13binary_searchIS3_S5_SD_SD_SF_NS1_21lower_bound_search_opENS9_16wrapped_functionINS0_4lessIvEEbEEEE10hipError_tPvRmT1_T2_T3_mmT4_T5_P12ihipStream_tbEUlRKjE_EESM_SQ_SR_mSS_SV_bEUlT_E_NS1_11comp_targetILNS1_3genE10ELNS1_11target_archE1201ELNS1_3gpuE5ELNS1_3repE0EEENS1_30default_config_static_selectorELNS0_4arch9wavefront6targetE0EEEvSP_
	.p2align	8
	.type	_ZN7rocprim17ROCPRIM_400000_NS6detail17trampoline_kernelINS0_14default_configENS1_27lower_bound_config_selectorIjiEEZNS1_14transform_implILb0ES3_S5_N6thrust23THRUST_200600_302600_NS6detail15normal_iteratorINS8_10device_ptrIjEEEENSA_INSB_IiEEEEZNS1_13binary_searchIS3_S5_SD_SD_SF_NS1_21lower_bound_search_opENS9_16wrapped_functionINS0_4lessIvEEbEEEE10hipError_tPvRmT1_T2_T3_mmT4_T5_P12ihipStream_tbEUlRKjE_EESM_SQ_SR_mSS_SV_bEUlT_E_NS1_11comp_targetILNS1_3genE10ELNS1_11target_archE1201ELNS1_3gpuE5ELNS1_3repE0EEENS1_30default_config_static_selectorELNS0_4arch9wavefront6targetE0EEEvSP_,@function
_ZN7rocprim17ROCPRIM_400000_NS6detail17trampoline_kernelINS0_14default_configENS1_27lower_bound_config_selectorIjiEEZNS1_14transform_implILb0ES3_S5_N6thrust23THRUST_200600_302600_NS6detail15normal_iteratorINS8_10device_ptrIjEEEENSA_INSB_IiEEEEZNS1_13binary_searchIS3_S5_SD_SD_SF_NS1_21lower_bound_search_opENS9_16wrapped_functionINS0_4lessIvEEbEEEE10hipError_tPvRmT1_T2_T3_mmT4_T5_P12ihipStream_tbEUlRKjE_EESM_SQ_SR_mSS_SV_bEUlT_E_NS1_11comp_targetILNS1_3genE10ELNS1_11target_archE1201ELNS1_3gpuE5ELNS1_3repE0EEENS1_30default_config_static_selectorELNS0_4arch9wavefront6targetE0EEEvSP_: ; @_ZN7rocprim17ROCPRIM_400000_NS6detail17trampoline_kernelINS0_14default_configENS1_27lower_bound_config_selectorIjiEEZNS1_14transform_implILb0ES3_S5_N6thrust23THRUST_200600_302600_NS6detail15normal_iteratorINS8_10device_ptrIjEEEENSA_INSB_IiEEEEZNS1_13binary_searchIS3_S5_SD_SD_SF_NS1_21lower_bound_search_opENS9_16wrapped_functionINS0_4lessIvEEbEEEE10hipError_tPvRmT1_T2_T3_mmT4_T5_P12ihipStream_tbEUlRKjE_EESM_SQ_SR_mSS_SV_bEUlT_E_NS1_11comp_targetILNS1_3genE10ELNS1_11target_archE1201ELNS1_3gpuE5ELNS1_3repE0EEENS1_30default_config_static_selectorELNS0_4arch9wavefront6targetE0EEEvSP_
; %bb.0:
	.section	.rodata,"a",@progbits
	.p2align	6, 0x0
	.amdhsa_kernel _ZN7rocprim17ROCPRIM_400000_NS6detail17trampoline_kernelINS0_14default_configENS1_27lower_bound_config_selectorIjiEEZNS1_14transform_implILb0ES3_S5_N6thrust23THRUST_200600_302600_NS6detail15normal_iteratorINS8_10device_ptrIjEEEENSA_INSB_IiEEEEZNS1_13binary_searchIS3_S5_SD_SD_SF_NS1_21lower_bound_search_opENS9_16wrapped_functionINS0_4lessIvEEbEEEE10hipError_tPvRmT1_T2_T3_mmT4_T5_P12ihipStream_tbEUlRKjE_EESM_SQ_SR_mSS_SV_bEUlT_E_NS1_11comp_targetILNS1_3genE10ELNS1_11target_archE1201ELNS1_3gpuE5ELNS1_3repE0EEENS1_30default_config_static_selectorELNS0_4arch9wavefront6targetE0EEEvSP_
		.amdhsa_group_segment_fixed_size 0
		.amdhsa_private_segment_fixed_size 0
		.amdhsa_kernarg_size 56
		.amdhsa_user_sgpr_count 15
		.amdhsa_user_sgpr_dispatch_ptr 0
		.amdhsa_user_sgpr_queue_ptr 0
		.amdhsa_user_sgpr_kernarg_segment_ptr 1
		.amdhsa_user_sgpr_dispatch_id 0
		.amdhsa_user_sgpr_private_segment_size 0
		.amdhsa_wavefront_size32 1
		.amdhsa_uses_dynamic_stack 0
		.amdhsa_enable_private_segment 0
		.amdhsa_system_sgpr_workgroup_id_x 1
		.amdhsa_system_sgpr_workgroup_id_y 0
		.amdhsa_system_sgpr_workgroup_id_z 0
		.amdhsa_system_sgpr_workgroup_info 0
		.amdhsa_system_vgpr_workitem_id 0
		.amdhsa_next_free_vgpr 1
		.amdhsa_next_free_sgpr 1
		.amdhsa_reserve_vcc 0
		.amdhsa_float_round_mode_32 0
		.amdhsa_float_round_mode_16_64 0
		.amdhsa_float_denorm_mode_32 3
		.amdhsa_float_denorm_mode_16_64 3
		.amdhsa_dx10_clamp 1
		.amdhsa_ieee_mode 1
		.amdhsa_fp16_overflow 0
		.amdhsa_workgroup_processor_mode 1
		.amdhsa_memory_ordered 1
		.amdhsa_forward_progress 0
		.amdhsa_shared_vgpr_count 0
		.amdhsa_exception_fp_ieee_invalid_op 0
		.amdhsa_exception_fp_denorm_src 0
		.amdhsa_exception_fp_ieee_div_zero 0
		.amdhsa_exception_fp_ieee_overflow 0
		.amdhsa_exception_fp_ieee_underflow 0
		.amdhsa_exception_fp_ieee_inexact 0
		.amdhsa_exception_int_div_zero 0
	.end_amdhsa_kernel
	.section	.text._ZN7rocprim17ROCPRIM_400000_NS6detail17trampoline_kernelINS0_14default_configENS1_27lower_bound_config_selectorIjiEEZNS1_14transform_implILb0ES3_S5_N6thrust23THRUST_200600_302600_NS6detail15normal_iteratorINS8_10device_ptrIjEEEENSA_INSB_IiEEEEZNS1_13binary_searchIS3_S5_SD_SD_SF_NS1_21lower_bound_search_opENS9_16wrapped_functionINS0_4lessIvEEbEEEE10hipError_tPvRmT1_T2_T3_mmT4_T5_P12ihipStream_tbEUlRKjE_EESM_SQ_SR_mSS_SV_bEUlT_E_NS1_11comp_targetILNS1_3genE10ELNS1_11target_archE1201ELNS1_3gpuE5ELNS1_3repE0EEENS1_30default_config_static_selectorELNS0_4arch9wavefront6targetE0EEEvSP_,"axG",@progbits,_ZN7rocprim17ROCPRIM_400000_NS6detail17trampoline_kernelINS0_14default_configENS1_27lower_bound_config_selectorIjiEEZNS1_14transform_implILb0ES3_S5_N6thrust23THRUST_200600_302600_NS6detail15normal_iteratorINS8_10device_ptrIjEEEENSA_INSB_IiEEEEZNS1_13binary_searchIS3_S5_SD_SD_SF_NS1_21lower_bound_search_opENS9_16wrapped_functionINS0_4lessIvEEbEEEE10hipError_tPvRmT1_T2_T3_mmT4_T5_P12ihipStream_tbEUlRKjE_EESM_SQ_SR_mSS_SV_bEUlT_E_NS1_11comp_targetILNS1_3genE10ELNS1_11target_archE1201ELNS1_3gpuE5ELNS1_3repE0EEENS1_30default_config_static_selectorELNS0_4arch9wavefront6targetE0EEEvSP_,comdat
.Lfunc_end286:
	.size	_ZN7rocprim17ROCPRIM_400000_NS6detail17trampoline_kernelINS0_14default_configENS1_27lower_bound_config_selectorIjiEEZNS1_14transform_implILb0ES3_S5_N6thrust23THRUST_200600_302600_NS6detail15normal_iteratorINS8_10device_ptrIjEEEENSA_INSB_IiEEEEZNS1_13binary_searchIS3_S5_SD_SD_SF_NS1_21lower_bound_search_opENS9_16wrapped_functionINS0_4lessIvEEbEEEE10hipError_tPvRmT1_T2_T3_mmT4_T5_P12ihipStream_tbEUlRKjE_EESM_SQ_SR_mSS_SV_bEUlT_E_NS1_11comp_targetILNS1_3genE10ELNS1_11target_archE1201ELNS1_3gpuE5ELNS1_3repE0EEENS1_30default_config_static_selectorELNS0_4arch9wavefront6targetE0EEEvSP_, .Lfunc_end286-_ZN7rocprim17ROCPRIM_400000_NS6detail17trampoline_kernelINS0_14default_configENS1_27lower_bound_config_selectorIjiEEZNS1_14transform_implILb0ES3_S5_N6thrust23THRUST_200600_302600_NS6detail15normal_iteratorINS8_10device_ptrIjEEEENSA_INSB_IiEEEEZNS1_13binary_searchIS3_S5_SD_SD_SF_NS1_21lower_bound_search_opENS9_16wrapped_functionINS0_4lessIvEEbEEEE10hipError_tPvRmT1_T2_T3_mmT4_T5_P12ihipStream_tbEUlRKjE_EESM_SQ_SR_mSS_SV_bEUlT_E_NS1_11comp_targetILNS1_3genE10ELNS1_11target_archE1201ELNS1_3gpuE5ELNS1_3repE0EEENS1_30default_config_static_selectorELNS0_4arch9wavefront6targetE0EEEvSP_
                                        ; -- End function
	.section	.AMDGPU.csdata,"",@progbits
; Kernel info:
; codeLenInByte = 0
; NumSgprs: 0
; NumVgprs: 0
; ScratchSize: 0
; MemoryBound: 0
; FloatMode: 240
; IeeeMode: 1
; LDSByteSize: 0 bytes/workgroup (compile time only)
; SGPRBlocks: 0
; VGPRBlocks: 0
; NumSGPRsForWavesPerEU: 1
; NumVGPRsForWavesPerEU: 1
; Occupancy: 16
; WaveLimiterHint : 0
; COMPUTE_PGM_RSRC2:SCRATCH_EN: 0
; COMPUTE_PGM_RSRC2:USER_SGPR: 15
; COMPUTE_PGM_RSRC2:TRAP_HANDLER: 0
; COMPUTE_PGM_RSRC2:TGID_X_EN: 1
; COMPUTE_PGM_RSRC2:TGID_Y_EN: 0
; COMPUTE_PGM_RSRC2:TGID_Z_EN: 0
; COMPUTE_PGM_RSRC2:TIDIG_COMP_CNT: 0
	.section	.text._ZN7rocprim17ROCPRIM_400000_NS6detail17trampoline_kernelINS0_14default_configENS1_27lower_bound_config_selectorIjiEEZNS1_14transform_implILb0ES3_S5_N6thrust23THRUST_200600_302600_NS6detail15normal_iteratorINS8_10device_ptrIjEEEENSA_INSB_IiEEEEZNS1_13binary_searchIS3_S5_SD_SD_SF_NS1_21lower_bound_search_opENS9_16wrapped_functionINS0_4lessIvEEbEEEE10hipError_tPvRmT1_T2_T3_mmT4_T5_P12ihipStream_tbEUlRKjE_EESM_SQ_SR_mSS_SV_bEUlT_E_NS1_11comp_targetILNS1_3genE10ELNS1_11target_archE1200ELNS1_3gpuE4ELNS1_3repE0EEENS1_30default_config_static_selectorELNS0_4arch9wavefront6targetE0EEEvSP_,"axG",@progbits,_ZN7rocprim17ROCPRIM_400000_NS6detail17trampoline_kernelINS0_14default_configENS1_27lower_bound_config_selectorIjiEEZNS1_14transform_implILb0ES3_S5_N6thrust23THRUST_200600_302600_NS6detail15normal_iteratorINS8_10device_ptrIjEEEENSA_INSB_IiEEEEZNS1_13binary_searchIS3_S5_SD_SD_SF_NS1_21lower_bound_search_opENS9_16wrapped_functionINS0_4lessIvEEbEEEE10hipError_tPvRmT1_T2_T3_mmT4_T5_P12ihipStream_tbEUlRKjE_EESM_SQ_SR_mSS_SV_bEUlT_E_NS1_11comp_targetILNS1_3genE10ELNS1_11target_archE1200ELNS1_3gpuE4ELNS1_3repE0EEENS1_30default_config_static_selectorELNS0_4arch9wavefront6targetE0EEEvSP_,comdat
	.protected	_ZN7rocprim17ROCPRIM_400000_NS6detail17trampoline_kernelINS0_14default_configENS1_27lower_bound_config_selectorIjiEEZNS1_14transform_implILb0ES3_S5_N6thrust23THRUST_200600_302600_NS6detail15normal_iteratorINS8_10device_ptrIjEEEENSA_INSB_IiEEEEZNS1_13binary_searchIS3_S5_SD_SD_SF_NS1_21lower_bound_search_opENS9_16wrapped_functionINS0_4lessIvEEbEEEE10hipError_tPvRmT1_T2_T3_mmT4_T5_P12ihipStream_tbEUlRKjE_EESM_SQ_SR_mSS_SV_bEUlT_E_NS1_11comp_targetILNS1_3genE10ELNS1_11target_archE1200ELNS1_3gpuE4ELNS1_3repE0EEENS1_30default_config_static_selectorELNS0_4arch9wavefront6targetE0EEEvSP_ ; -- Begin function _ZN7rocprim17ROCPRIM_400000_NS6detail17trampoline_kernelINS0_14default_configENS1_27lower_bound_config_selectorIjiEEZNS1_14transform_implILb0ES3_S5_N6thrust23THRUST_200600_302600_NS6detail15normal_iteratorINS8_10device_ptrIjEEEENSA_INSB_IiEEEEZNS1_13binary_searchIS3_S5_SD_SD_SF_NS1_21lower_bound_search_opENS9_16wrapped_functionINS0_4lessIvEEbEEEE10hipError_tPvRmT1_T2_T3_mmT4_T5_P12ihipStream_tbEUlRKjE_EESM_SQ_SR_mSS_SV_bEUlT_E_NS1_11comp_targetILNS1_3genE10ELNS1_11target_archE1200ELNS1_3gpuE4ELNS1_3repE0EEENS1_30default_config_static_selectorELNS0_4arch9wavefront6targetE0EEEvSP_
	.globl	_ZN7rocprim17ROCPRIM_400000_NS6detail17trampoline_kernelINS0_14default_configENS1_27lower_bound_config_selectorIjiEEZNS1_14transform_implILb0ES3_S5_N6thrust23THRUST_200600_302600_NS6detail15normal_iteratorINS8_10device_ptrIjEEEENSA_INSB_IiEEEEZNS1_13binary_searchIS3_S5_SD_SD_SF_NS1_21lower_bound_search_opENS9_16wrapped_functionINS0_4lessIvEEbEEEE10hipError_tPvRmT1_T2_T3_mmT4_T5_P12ihipStream_tbEUlRKjE_EESM_SQ_SR_mSS_SV_bEUlT_E_NS1_11comp_targetILNS1_3genE10ELNS1_11target_archE1200ELNS1_3gpuE4ELNS1_3repE0EEENS1_30default_config_static_selectorELNS0_4arch9wavefront6targetE0EEEvSP_
	.p2align	8
	.type	_ZN7rocprim17ROCPRIM_400000_NS6detail17trampoline_kernelINS0_14default_configENS1_27lower_bound_config_selectorIjiEEZNS1_14transform_implILb0ES3_S5_N6thrust23THRUST_200600_302600_NS6detail15normal_iteratorINS8_10device_ptrIjEEEENSA_INSB_IiEEEEZNS1_13binary_searchIS3_S5_SD_SD_SF_NS1_21lower_bound_search_opENS9_16wrapped_functionINS0_4lessIvEEbEEEE10hipError_tPvRmT1_T2_T3_mmT4_T5_P12ihipStream_tbEUlRKjE_EESM_SQ_SR_mSS_SV_bEUlT_E_NS1_11comp_targetILNS1_3genE10ELNS1_11target_archE1200ELNS1_3gpuE4ELNS1_3repE0EEENS1_30default_config_static_selectorELNS0_4arch9wavefront6targetE0EEEvSP_,@function
_ZN7rocprim17ROCPRIM_400000_NS6detail17trampoline_kernelINS0_14default_configENS1_27lower_bound_config_selectorIjiEEZNS1_14transform_implILb0ES3_S5_N6thrust23THRUST_200600_302600_NS6detail15normal_iteratorINS8_10device_ptrIjEEEENSA_INSB_IiEEEEZNS1_13binary_searchIS3_S5_SD_SD_SF_NS1_21lower_bound_search_opENS9_16wrapped_functionINS0_4lessIvEEbEEEE10hipError_tPvRmT1_T2_T3_mmT4_T5_P12ihipStream_tbEUlRKjE_EESM_SQ_SR_mSS_SV_bEUlT_E_NS1_11comp_targetILNS1_3genE10ELNS1_11target_archE1200ELNS1_3gpuE4ELNS1_3repE0EEENS1_30default_config_static_selectorELNS0_4arch9wavefront6targetE0EEEvSP_: ; @_ZN7rocprim17ROCPRIM_400000_NS6detail17trampoline_kernelINS0_14default_configENS1_27lower_bound_config_selectorIjiEEZNS1_14transform_implILb0ES3_S5_N6thrust23THRUST_200600_302600_NS6detail15normal_iteratorINS8_10device_ptrIjEEEENSA_INSB_IiEEEEZNS1_13binary_searchIS3_S5_SD_SD_SF_NS1_21lower_bound_search_opENS9_16wrapped_functionINS0_4lessIvEEbEEEE10hipError_tPvRmT1_T2_T3_mmT4_T5_P12ihipStream_tbEUlRKjE_EESM_SQ_SR_mSS_SV_bEUlT_E_NS1_11comp_targetILNS1_3genE10ELNS1_11target_archE1200ELNS1_3gpuE4ELNS1_3repE0EEENS1_30default_config_static_selectorELNS0_4arch9wavefront6targetE0EEEvSP_
; %bb.0:
	.section	.rodata,"a",@progbits
	.p2align	6, 0x0
	.amdhsa_kernel _ZN7rocprim17ROCPRIM_400000_NS6detail17trampoline_kernelINS0_14default_configENS1_27lower_bound_config_selectorIjiEEZNS1_14transform_implILb0ES3_S5_N6thrust23THRUST_200600_302600_NS6detail15normal_iteratorINS8_10device_ptrIjEEEENSA_INSB_IiEEEEZNS1_13binary_searchIS3_S5_SD_SD_SF_NS1_21lower_bound_search_opENS9_16wrapped_functionINS0_4lessIvEEbEEEE10hipError_tPvRmT1_T2_T3_mmT4_T5_P12ihipStream_tbEUlRKjE_EESM_SQ_SR_mSS_SV_bEUlT_E_NS1_11comp_targetILNS1_3genE10ELNS1_11target_archE1200ELNS1_3gpuE4ELNS1_3repE0EEENS1_30default_config_static_selectorELNS0_4arch9wavefront6targetE0EEEvSP_
		.amdhsa_group_segment_fixed_size 0
		.amdhsa_private_segment_fixed_size 0
		.amdhsa_kernarg_size 56
		.amdhsa_user_sgpr_count 15
		.amdhsa_user_sgpr_dispatch_ptr 0
		.amdhsa_user_sgpr_queue_ptr 0
		.amdhsa_user_sgpr_kernarg_segment_ptr 1
		.amdhsa_user_sgpr_dispatch_id 0
		.amdhsa_user_sgpr_private_segment_size 0
		.amdhsa_wavefront_size32 1
		.amdhsa_uses_dynamic_stack 0
		.amdhsa_enable_private_segment 0
		.amdhsa_system_sgpr_workgroup_id_x 1
		.amdhsa_system_sgpr_workgroup_id_y 0
		.amdhsa_system_sgpr_workgroup_id_z 0
		.amdhsa_system_sgpr_workgroup_info 0
		.amdhsa_system_vgpr_workitem_id 0
		.amdhsa_next_free_vgpr 1
		.amdhsa_next_free_sgpr 1
		.amdhsa_reserve_vcc 0
		.amdhsa_float_round_mode_32 0
		.amdhsa_float_round_mode_16_64 0
		.amdhsa_float_denorm_mode_32 3
		.amdhsa_float_denorm_mode_16_64 3
		.amdhsa_dx10_clamp 1
		.amdhsa_ieee_mode 1
		.amdhsa_fp16_overflow 0
		.amdhsa_workgroup_processor_mode 1
		.amdhsa_memory_ordered 1
		.amdhsa_forward_progress 0
		.amdhsa_shared_vgpr_count 0
		.amdhsa_exception_fp_ieee_invalid_op 0
		.amdhsa_exception_fp_denorm_src 0
		.amdhsa_exception_fp_ieee_div_zero 0
		.amdhsa_exception_fp_ieee_overflow 0
		.amdhsa_exception_fp_ieee_underflow 0
		.amdhsa_exception_fp_ieee_inexact 0
		.amdhsa_exception_int_div_zero 0
	.end_amdhsa_kernel
	.section	.text._ZN7rocprim17ROCPRIM_400000_NS6detail17trampoline_kernelINS0_14default_configENS1_27lower_bound_config_selectorIjiEEZNS1_14transform_implILb0ES3_S5_N6thrust23THRUST_200600_302600_NS6detail15normal_iteratorINS8_10device_ptrIjEEEENSA_INSB_IiEEEEZNS1_13binary_searchIS3_S5_SD_SD_SF_NS1_21lower_bound_search_opENS9_16wrapped_functionINS0_4lessIvEEbEEEE10hipError_tPvRmT1_T2_T3_mmT4_T5_P12ihipStream_tbEUlRKjE_EESM_SQ_SR_mSS_SV_bEUlT_E_NS1_11comp_targetILNS1_3genE10ELNS1_11target_archE1200ELNS1_3gpuE4ELNS1_3repE0EEENS1_30default_config_static_selectorELNS0_4arch9wavefront6targetE0EEEvSP_,"axG",@progbits,_ZN7rocprim17ROCPRIM_400000_NS6detail17trampoline_kernelINS0_14default_configENS1_27lower_bound_config_selectorIjiEEZNS1_14transform_implILb0ES3_S5_N6thrust23THRUST_200600_302600_NS6detail15normal_iteratorINS8_10device_ptrIjEEEENSA_INSB_IiEEEEZNS1_13binary_searchIS3_S5_SD_SD_SF_NS1_21lower_bound_search_opENS9_16wrapped_functionINS0_4lessIvEEbEEEE10hipError_tPvRmT1_T2_T3_mmT4_T5_P12ihipStream_tbEUlRKjE_EESM_SQ_SR_mSS_SV_bEUlT_E_NS1_11comp_targetILNS1_3genE10ELNS1_11target_archE1200ELNS1_3gpuE4ELNS1_3repE0EEENS1_30default_config_static_selectorELNS0_4arch9wavefront6targetE0EEEvSP_,comdat
.Lfunc_end287:
	.size	_ZN7rocprim17ROCPRIM_400000_NS6detail17trampoline_kernelINS0_14default_configENS1_27lower_bound_config_selectorIjiEEZNS1_14transform_implILb0ES3_S5_N6thrust23THRUST_200600_302600_NS6detail15normal_iteratorINS8_10device_ptrIjEEEENSA_INSB_IiEEEEZNS1_13binary_searchIS3_S5_SD_SD_SF_NS1_21lower_bound_search_opENS9_16wrapped_functionINS0_4lessIvEEbEEEE10hipError_tPvRmT1_T2_T3_mmT4_T5_P12ihipStream_tbEUlRKjE_EESM_SQ_SR_mSS_SV_bEUlT_E_NS1_11comp_targetILNS1_3genE10ELNS1_11target_archE1200ELNS1_3gpuE4ELNS1_3repE0EEENS1_30default_config_static_selectorELNS0_4arch9wavefront6targetE0EEEvSP_, .Lfunc_end287-_ZN7rocprim17ROCPRIM_400000_NS6detail17trampoline_kernelINS0_14default_configENS1_27lower_bound_config_selectorIjiEEZNS1_14transform_implILb0ES3_S5_N6thrust23THRUST_200600_302600_NS6detail15normal_iteratorINS8_10device_ptrIjEEEENSA_INSB_IiEEEEZNS1_13binary_searchIS3_S5_SD_SD_SF_NS1_21lower_bound_search_opENS9_16wrapped_functionINS0_4lessIvEEbEEEE10hipError_tPvRmT1_T2_T3_mmT4_T5_P12ihipStream_tbEUlRKjE_EESM_SQ_SR_mSS_SV_bEUlT_E_NS1_11comp_targetILNS1_3genE10ELNS1_11target_archE1200ELNS1_3gpuE4ELNS1_3repE0EEENS1_30default_config_static_selectorELNS0_4arch9wavefront6targetE0EEEvSP_
                                        ; -- End function
	.section	.AMDGPU.csdata,"",@progbits
; Kernel info:
; codeLenInByte = 0
; NumSgprs: 0
; NumVgprs: 0
; ScratchSize: 0
; MemoryBound: 0
; FloatMode: 240
; IeeeMode: 1
; LDSByteSize: 0 bytes/workgroup (compile time only)
; SGPRBlocks: 0
; VGPRBlocks: 0
; NumSGPRsForWavesPerEU: 1
; NumVGPRsForWavesPerEU: 1
; Occupancy: 16
; WaveLimiterHint : 0
; COMPUTE_PGM_RSRC2:SCRATCH_EN: 0
; COMPUTE_PGM_RSRC2:USER_SGPR: 15
; COMPUTE_PGM_RSRC2:TRAP_HANDLER: 0
; COMPUTE_PGM_RSRC2:TGID_X_EN: 1
; COMPUTE_PGM_RSRC2:TGID_Y_EN: 0
; COMPUTE_PGM_RSRC2:TGID_Z_EN: 0
; COMPUTE_PGM_RSRC2:TIDIG_COMP_CNT: 0
	.section	.text._ZN7rocprim17ROCPRIM_400000_NS6detail17trampoline_kernelINS0_14default_configENS1_27lower_bound_config_selectorIjiEEZNS1_14transform_implILb0ES3_S5_N6thrust23THRUST_200600_302600_NS6detail15normal_iteratorINS8_10device_ptrIjEEEENSA_INSB_IiEEEEZNS1_13binary_searchIS3_S5_SD_SD_SF_NS1_21lower_bound_search_opENS9_16wrapped_functionINS0_4lessIvEEbEEEE10hipError_tPvRmT1_T2_T3_mmT4_T5_P12ihipStream_tbEUlRKjE_EESM_SQ_SR_mSS_SV_bEUlT_E_NS1_11comp_targetILNS1_3genE9ELNS1_11target_archE1100ELNS1_3gpuE3ELNS1_3repE0EEENS1_30default_config_static_selectorELNS0_4arch9wavefront6targetE0EEEvSP_,"axG",@progbits,_ZN7rocprim17ROCPRIM_400000_NS6detail17trampoline_kernelINS0_14default_configENS1_27lower_bound_config_selectorIjiEEZNS1_14transform_implILb0ES3_S5_N6thrust23THRUST_200600_302600_NS6detail15normal_iteratorINS8_10device_ptrIjEEEENSA_INSB_IiEEEEZNS1_13binary_searchIS3_S5_SD_SD_SF_NS1_21lower_bound_search_opENS9_16wrapped_functionINS0_4lessIvEEbEEEE10hipError_tPvRmT1_T2_T3_mmT4_T5_P12ihipStream_tbEUlRKjE_EESM_SQ_SR_mSS_SV_bEUlT_E_NS1_11comp_targetILNS1_3genE9ELNS1_11target_archE1100ELNS1_3gpuE3ELNS1_3repE0EEENS1_30default_config_static_selectorELNS0_4arch9wavefront6targetE0EEEvSP_,comdat
	.protected	_ZN7rocprim17ROCPRIM_400000_NS6detail17trampoline_kernelINS0_14default_configENS1_27lower_bound_config_selectorIjiEEZNS1_14transform_implILb0ES3_S5_N6thrust23THRUST_200600_302600_NS6detail15normal_iteratorINS8_10device_ptrIjEEEENSA_INSB_IiEEEEZNS1_13binary_searchIS3_S5_SD_SD_SF_NS1_21lower_bound_search_opENS9_16wrapped_functionINS0_4lessIvEEbEEEE10hipError_tPvRmT1_T2_T3_mmT4_T5_P12ihipStream_tbEUlRKjE_EESM_SQ_SR_mSS_SV_bEUlT_E_NS1_11comp_targetILNS1_3genE9ELNS1_11target_archE1100ELNS1_3gpuE3ELNS1_3repE0EEENS1_30default_config_static_selectorELNS0_4arch9wavefront6targetE0EEEvSP_ ; -- Begin function _ZN7rocprim17ROCPRIM_400000_NS6detail17trampoline_kernelINS0_14default_configENS1_27lower_bound_config_selectorIjiEEZNS1_14transform_implILb0ES3_S5_N6thrust23THRUST_200600_302600_NS6detail15normal_iteratorINS8_10device_ptrIjEEEENSA_INSB_IiEEEEZNS1_13binary_searchIS3_S5_SD_SD_SF_NS1_21lower_bound_search_opENS9_16wrapped_functionINS0_4lessIvEEbEEEE10hipError_tPvRmT1_T2_T3_mmT4_T5_P12ihipStream_tbEUlRKjE_EESM_SQ_SR_mSS_SV_bEUlT_E_NS1_11comp_targetILNS1_3genE9ELNS1_11target_archE1100ELNS1_3gpuE3ELNS1_3repE0EEENS1_30default_config_static_selectorELNS0_4arch9wavefront6targetE0EEEvSP_
	.globl	_ZN7rocprim17ROCPRIM_400000_NS6detail17trampoline_kernelINS0_14default_configENS1_27lower_bound_config_selectorIjiEEZNS1_14transform_implILb0ES3_S5_N6thrust23THRUST_200600_302600_NS6detail15normal_iteratorINS8_10device_ptrIjEEEENSA_INSB_IiEEEEZNS1_13binary_searchIS3_S5_SD_SD_SF_NS1_21lower_bound_search_opENS9_16wrapped_functionINS0_4lessIvEEbEEEE10hipError_tPvRmT1_T2_T3_mmT4_T5_P12ihipStream_tbEUlRKjE_EESM_SQ_SR_mSS_SV_bEUlT_E_NS1_11comp_targetILNS1_3genE9ELNS1_11target_archE1100ELNS1_3gpuE3ELNS1_3repE0EEENS1_30default_config_static_selectorELNS0_4arch9wavefront6targetE0EEEvSP_
	.p2align	8
	.type	_ZN7rocprim17ROCPRIM_400000_NS6detail17trampoline_kernelINS0_14default_configENS1_27lower_bound_config_selectorIjiEEZNS1_14transform_implILb0ES3_S5_N6thrust23THRUST_200600_302600_NS6detail15normal_iteratorINS8_10device_ptrIjEEEENSA_INSB_IiEEEEZNS1_13binary_searchIS3_S5_SD_SD_SF_NS1_21lower_bound_search_opENS9_16wrapped_functionINS0_4lessIvEEbEEEE10hipError_tPvRmT1_T2_T3_mmT4_T5_P12ihipStream_tbEUlRKjE_EESM_SQ_SR_mSS_SV_bEUlT_E_NS1_11comp_targetILNS1_3genE9ELNS1_11target_archE1100ELNS1_3gpuE3ELNS1_3repE0EEENS1_30default_config_static_selectorELNS0_4arch9wavefront6targetE0EEEvSP_,@function
_ZN7rocprim17ROCPRIM_400000_NS6detail17trampoline_kernelINS0_14default_configENS1_27lower_bound_config_selectorIjiEEZNS1_14transform_implILb0ES3_S5_N6thrust23THRUST_200600_302600_NS6detail15normal_iteratorINS8_10device_ptrIjEEEENSA_INSB_IiEEEEZNS1_13binary_searchIS3_S5_SD_SD_SF_NS1_21lower_bound_search_opENS9_16wrapped_functionINS0_4lessIvEEbEEEE10hipError_tPvRmT1_T2_T3_mmT4_T5_P12ihipStream_tbEUlRKjE_EESM_SQ_SR_mSS_SV_bEUlT_E_NS1_11comp_targetILNS1_3genE9ELNS1_11target_archE1100ELNS1_3gpuE3ELNS1_3repE0EEENS1_30default_config_static_selectorELNS0_4arch9wavefront6targetE0EEEvSP_: ; @_ZN7rocprim17ROCPRIM_400000_NS6detail17trampoline_kernelINS0_14default_configENS1_27lower_bound_config_selectorIjiEEZNS1_14transform_implILb0ES3_S5_N6thrust23THRUST_200600_302600_NS6detail15normal_iteratorINS8_10device_ptrIjEEEENSA_INSB_IiEEEEZNS1_13binary_searchIS3_S5_SD_SD_SF_NS1_21lower_bound_search_opENS9_16wrapped_functionINS0_4lessIvEEbEEEE10hipError_tPvRmT1_T2_T3_mmT4_T5_P12ihipStream_tbEUlRKjE_EESM_SQ_SR_mSS_SV_bEUlT_E_NS1_11comp_targetILNS1_3genE9ELNS1_11target_archE1100ELNS1_3gpuE3ELNS1_3repE0EEENS1_30default_config_static_selectorELNS0_4arch9wavefront6targetE0EEEvSP_
; %bb.0:
	s_clause 0x3
	s_load_b128 s[16:19], s[0:1], 0x0
	s_load_b128 s[4:7], s[0:1], 0x18
	s_load_b32 s12, s[0:1], 0x38
	s_load_b64 s[8:9], s[0:1], 0x28
	s_waitcnt lgkmcnt(0)
	s_lshl_b64 s[2:3], s[18:19], 2
	s_delay_alu instid0(SALU_CYCLE_1)
	s_add_u32 s10, s16, s2
	s_addc_u32 s11, s17, s3
	s_add_u32 s4, s4, s2
	s_addc_u32 s5, s5, s3
	s_add_i32 s12, s12, -1
	s_lshl_b32 s2, s15, 7
	s_mov_b32 s3, 0
	s_cmp_lg_u32 s15, s12
	s_mov_b32 s12, -1
	s_cbranch_scc0 .LBB288_6
; %bb.1:
	v_mov_b32_e32 v1, 0
	s_cmp_eq_u64 s[8:9], 0
	s_cbranch_scc1 .LBB288_5
; %bb.2:
	v_lshlrev_b32_e32 v1, 2, v0
	s_lshl_b64 s[12:13], s[2:3], 2
	v_dual_mov_b32 v3, s8 :: v_dual_mov_b32 v4, s9
	s_add_u32 s12, s10, s12
	s_addc_u32 s13, s11, s13
	v_add_co_u32 v1, s12, s12, v1
	s_delay_alu instid0(VALU_DEP_1)
	v_add_co_ci_u32_e64 v2, null, s13, 0, s12
	s_mov_b32 s12, 0
	flat_load_b32 v5, v[1:2]
	v_mov_b32_e32 v1, 0
	v_mov_b32_e32 v2, 0
	.p2align	6
.LBB288_3:                              ; =>This Inner Loop Header: Depth=1
	s_delay_alu instid0(VALU_DEP_2) | instskip(NEXT) | instid1(VALU_DEP_2)
	v_sub_co_u32 v6, vcc_lo, v3, v1
	v_sub_co_ci_u32_e32 v7, vcc_lo, v4, v2, vcc_lo
	s_delay_alu instid0(VALU_DEP_1) | instskip(SKIP_1) | instid1(VALU_DEP_2)
	v_lshrrev_b64 v[8:9], 1, v[6:7]
	v_lshrrev_b64 v[6:7], 6, v[6:7]
	v_add_co_u32 v8, vcc_lo, v8, v1
	s_delay_alu instid0(VALU_DEP_3) | instskip(NEXT) | instid1(VALU_DEP_2)
	v_add_co_ci_u32_e32 v9, vcc_lo, v9, v2, vcc_lo
	v_add_co_u32 v6, vcc_lo, v8, v6
	s_delay_alu instid0(VALU_DEP_2) | instskip(NEXT) | instid1(VALU_DEP_1)
	v_add_co_ci_u32_e32 v7, vcc_lo, v9, v7, vcc_lo
	v_lshlrev_b64 v[8:9], 2, v[6:7]
	s_delay_alu instid0(VALU_DEP_1) | instskip(NEXT) | instid1(VALU_DEP_2)
	v_add_co_u32 v8, vcc_lo, s6, v8
	v_add_co_ci_u32_e32 v9, vcc_lo, s7, v9, vcc_lo
	global_load_b32 v8, v[8:9], off
	v_add_co_u32 v9, vcc_lo, v6, 1
	v_add_co_ci_u32_e32 v10, vcc_lo, 0, v7, vcc_lo
	s_waitcnt vmcnt(0) lgkmcnt(0)
	v_cmp_lt_u32_e32 vcc_lo, v8, v5
	v_dual_cndmask_b32 v4, v7, v4 :: v_dual_cndmask_b32 v3, v6, v3
	s_delay_alu instid0(VALU_DEP_3) | instskip(NEXT) | instid1(VALU_DEP_1)
	v_dual_cndmask_b32 v2, v2, v10 :: v_dual_cndmask_b32 v1, v1, v9
	v_cmp_ge_u64_e32 vcc_lo, v[1:2], v[3:4]
	s_or_b32 s12, vcc_lo, s12
	s_delay_alu instid0(SALU_CYCLE_1)
	s_and_not1_b32 exec_lo, exec_lo, s12
	s_cbranch_execnz .LBB288_3
; %bb.4:
	s_or_b32 exec_lo, exec_lo, s12
.LBB288_5:
	v_lshlrev_b32_e32 v2, 2, v0
	s_lshl_b64 s[12:13], s[2:3], 2
	s_delay_alu instid0(SALU_CYCLE_1) | instskip(SKIP_1) | instid1(VALU_DEP_1)
	s_add_u32 s12, s4, s12
	s_addc_u32 s13, s5, s13
	v_add_co_u32 v2, s12, s12, v2
	s_delay_alu instid0(VALU_DEP_1)
	v_add_co_ci_u32_e64 v3, null, s13, 0, s12
	s_mov_b32 s12, 0
	flat_store_b32 v[2:3], v1
.LBB288_6:
	s_and_b32 vcc_lo, exec_lo, s12
	s_cbranch_vccz .LBB288_11
; %bb.7:
	s_load_b32 s0, s[0:1], 0x10
                                        ; implicit-def: $vgpr5
	s_waitcnt lgkmcnt(0)
	s_sub_i32 s0, s0, s2
	s_delay_alu instid0(SALU_CYCLE_1)
	v_cmp_gt_u32_e32 vcc_lo, s0, v0
	s_and_saveexec_b32 s0, vcc_lo
	s_cbranch_execnz .LBB288_12
; %bb.8:
	s_or_b32 exec_lo, exec_lo, s0
                                        ; implicit-def: $vgpr1
	s_and_saveexec_b32 s1, vcc_lo
	s_cbranch_execnz .LBB288_13
.LBB288_9:
	s_or_b32 exec_lo, exec_lo, s1
	s_and_saveexec_b32 s0, vcc_lo
	s_cbranch_execz .LBB288_11
.LBB288_10:
	v_lshlrev_b32_e32 v0, 2, v0
	s_lshl_b64 s[0:1], s[2:3], 2
	s_delay_alu instid0(SALU_CYCLE_1) | instskip(SKIP_1) | instid1(VALU_DEP_1)
	s_add_u32 s0, s4, s0
	s_addc_u32 s1, s5, s1
	v_add_co_u32 v2, s0, s0, v0
	s_delay_alu instid0(VALU_DEP_1)
	v_add_co_ci_u32_e64 v3, null, s1, 0, s0
	flat_store_b32 v[2:3], v1
.LBB288_11:
	s_endpgm
.LBB288_12:
	v_lshlrev_b32_e32 v1, 2, v0
	s_lshl_b64 s[12:13], s[2:3], 2
	s_delay_alu instid0(SALU_CYCLE_1) | instskip(SKIP_1) | instid1(VALU_DEP_1)
	s_add_u32 s1, s10, s12
	s_addc_u32 s10, s11, s13
	v_add_co_u32 v1, s1, s1, v1
	s_delay_alu instid0(VALU_DEP_1)
	v_add_co_ci_u32_e64 v2, null, s10, 0, s1
	flat_load_b32 v5, v[1:2]
	s_or_b32 exec_lo, exec_lo, s0
                                        ; implicit-def: $vgpr1
	s_and_saveexec_b32 s1, vcc_lo
	s_cbranch_execz .LBB288_9
.LBB288_13:
	s_cmp_eq_u64 s[8:9], 0
	s_cbranch_scc1 .LBB288_17
; %bb.14:
	v_mov_b32_e32 v1, 0
	v_dual_mov_b32 v2, 0 :: v_dual_mov_b32 v3, s8
	v_mov_b32_e32 v4, s9
	s_mov_b32 s8, 0
	s_set_inst_prefetch_distance 0x1
	.p2align	6
.LBB288_15:                             ; =>This Inner Loop Header: Depth=1
	s_delay_alu instid0(VALU_DEP_2) | instskip(NEXT) | instid1(VALU_DEP_1)
	v_sub_co_u32 v6, s0, v3, v1
	v_sub_co_ci_u32_e64 v7, s0, v4, v2, s0
	s_delay_alu instid0(VALU_DEP_1) | instskip(SKIP_1) | instid1(VALU_DEP_2)
	v_lshrrev_b64 v[8:9], 1, v[6:7]
	v_lshrrev_b64 v[6:7], 6, v[6:7]
	v_add_co_u32 v8, s0, v8, v1
	s_delay_alu instid0(VALU_DEP_1) | instskip(NEXT) | instid1(VALU_DEP_2)
	v_add_co_ci_u32_e64 v9, s0, v9, v2, s0
	v_add_co_u32 v6, s0, v8, v6
	s_delay_alu instid0(VALU_DEP_1) | instskip(NEXT) | instid1(VALU_DEP_1)
	v_add_co_ci_u32_e64 v7, s0, v9, v7, s0
	v_lshlrev_b64 v[8:9], 2, v[6:7]
	s_delay_alu instid0(VALU_DEP_1) | instskip(NEXT) | instid1(VALU_DEP_1)
	v_add_co_u32 v8, s0, s6, v8
	v_add_co_ci_u32_e64 v9, s0, s7, v9, s0
	global_load_b32 v8, v[8:9], off
	v_add_co_u32 v9, s0, v6, 1
	s_delay_alu instid0(VALU_DEP_1) | instskip(SKIP_2) | instid1(VALU_DEP_1)
	v_add_co_ci_u32_e64 v10, s0, 0, v7, s0
	s_waitcnt vmcnt(0) lgkmcnt(0)
	v_cmp_lt_u32_e64 s0, v8, v5
	v_cndmask_b32_e64 v4, v7, v4, s0
	v_cndmask_b32_e64 v3, v6, v3, s0
	;; [unrolled: 1-line block ×4, first 2 shown]
	s_delay_alu instid0(VALU_DEP_1) | instskip(NEXT) | instid1(VALU_DEP_1)
	v_cmp_ge_u64_e64 s0, v[1:2], v[3:4]
	s_or_b32 s8, s0, s8
	s_delay_alu instid0(SALU_CYCLE_1)
	s_and_not1_b32 exec_lo, exec_lo, s8
	s_cbranch_execnz .LBB288_15
; %bb.16:
	s_set_inst_prefetch_distance 0x2
	s_or_b32 exec_lo, exec_lo, s8
	s_delay_alu instid0(SALU_CYCLE_1)
	s_or_b32 exec_lo, exec_lo, s1
	s_and_saveexec_b32 s0, vcc_lo
	s_cbranch_execnz .LBB288_10
	s_branch .LBB288_11
.LBB288_17:
	v_mov_b32_e32 v1, 0
	s_or_b32 exec_lo, exec_lo, s1
	s_and_saveexec_b32 s0, vcc_lo
	s_cbranch_execnz .LBB288_10
	s_branch .LBB288_11
	.section	.rodata,"a",@progbits
	.p2align	6, 0x0
	.amdhsa_kernel _ZN7rocprim17ROCPRIM_400000_NS6detail17trampoline_kernelINS0_14default_configENS1_27lower_bound_config_selectorIjiEEZNS1_14transform_implILb0ES3_S5_N6thrust23THRUST_200600_302600_NS6detail15normal_iteratorINS8_10device_ptrIjEEEENSA_INSB_IiEEEEZNS1_13binary_searchIS3_S5_SD_SD_SF_NS1_21lower_bound_search_opENS9_16wrapped_functionINS0_4lessIvEEbEEEE10hipError_tPvRmT1_T2_T3_mmT4_T5_P12ihipStream_tbEUlRKjE_EESM_SQ_SR_mSS_SV_bEUlT_E_NS1_11comp_targetILNS1_3genE9ELNS1_11target_archE1100ELNS1_3gpuE3ELNS1_3repE0EEENS1_30default_config_static_selectorELNS0_4arch9wavefront6targetE0EEEvSP_
		.amdhsa_group_segment_fixed_size 0
		.amdhsa_private_segment_fixed_size 0
		.amdhsa_kernarg_size 312
		.amdhsa_user_sgpr_count 15
		.amdhsa_user_sgpr_dispatch_ptr 0
		.amdhsa_user_sgpr_queue_ptr 0
		.amdhsa_user_sgpr_kernarg_segment_ptr 1
		.amdhsa_user_sgpr_dispatch_id 0
		.amdhsa_user_sgpr_private_segment_size 0
		.amdhsa_wavefront_size32 1
		.amdhsa_uses_dynamic_stack 0
		.amdhsa_enable_private_segment 0
		.amdhsa_system_sgpr_workgroup_id_x 1
		.amdhsa_system_sgpr_workgroup_id_y 0
		.amdhsa_system_sgpr_workgroup_id_z 0
		.amdhsa_system_sgpr_workgroup_info 0
		.amdhsa_system_vgpr_workitem_id 0
		.amdhsa_next_free_vgpr 11
		.amdhsa_next_free_sgpr 20
		.amdhsa_reserve_vcc 1
		.amdhsa_float_round_mode_32 0
		.amdhsa_float_round_mode_16_64 0
		.amdhsa_float_denorm_mode_32 3
		.amdhsa_float_denorm_mode_16_64 3
		.amdhsa_dx10_clamp 1
		.amdhsa_ieee_mode 1
		.amdhsa_fp16_overflow 0
		.amdhsa_workgroup_processor_mode 1
		.amdhsa_memory_ordered 1
		.amdhsa_forward_progress 0
		.amdhsa_shared_vgpr_count 0
		.amdhsa_exception_fp_ieee_invalid_op 0
		.amdhsa_exception_fp_denorm_src 0
		.amdhsa_exception_fp_ieee_div_zero 0
		.amdhsa_exception_fp_ieee_overflow 0
		.amdhsa_exception_fp_ieee_underflow 0
		.amdhsa_exception_fp_ieee_inexact 0
		.amdhsa_exception_int_div_zero 0
	.end_amdhsa_kernel
	.section	.text._ZN7rocprim17ROCPRIM_400000_NS6detail17trampoline_kernelINS0_14default_configENS1_27lower_bound_config_selectorIjiEEZNS1_14transform_implILb0ES3_S5_N6thrust23THRUST_200600_302600_NS6detail15normal_iteratorINS8_10device_ptrIjEEEENSA_INSB_IiEEEEZNS1_13binary_searchIS3_S5_SD_SD_SF_NS1_21lower_bound_search_opENS9_16wrapped_functionINS0_4lessIvEEbEEEE10hipError_tPvRmT1_T2_T3_mmT4_T5_P12ihipStream_tbEUlRKjE_EESM_SQ_SR_mSS_SV_bEUlT_E_NS1_11comp_targetILNS1_3genE9ELNS1_11target_archE1100ELNS1_3gpuE3ELNS1_3repE0EEENS1_30default_config_static_selectorELNS0_4arch9wavefront6targetE0EEEvSP_,"axG",@progbits,_ZN7rocprim17ROCPRIM_400000_NS6detail17trampoline_kernelINS0_14default_configENS1_27lower_bound_config_selectorIjiEEZNS1_14transform_implILb0ES3_S5_N6thrust23THRUST_200600_302600_NS6detail15normal_iteratorINS8_10device_ptrIjEEEENSA_INSB_IiEEEEZNS1_13binary_searchIS3_S5_SD_SD_SF_NS1_21lower_bound_search_opENS9_16wrapped_functionINS0_4lessIvEEbEEEE10hipError_tPvRmT1_T2_T3_mmT4_T5_P12ihipStream_tbEUlRKjE_EESM_SQ_SR_mSS_SV_bEUlT_E_NS1_11comp_targetILNS1_3genE9ELNS1_11target_archE1100ELNS1_3gpuE3ELNS1_3repE0EEENS1_30default_config_static_selectorELNS0_4arch9wavefront6targetE0EEEvSP_,comdat
.Lfunc_end288:
	.size	_ZN7rocprim17ROCPRIM_400000_NS6detail17trampoline_kernelINS0_14default_configENS1_27lower_bound_config_selectorIjiEEZNS1_14transform_implILb0ES3_S5_N6thrust23THRUST_200600_302600_NS6detail15normal_iteratorINS8_10device_ptrIjEEEENSA_INSB_IiEEEEZNS1_13binary_searchIS3_S5_SD_SD_SF_NS1_21lower_bound_search_opENS9_16wrapped_functionINS0_4lessIvEEbEEEE10hipError_tPvRmT1_T2_T3_mmT4_T5_P12ihipStream_tbEUlRKjE_EESM_SQ_SR_mSS_SV_bEUlT_E_NS1_11comp_targetILNS1_3genE9ELNS1_11target_archE1100ELNS1_3gpuE3ELNS1_3repE0EEENS1_30default_config_static_selectorELNS0_4arch9wavefront6targetE0EEEvSP_, .Lfunc_end288-_ZN7rocprim17ROCPRIM_400000_NS6detail17trampoline_kernelINS0_14default_configENS1_27lower_bound_config_selectorIjiEEZNS1_14transform_implILb0ES3_S5_N6thrust23THRUST_200600_302600_NS6detail15normal_iteratorINS8_10device_ptrIjEEEENSA_INSB_IiEEEEZNS1_13binary_searchIS3_S5_SD_SD_SF_NS1_21lower_bound_search_opENS9_16wrapped_functionINS0_4lessIvEEbEEEE10hipError_tPvRmT1_T2_T3_mmT4_T5_P12ihipStream_tbEUlRKjE_EESM_SQ_SR_mSS_SV_bEUlT_E_NS1_11comp_targetILNS1_3genE9ELNS1_11target_archE1100ELNS1_3gpuE3ELNS1_3repE0EEENS1_30default_config_static_selectorELNS0_4arch9wavefront6targetE0EEEvSP_
                                        ; -- End function
	.section	.AMDGPU.csdata,"",@progbits
; Kernel info:
; codeLenInByte = 844
; NumSgprs: 22
; NumVgprs: 11
; ScratchSize: 0
; MemoryBound: 0
; FloatMode: 240
; IeeeMode: 1
; LDSByteSize: 0 bytes/workgroup (compile time only)
; SGPRBlocks: 2
; VGPRBlocks: 1
; NumSGPRsForWavesPerEU: 22
; NumVGPRsForWavesPerEU: 11
; Occupancy: 16
; WaveLimiterHint : 0
; COMPUTE_PGM_RSRC2:SCRATCH_EN: 0
; COMPUTE_PGM_RSRC2:USER_SGPR: 15
; COMPUTE_PGM_RSRC2:TRAP_HANDLER: 0
; COMPUTE_PGM_RSRC2:TGID_X_EN: 1
; COMPUTE_PGM_RSRC2:TGID_Y_EN: 0
; COMPUTE_PGM_RSRC2:TGID_Z_EN: 0
; COMPUTE_PGM_RSRC2:TIDIG_COMP_CNT: 0
	.section	.text._ZN7rocprim17ROCPRIM_400000_NS6detail17trampoline_kernelINS0_14default_configENS1_27lower_bound_config_selectorIjiEEZNS1_14transform_implILb0ES3_S5_N6thrust23THRUST_200600_302600_NS6detail15normal_iteratorINS8_10device_ptrIjEEEENSA_INSB_IiEEEEZNS1_13binary_searchIS3_S5_SD_SD_SF_NS1_21lower_bound_search_opENS9_16wrapped_functionINS0_4lessIvEEbEEEE10hipError_tPvRmT1_T2_T3_mmT4_T5_P12ihipStream_tbEUlRKjE_EESM_SQ_SR_mSS_SV_bEUlT_E_NS1_11comp_targetILNS1_3genE8ELNS1_11target_archE1030ELNS1_3gpuE2ELNS1_3repE0EEENS1_30default_config_static_selectorELNS0_4arch9wavefront6targetE0EEEvSP_,"axG",@progbits,_ZN7rocprim17ROCPRIM_400000_NS6detail17trampoline_kernelINS0_14default_configENS1_27lower_bound_config_selectorIjiEEZNS1_14transform_implILb0ES3_S5_N6thrust23THRUST_200600_302600_NS6detail15normal_iteratorINS8_10device_ptrIjEEEENSA_INSB_IiEEEEZNS1_13binary_searchIS3_S5_SD_SD_SF_NS1_21lower_bound_search_opENS9_16wrapped_functionINS0_4lessIvEEbEEEE10hipError_tPvRmT1_T2_T3_mmT4_T5_P12ihipStream_tbEUlRKjE_EESM_SQ_SR_mSS_SV_bEUlT_E_NS1_11comp_targetILNS1_3genE8ELNS1_11target_archE1030ELNS1_3gpuE2ELNS1_3repE0EEENS1_30default_config_static_selectorELNS0_4arch9wavefront6targetE0EEEvSP_,comdat
	.protected	_ZN7rocprim17ROCPRIM_400000_NS6detail17trampoline_kernelINS0_14default_configENS1_27lower_bound_config_selectorIjiEEZNS1_14transform_implILb0ES3_S5_N6thrust23THRUST_200600_302600_NS6detail15normal_iteratorINS8_10device_ptrIjEEEENSA_INSB_IiEEEEZNS1_13binary_searchIS3_S5_SD_SD_SF_NS1_21lower_bound_search_opENS9_16wrapped_functionINS0_4lessIvEEbEEEE10hipError_tPvRmT1_T2_T3_mmT4_T5_P12ihipStream_tbEUlRKjE_EESM_SQ_SR_mSS_SV_bEUlT_E_NS1_11comp_targetILNS1_3genE8ELNS1_11target_archE1030ELNS1_3gpuE2ELNS1_3repE0EEENS1_30default_config_static_selectorELNS0_4arch9wavefront6targetE0EEEvSP_ ; -- Begin function _ZN7rocprim17ROCPRIM_400000_NS6detail17trampoline_kernelINS0_14default_configENS1_27lower_bound_config_selectorIjiEEZNS1_14transform_implILb0ES3_S5_N6thrust23THRUST_200600_302600_NS6detail15normal_iteratorINS8_10device_ptrIjEEEENSA_INSB_IiEEEEZNS1_13binary_searchIS3_S5_SD_SD_SF_NS1_21lower_bound_search_opENS9_16wrapped_functionINS0_4lessIvEEbEEEE10hipError_tPvRmT1_T2_T3_mmT4_T5_P12ihipStream_tbEUlRKjE_EESM_SQ_SR_mSS_SV_bEUlT_E_NS1_11comp_targetILNS1_3genE8ELNS1_11target_archE1030ELNS1_3gpuE2ELNS1_3repE0EEENS1_30default_config_static_selectorELNS0_4arch9wavefront6targetE0EEEvSP_
	.globl	_ZN7rocprim17ROCPRIM_400000_NS6detail17trampoline_kernelINS0_14default_configENS1_27lower_bound_config_selectorIjiEEZNS1_14transform_implILb0ES3_S5_N6thrust23THRUST_200600_302600_NS6detail15normal_iteratorINS8_10device_ptrIjEEEENSA_INSB_IiEEEEZNS1_13binary_searchIS3_S5_SD_SD_SF_NS1_21lower_bound_search_opENS9_16wrapped_functionINS0_4lessIvEEbEEEE10hipError_tPvRmT1_T2_T3_mmT4_T5_P12ihipStream_tbEUlRKjE_EESM_SQ_SR_mSS_SV_bEUlT_E_NS1_11comp_targetILNS1_3genE8ELNS1_11target_archE1030ELNS1_3gpuE2ELNS1_3repE0EEENS1_30default_config_static_selectorELNS0_4arch9wavefront6targetE0EEEvSP_
	.p2align	8
	.type	_ZN7rocprim17ROCPRIM_400000_NS6detail17trampoline_kernelINS0_14default_configENS1_27lower_bound_config_selectorIjiEEZNS1_14transform_implILb0ES3_S5_N6thrust23THRUST_200600_302600_NS6detail15normal_iteratorINS8_10device_ptrIjEEEENSA_INSB_IiEEEEZNS1_13binary_searchIS3_S5_SD_SD_SF_NS1_21lower_bound_search_opENS9_16wrapped_functionINS0_4lessIvEEbEEEE10hipError_tPvRmT1_T2_T3_mmT4_T5_P12ihipStream_tbEUlRKjE_EESM_SQ_SR_mSS_SV_bEUlT_E_NS1_11comp_targetILNS1_3genE8ELNS1_11target_archE1030ELNS1_3gpuE2ELNS1_3repE0EEENS1_30default_config_static_selectorELNS0_4arch9wavefront6targetE0EEEvSP_,@function
_ZN7rocprim17ROCPRIM_400000_NS6detail17trampoline_kernelINS0_14default_configENS1_27lower_bound_config_selectorIjiEEZNS1_14transform_implILb0ES3_S5_N6thrust23THRUST_200600_302600_NS6detail15normal_iteratorINS8_10device_ptrIjEEEENSA_INSB_IiEEEEZNS1_13binary_searchIS3_S5_SD_SD_SF_NS1_21lower_bound_search_opENS9_16wrapped_functionINS0_4lessIvEEbEEEE10hipError_tPvRmT1_T2_T3_mmT4_T5_P12ihipStream_tbEUlRKjE_EESM_SQ_SR_mSS_SV_bEUlT_E_NS1_11comp_targetILNS1_3genE8ELNS1_11target_archE1030ELNS1_3gpuE2ELNS1_3repE0EEENS1_30default_config_static_selectorELNS0_4arch9wavefront6targetE0EEEvSP_: ; @_ZN7rocprim17ROCPRIM_400000_NS6detail17trampoline_kernelINS0_14default_configENS1_27lower_bound_config_selectorIjiEEZNS1_14transform_implILb0ES3_S5_N6thrust23THRUST_200600_302600_NS6detail15normal_iteratorINS8_10device_ptrIjEEEENSA_INSB_IiEEEEZNS1_13binary_searchIS3_S5_SD_SD_SF_NS1_21lower_bound_search_opENS9_16wrapped_functionINS0_4lessIvEEbEEEE10hipError_tPvRmT1_T2_T3_mmT4_T5_P12ihipStream_tbEUlRKjE_EESM_SQ_SR_mSS_SV_bEUlT_E_NS1_11comp_targetILNS1_3genE8ELNS1_11target_archE1030ELNS1_3gpuE2ELNS1_3repE0EEENS1_30default_config_static_selectorELNS0_4arch9wavefront6targetE0EEEvSP_
; %bb.0:
	.section	.rodata,"a",@progbits
	.p2align	6, 0x0
	.amdhsa_kernel _ZN7rocprim17ROCPRIM_400000_NS6detail17trampoline_kernelINS0_14default_configENS1_27lower_bound_config_selectorIjiEEZNS1_14transform_implILb0ES3_S5_N6thrust23THRUST_200600_302600_NS6detail15normal_iteratorINS8_10device_ptrIjEEEENSA_INSB_IiEEEEZNS1_13binary_searchIS3_S5_SD_SD_SF_NS1_21lower_bound_search_opENS9_16wrapped_functionINS0_4lessIvEEbEEEE10hipError_tPvRmT1_T2_T3_mmT4_T5_P12ihipStream_tbEUlRKjE_EESM_SQ_SR_mSS_SV_bEUlT_E_NS1_11comp_targetILNS1_3genE8ELNS1_11target_archE1030ELNS1_3gpuE2ELNS1_3repE0EEENS1_30default_config_static_selectorELNS0_4arch9wavefront6targetE0EEEvSP_
		.amdhsa_group_segment_fixed_size 0
		.amdhsa_private_segment_fixed_size 0
		.amdhsa_kernarg_size 56
		.amdhsa_user_sgpr_count 15
		.amdhsa_user_sgpr_dispatch_ptr 0
		.amdhsa_user_sgpr_queue_ptr 0
		.amdhsa_user_sgpr_kernarg_segment_ptr 1
		.amdhsa_user_sgpr_dispatch_id 0
		.amdhsa_user_sgpr_private_segment_size 0
		.amdhsa_wavefront_size32 1
		.amdhsa_uses_dynamic_stack 0
		.amdhsa_enable_private_segment 0
		.amdhsa_system_sgpr_workgroup_id_x 1
		.amdhsa_system_sgpr_workgroup_id_y 0
		.amdhsa_system_sgpr_workgroup_id_z 0
		.amdhsa_system_sgpr_workgroup_info 0
		.amdhsa_system_vgpr_workitem_id 0
		.amdhsa_next_free_vgpr 1
		.amdhsa_next_free_sgpr 1
		.amdhsa_reserve_vcc 0
		.amdhsa_float_round_mode_32 0
		.amdhsa_float_round_mode_16_64 0
		.amdhsa_float_denorm_mode_32 3
		.amdhsa_float_denorm_mode_16_64 3
		.amdhsa_dx10_clamp 1
		.amdhsa_ieee_mode 1
		.amdhsa_fp16_overflow 0
		.amdhsa_workgroup_processor_mode 1
		.amdhsa_memory_ordered 1
		.amdhsa_forward_progress 0
		.amdhsa_shared_vgpr_count 0
		.amdhsa_exception_fp_ieee_invalid_op 0
		.amdhsa_exception_fp_denorm_src 0
		.amdhsa_exception_fp_ieee_div_zero 0
		.amdhsa_exception_fp_ieee_overflow 0
		.amdhsa_exception_fp_ieee_underflow 0
		.amdhsa_exception_fp_ieee_inexact 0
		.amdhsa_exception_int_div_zero 0
	.end_amdhsa_kernel
	.section	.text._ZN7rocprim17ROCPRIM_400000_NS6detail17trampoline_kernelINS0_14default_configENS1_27lower_bound_config_selectorIjiEEZNS1_14transform_implILb0ES3_S5_N6thrust23THRUST_200600_302600_NS6detail15normal_iteratorINS8_10device_ptrIjEEEENSA_INSB_IiEEEEZNS1_13binary_searchIS3_S5_SD_SD_SF_NS1_21lower_bound_search_opENS9_16wrapped_functionINS0_4lessIvEEbEEEE10hipError_tPvRmT1_T2_T3_mmT4_T5_P12ihipStream_tbEUlRKjE_EESM_SQ_SR_mSS_SV_bEUlT_E_NS1_11comp_targetILNS1_3genE8ELNS1_11target_archE1030ELNS1_3gpuE2ELNS1_3repE0EEENS1_30default_config_static_selectorELNS0_4arch9wavefront6targetE0EEEvSP_,"axG",@progbits,_ZN7rocprim17ROCPRIM_400000_NS6detail17trampoline_kernelINS0_14default_configENS1_27lower_bound_config_selectorIjiEEZNS1_14transform_implILb0ES3_S5_N6thrust23THRUST_200600_302600_NS6detail15normal_iteratorINS8_10device_ptrIjEEEENSA_INSB_IiEEEEZNS1_13binary_searchIS3_S5_SD_SD_SF_NS1_21lower_bound_search_opENS9_16wrapped_functionINS0_4lessIvEEbEEEE10hipError_tPvRmT1_T2_T3_mmT4_T5_P12ihipStream_tbEUlRKjE_EESM_SQ_SR_mSS_SV_bEUlT_E_NS1_11comp_targetILNS1_3genE8ELNS1_11target_archE1030ELNS1_3gpuE2ELNS1_3repE0EEENS1_30default_config_static_selectorELNS0_4arch9wavefront6targetE0EEEvSP_,comdat
.Lfunc_end289:
	.size	_ZN7rocprim17ROCPRIM_400000_NS6detail17trampoline_kernelINS0_14default_configENS1_27lower_bound_config_selectorIjiEEZNS1_14transform_implILb0ES3_S5_N6thrust23THRUST_200600_302600_NS6detail15normal_iteratorINS8_10device_ptrIjEEEENSA_INSB_IiEEEEZNS1_13binary_searchIS3_S5_SD_SD_SF_NS1_21lower_bound_search_opENS9_16wrapped_functionINS0_4lessIvEEbEEEE10hipError_tPvRmT1_T2_T3_mmT4_T5_P12ihipStream_tbEUlRKjE_EESM_SQ_SR_mSS_SV_bEUlT_E_NS1_11comp_targetILNS1_3genE8ELNS1_11target_archE1030ELNS1_3gpuE2ELNS1_3repE0EEENS1_30default_config_static_selectorELNS0_4arch9wavefront6targetE0EEEvSP_, .Lfunc_end289-_ZN7rocprim17ROCPRIM_400000_NS6detail17trampoline_kernelINS0_14default_configENS1_27lower_bound_config_selectorIjiEEZNS1_14transform_implILb0ES3_S5_N6thrust23THRUST_200600_302600_NS6detail15normal_iteratorINS8_10device_ptrIjEEEENSA_INSB_IiEEEEZNS1_13binary_searchIS3_S5_SD_SD_SF_NS1_21lower_bound_search_opENS9_16wrapped_functionINS0_4lessIvEEbEEEE10hipError_tPvRmT1_T2_T3_mmT4_T5_P12ihipStream_tbEUlRKjE_EESM_SQ_SR_mSS_SV_bEUlT_E_NS1_11comp_targetILNS1_3genE8ELNS1_11target_archE1030ELNS1_3gpuE2ELNS1_3repE0EEENS1_30default_config_static_selectorELNS0_4arch9wavefront6targetE0EEEvSP_
                                        ; -- End function
	.section	.AMDGPU.csdata,"",@progbits
; Kernel info:
; codeLenInByte = 0
; NumSgprs: 0
; NumVgprs: 0
; ScratchSize: 0
; MemoryBound: 0
; FloatMode: 240
; IeeeMode: 1
; LDSByteSize: 0 bytes/workgroup (compile time only)
; SGPRBlocks: 0
; VGPRBlocks: 0
; NumSGPRsForWavesPerEU: 1
; NumVGPRsForWavesPerEU: 1
; Occupancy: 16
; WaveLimiterHint : 0
; COMPUTE_PGM_RSRC2:SCRATCH_EN: 0
; COMPUTE_PGM_RSRC2:USER_SGPR: 15
; COMPUTE_PGM_RSRC2:TRAP_HANDLER: 0
; COMPUTE_PGM_RSRC2:TGID_X_EN: 1
; COMPUTE_PGM_RSRC2:TGID_Y_EN: 0
; COMPUTE_PGM_RSRC2:TGID_Z_EN: 0
; COMPUTE_PGM_RSRC2:TIDIG_COMP_CNT: 0
	.section	.text._ZN6thrust23THRUST_200600_302600_NS11hip_rocprim14__parallel_for6kernelILj256ENS1_10__tabulate7functorINS0_6detail15normal_iteratorINS0_10device_ptrItEEEENS0_6system6detail7generic6detail22compute_sequence_valueItvEElEElLj1EEEvT0_T1_SJ_,"axG",@progbits,_ZN6thrust23THRUST_200600_302600_NS11hip_rocprim14__parallel_for6kernelILj256ENS1_10__tabulate7functorINS0_6detail15normal_iteratorINS0_10device_ptrItEEEENS0_6system6detail7generic6detail22compute_sequence_valueItvEElEElLj1EEEvT0_T1_SJ_,comdat
	.protected	_ZN6thrust23THRUST_200600_302600_NS11hip_rocprim14__parallel_for6kernelILj256ENS1_10__tabulate7functorINS0_6detail15normal_iteratorINS0_10device_ptrItEEEENS0_6system6detail7generic6detail22compute_sequence_valueItvEElEElLj1EEEvT0_T1_SJ_ ; -- Begin function _ZN6thrust23THRUST_200600_302600_NS11hip_rocprim14__parallel_for6kernelILj256ENS1_10__tabulate7functorINS0_6detail15normal_iteratorINS0_10device_ptrItEEEENS0_6system6detail7generic6detail22compute_sequence_valueItvEElEElLj1EEEvT0_T1_SJ_
	.globl	_ZN6thrust23THRUST_200600_302600_NS11hip_rocprim14__parallel_for6kernelILj256ENS1_10__tabulate7functorINS0_6detail15normal_iteratorINS0_10device_ptrItEEEENS0_6system6detail7generic6detail22compute_sequence_valueItvEElEElLj1EEEvT0_T1_SJ_
	.p2align	8
	.type	_ZN6thrust23THRUST_200600_302600_NS11hip_rocprim14__parallel_for6kernelILj256ENS1_10__tabulate7functorINS0_6detail15normal_iteratorINS0_10device_ptrItEEEENS0_6system6detail7generic6detail22compute_sequence_valueItvEElEElLj1EEEvT0_T1_SJ_,@function
_ZN6thrust23THRUST_200600_302600_NS11hip_rocprim14__parallel_for6kernelILj256ENS1_10__tabulate7functorINS0_6detail15normal_iteratorINS0_10device_ptrItEEEENS0_6system6detail7generic6detail22compute_sequence_valueItvEElEElLj1EEEvT0_T1_SJ_: ; @_ZN6thrust23THRUST_200600_302600_NS11hip_rocprim14__parallel_for6kernelILj256ENS1_10__tabulate7functorINS0_6detail15normal_iteratorINS0_10device_ptrItEEEENS0_6system6detail7generic6detail22compute_sequence_valueItvEElEElLj1EEEvT0_T1_SJ_
; %bb.0:
	s_load_b128 s[4:7], s[0:1], 0x10
	s_lshl_b32 s2, s15, 8
	s_waitcnt lgkmcnt(0)
	s_add_u32 s2, s2, s6
	s_addc_u32 s3, 0, s7
	s_sub_u32 s4, s4, s2
	s_subb_u32 s5, s5, s3
	s_delay_alu instid0(SALU_CYCLE_1) | instskip(NEXT) | instid1(VALU_DEP_1)
	v_cmp_gt_i64_e64 s5, 0x100, s[4:5]
	s_and_b32 s5, s5, exec_lo
	s_cselect_b32 s4, s4, 0x100
	s_delay_alu instid0(SALU_CYCLE_1) | instskip(SKIP_2) | instid1(SALU_CYCLE_1)
	v_cmp_gt_u32_e32 vcc_lo, s4, v0
	s_cmpk_eq_i32 s4, 0x100
	s_cselect_b32 s4, -1, 0
	s_or_b32 s4, s4, vcc_lo
	s_delay_alu instid0(SALU_CYCLE_1)
	s_and_saveexec_b32 s5, s4
	s_cbranch_execz .LBB290_2
; %bb.1:
	s_clause 0x1
	s_load_b32 s4, s[0:1], 0x8
	s_load_b64 s[0:1], s[0:1], 0x0
	v_add_co_u32 v0, s2, s2, v0
	s_delay_alu instid0(VALU_DEP_1) | instskip(NEXT) | instid1(VALU_DEP_1)
	v_add_co_ci_u32_e64 v1, null, s3, 0, s2
	v_lshlrev_b64 v[1:2], 1, v[0:1]
	s_waitcnt lgkmcnt(0)
	s_lshr_b32 s2, s4, 16
	s_delay_alu instid0(SALU_CYCLE_1) | instskip(NEXT) | instid1(VALU_DEP_2)
	v_mad_u16 v3, s2, v0, s4
	v_add_co_u32 v0, vcc_lo, s0, v1
	s_delay_alu instid0(VALU_DEP_3)
	v_add_co_ci_u32_e32 v1, vcc_lo, s1, v2, vcc_lo
	flat_store_b16 v[0:1], v3
.LBB290_2:
	s_endpgm
	.section	.rodata,"a",@progbits
	.p2align	6, 0x0
	.amdhsa_kernel _ZN6thrust23THRUST_200600_302600_NS11hip_rocprim14__parallel_for6kernelILj256ENS1_10__tabulate7functorINS0_6detail15normal_iteratorINS0_10device_ptrItEEEENS0_6system6detail7generic6detail22compute_sequence_valueItvEElEElLj1EEEvT0_T1_SJ_
		.amdhsa_group_segment_fixed_size 0
		.amdhsa_private_segment_fixed_size 0
		.amdhsa_kernarg_size 32
		.amdhsa_user_sgpr_count 15
		.amdhsa_user_sgpr_dispatch_ptr 0
		.amdhsa_user_sgpr_queue_ptr 0
		.amdhsa_user_sgpr_kernarg_segment_ptr 1
		.amdhsa_user_sgpr_dispatch_id 0
		.amdhsa_user_sgpr_private_segment_size 0
		.amdhsa_wavefront_size32 1
		.amdhsa_uses_dynamic_stack 0
		.amdhsa_enable_private_segment 0
		.amdhsa_system_sgpr_workgroup_id_x 1
		.amdhsa_system_sgpr_workgroup_id_y 0
		.amdhsa_system_sgpr_workgroup_id_z 0
		.amdhsa_system_sgpr_workgroup_info 0
		.amdhsa_system_vgpr_workitem_id 0
		.amdhsa_next_free_vgpr 4
		.amdhsa_next_free_sgpr 16
		.amdhsa_reserve_vcc 1
		.amdhsa_float_round_mode_32 0
		.amdhsa_float_round_mode_16_64 0
		.amdhsa_float_denorm_mode_32 3
		.amdhsa_float_denorm_mode_16_64 3
		.amdhsa_dx10_clamp 1
		.amdhsa_ieee_mode 1
		.amdhsa_fp16_overflow 0
		.amdhsa_workgroup_processor_mode 1
		.amdhsa_memory_ordered 1
		.amdhsa_forward_progress 0
		.amdhsa_shared_vgpr_count 0
		.amdhsa_exception_fp_ieee_invalid_op 0
		.amdhsa_exception_fp_denorm_src 0
		.amdhsa_exception_fp_ieee_div_zero 0
		.amdhsa_exception_fp_ieee_overflow 0
		.amdhsa_exception_fp_ieee_underflow 0
		.amdhsa_exception_fp_ieee_inexact 0
		.amdhsa_exception_int_div_zero 0
	.end_amdhsa_kernel
	.section	.text._ZN6thrust23THRUST_200600_302600_NS11hip_rocprim14__parallel_for6kernelILj256ENS1_10__tabulate7functorINS0_6detail15normal_iteratorINS0_10device_ptrItEEEENS0_6system6detail7generic6detail22compute_sequence_valueItvEElEElLj1EEEvT0_T1_SJ_,"axG",@progbits,_ZN6thrust23THRUST_200600_302600_NS11hip_rocprim14__parallel_for6kernelILj256ENS1_10__tabulate7functorINS0_6detail15normal_iteratorINS0_10device_ptrItEEEENS0_6system6detail7generic6detail22compute_sequence_valueItvEElEElLj1EEEvT0_T1_SJ_,comdat
.Lfunc_end290:
	.size	_ZN6thrust23THRUST_200600_302600_NS11hip_rocprim14__parallel_for6kernelILj256ENS1_10__tabulate7functorINS0_6detail15normal_iteratorINS0_10device_ptrItEEEENS0_6system6detail7generic6detail22compute_sequence_valueItvEElEElLj1EEEvT0_T1_SJ_, .Lfunc_end290-_ZN6thrust23THRUST_200600_302600_NS11hip_rocprim14__parallel_for6kernelILj256ENS1_10__tabulate7functorINS0_6detail15normal_iteratorINS0_10device_ptrItEEEENS0_6system6detail7generic6detail22compute_sequence_valueItvEElEElLj1EEEvT0_T1_SJ_
                                        ; -- End function
	.section	.AMDGPU.csdata,"",@progbits
; Kernel info:
; codeLenInByte = 188
; NumSgprs: 18
; NumVgprs: 4
; ScratchSize: 0
; MemoryBound: 0
; FloatMode: 240
; IeeeMode: 1
; LDSByteSize: 0 bytes/workgroup (compile time only)
; SGPRBlocks: 2
; VGPRBlocks: 0
; NumSGPRsForWavesPerEU: 18
; NumVGPRsForWavesPerEU: 4
; Occupancy: 16
; WaveLimiterHint : 0
; COMPUTE_PGM_RSRC2:SCRATCH_EN: 0
; COMPUTE_PGM_RSRC2:USER_SGPR: 15
; COMPUTE_PGM_RSRC2:TRAP_HANDLER: 0
; COMPUTE_PGM_RSRC2:TGID_X_EN: 1
; COMPUTE_PGM_RSRC2:TGID_Y_EN: 0
; COMPUTE_PGM_RSRC2:TGID_Z_EN: 0
; COMPUTE_PGM_RSRC2:TIDIG_COMP_CNT: 0
	.section	.text._ZN7rocprim17ROCPRIM_400000_NS6detail17trampoline_kernelINS0_14default_configENS1_27lower_bound_config_selectorItiEEZNS1_14transform_implILb0ES3_S5_N6thrust23THRUST_200600_302600_NS6detail15normal_iteratorINS8_10device_ptrItEEEENSA_INSB_IiEEEEZNS1_13binary_searchIS3_S5_SD_SD_SF_NS1_21lower_bound_search_opENS9_16wrapped_functionINS0_4lessIvEEbEEEE10hipError_tPvRmT1_T2_T3_mmT4_T5_P12ihipStream_tbEUlRKtE_EESM_SQ_SR_mSS_SV_bEUlT_E_NS1_11comp_targetILNS1_3genE0ELNS1_11target_archE4294967295ELNS1_3gpuE0ELNS1_3repE0EEENS1_30default_config_static_selectorELNS0_4arch9wavefront6targetE0EEEvSP_,"axG",@progbits,_ZN7rocprim17ROCPRIM_400000_NS6detail17trampoline_kernelINS0_14default_configENS1_27lower_bound_config_selectorItiEEZNS1_14transform_implILb0ES3_S5_N6thrust23THRUST_200600_302600_NS6detail15normal_iteratorINS8_10device_ptrItEEEENSA_INSB_IiEEEEZNS1_13binary_searchIS3_S5_SD_SD_SF_NS1_21lower_bound_search_opENS9_16wrapped_functionINS0_4lessIvEEbEEEE10hipError_tPvRmT1_T2_T3_mmT4_T5_P12ihipStream_tbEUlRKtE_EESM_SQ_SR_mSS_SV_bEUlT_E_NS1_11comp_targetILNS1_3genE0ELNS1_11target_archE4294967295ELNS1_3gpuE0ELNS1_3repE0EEENS1_30default_config_static_selectorELNS0_4arch9wavefront6targetE0EEEvSP_,comdat
	.protected	_ZN7rocprim17ROCPRIM_400000_NS6detail17trampoline_kernelINS0_14default_configENS1_27lower_bound_config_selectorItiEEZNS1_14transform_implILb0ES3_S5_N6thrust23THRUST_200600_302600_NS6detail15normal_iteratorINS8_10device_ptrItEEEENSA_INSB_IiEEEEZNS1_13binary_searchIS3_S5_SD_SD_SF_NS1_21lower_bound_search_opENS9_16wrapped_functionINS0_4lessIvEEbEEEE10hipError_tPvRmT1_T2_T3_mmT4_T5_P12ihipStream_tbEUlRKtE_EESM_SQ_SR_mSS_SV_bEUlT_E_NS1_11comp_targetILNS1_3genE0ELNS1_11target_archE4294967295ELNS1_3gpuE0ELNS1_3repE0EEENS1_30default_config_static_selectorELNS0_4arch9wavefront6targetE0EEEvSP_ ; -- Begin function _ZN7rocprim17ROCPRIM_400000_NS6detail17trampoline_kernelINS0_14default_configENS1_27lower_bound_config_selectorItiEEZNS1_14transform_implILb0ES3_S5_N6thrust23THRUST_200600_302600_NS6detail15normal_iteratorINS8_10device_ptrItEEEENSA_INSB_IiEEEEZNS1_13binary_searchIS3_S5_SD_SD_SF_NS1_21lower_bound_search_opENS9_16wrapped_functionINS0_4lessIvEEbEEEE10hipError_tPvRmT1_T2_T3_mmT4_T5_P12ihipStream_tbEUlRKtE_EESM_SQ_SR_mSS_SV_bEUlT_E_NS1_11comp_targetILNS1_3genE0ELNS1_11target_archE4294967295ELNS1_3gpuE0ELNS1_3repE0EEENS1_30default_config_static_selectorELNS0_4arch9wavefront6targetE0EEEvSP_
	.globl	_ZN7rocprim17ROCPRIM_400000_NS6detail17trampoline_kernelINS0_14default_configENS1_27lower_bound_config_selectorItiEEZNS1_14transform_implILb0ES3_S5_N6thrust23THRUST_200600_302600_NS6detail15normal_iteratorINS8_10device_ptrItEEEENSA_INSB_IiEEEEZNS1_13binary_searchIS3_S5_SD_SD_SF_NS1_21lower_bound_search_opENS9_16wrapped_functionINS0_4lessIvEEbEEEE10hipError_tPvRmT1_T2_T3_mmT4_T5_P12ihipStream_tbEUlRKtE_EESM_SQ_SR_mSS_SV_bEUlT_E_NS1_11comp_targetILNS1_3genE0ELNS1_11target_archE4294967295ELNS1_3gpuE0ELNS1_3repE0EEENS1_30default_config_static_selectorELNS0_4arch9wavefront6targetE0EEEvSP_
	.p2align	8
	.type	_ZN7rocprim17ROCPRIM_400000_NS6detail17trampoline_kernelINS0_14default_configENS1_27lower_bound_config_selectorItiEEZNS1_14transform_implILb0ES3_S5_N6thrust23THRUST_200600_302600_NS6detail15normal_iteratorINS8_10device_ptrItEEEENSA_INSB_IiEEEEZNS1_13binary_searchIS3_S5_SD_SD_SF_NS1_21lower_bound_search_opENS9_16wrapped_functionINS0_4lessIvEEbEEEE10hipError_tPvRmT1_T2_T3_mmT4_T5_P12ihipStream_tbEUlRKtE_EESM_SQ_SR_mSS_SV_bEUlT_E_NS1_11comp_targetILNS1_3genE0ELNS1_11target_archE4294967295ELNS1_3gpuE0ELNS1_3repE0EEENS1_30default_config_static_selectorELNS0_4arch9wavefront6targetE0EEEvSP_,@function
_ZN7rocprim17ROCPRIM_400000_NS6detail17trampoline_kernelINS0_14default_configENS1_27lower_bound_config_selectorItiEEZNS1_14transform_implILb0ES3_S5_N6thrust23THRUST_200600_302600_NS6detail15normal_iteratorINS8_10device_ptrItEEEENSA_INSB_IiEEEEZNS1_13binary_searchIS3_S5_SD_SD_SF_NS1_21lower_bound_search_opENS9_16wrapped_functionINS0_4lessIvEEbEEEE10hipError_tPvRmT1_T2_T3_mmT4_T5_P12ihipStream_tbEUlRKtE_EESM_SQ_SR_mSS_SV_bEUlT_E_NS1_11comp_targetILNS1_3genE0ELNS1_11target_archE4294967295ELNS1_3gpuE0ELNS1_3repE0EEENS1_30default_config_static_selectorELNS0_4arch9wavefront6targetE0EEEvSP_: ; @_ZN7rocprim17ROCPRIM_400000_NS6detail17trampoline_kernelINS0_14default_configENS1_27lower_bound_config_selectorItiEEZNS1_14transform_implILb0ES3_S5_N6thrust23THRUST_200600_302600_NS6detail15normal_iteratorINS8_10device_ptrItEEEENSA_INSB_IiEEEEZNS1_13binary_searchIS3_S5_SD_SD_SF_NS1_21lower_bound_search_opENS9_16wrapped_functionINS0_4lessIvEEbEEEE10hipError_tPvRmT1_T2_T3_mmT4_T5_P12ihipStream_tbEUlRKtE_EESM_SQ_SR_mSS_SV_bEUlT_E_NS1_11comp_targetILNS1_3genE0ELNS1_11target_archE4294967295ELNS1_3gpuE0ELNS1_3repE0EEENS1_30default_config_static_selectorELNS0_4arch9wavefront6targetE0EEEvSP_
; %bb.0:
	.section	.rodata,"a",@progbits
	.p2align	6, 0x0
	.amdhsa_kernel _ZN7rocprim17ROCPRIM_400000_NS6detail17trampoline_kernelINS0_14default_configENS1_27lower_bound_config_selectorItiEEZNS1_14transform_implILb0ES3_S5_N6thrust23THRUST_200600_302600_NS6detail15normal_iteratorINS8_10device_ptrItEEEENSA_INSB_IiEEEEZNS1_13binary_searchIS3_S5_SD_SD_SF_NS1_21lower_bound_search_opENS9_16wrapped_functionINS0_4lessIvEEbEEEE10hipError_tPvRmT1_T2_T3_mmT4_T5_P12ihipStream_tbEUlRKtE_EESM_SQ_SR_mSS_SV_bEUlT_E_NS1_11comp_targetILNS1_3genE0ELNS1_11target_archE4294967295ELNS1_3gpuE0ELNS1_3repE0EEENS1_30default_config_static_selectorELNS0_4arch9wavefront6targetE0EEEvSP_
		.amdhsa_group_segment_fixed_size 0
		.amdhsa_private_segment_fixed_size 0
		.amdhsa_kernarg_size 56
		.amdhsa_user_sgpr_count 15
		.amdhsa_user_sgpr_dispatch_ptr 0
		.amdhsa_user_sgpr_queue_ptr 0
		.amdhsa_user_sgpr_kernarg_segment_ptr 1
		.amdhsa_user_sgpr_dispatch_id 0
		.amdhsa_user_sgpr_private_segment_size 0
		.amdhsa_wavefront_size32 1
		.amdhsa_uses_dynamic_stack 0
		.amdhsa_enable_private_segment 0
		.amdhsa_system_sgpr_workgroup_id_x 1
		.amdhsa_system_sgpr_workgroup_id_y 0
		.amdhsa_system_sgpr_workgroup_id_z 0
		.amdhsa_system_sgpr_workgroup_info 0
		.amdhsa_system_vgpr_workitem_id 0
		.amdhsa_next_free_vgpr 1
		.amdhsa_next_free_sgpr 1
		.amdhsa_reserve_vcc 0
		.amdhsa_float_round_mode_32 0
		.amdhsa_float_round_mode_16_64 0
		.amdhsa_float_denorm_mode_32 3
		.amdhsa_float_denorm_mode_16_64 3
		.amdhsa_dx10_clamp 1
		.amdhsa_ieee_mode 1
		.amdhsa_fp16_overflow 0
		.amdhsa_workgroup_processor_mode 1
		.amdhsa_memory_ordered 1
		.amdhsa_forward_progress 0
		.amdhsa_shared_vgpr_count 0
		.amdhsa_exception_fp_ieee_invalid_op 0
		.amdhsa_exception_fp_denorm_src 0
		.amdhsa_exception_fp_ieee_div_zero 0
		.amdhsa_exception_fp_ieee_overflow 0
		.amdhsa_exception_fp_ieee_underflow 0
		.amdhsa_exception_fp_ieee_inexact 0
		.amdhsa_exception_int_div_zero 0
	.end_amdhsa_kernel
	.section	.text._ZN7rocprim17ROCPRIM_400000_NS6detail17trampoline_kernelINS0_14default_configENS1_27lower_bound_config_selectorItiEEZNS1_14transform_implILb0ES3_S5_N6thrust23THRUST_200600_302600_NS6detail15normal_iteratorINS8_10device_ptrItEEEENSA_INSB_IiEEEEZNS1_13binary_searchIS3_S5_SD_SD_SF_NS1_21lower_bound_search_opENS9_16wrapped_functionINS0_4lessIvEEbEEEE10hipError_tPvRmT1_T2_T3_mmT4_T5_P12ihipStream_tbEUlRKtE_EESM_SQ_SR_mSS_SV_bEUlT_E_NS1_11comp_targetILNS1_3genE0ELNS1_11target_archE4294967295ELNS1_3gpuE0ELNS1_3repE0EEENS1_30default_config_static_selectorELNS0_4arch9wavefront6targetE0EEEvSP_,"axG",@progbits,_ZN7rocprim17ROCPRIM_400000_NS6detail17trampoline_kernelINS0_14default_configENS1_27lower_bound_config_selectorItiEEZNS1_14transform_implILb0ES3_S5_N6thrust23THRUST_200600_302600_NS6detail15normal_iteratorINS8_10device_ptrItEEEENSA_INSB_IiEEEEZNS1_13binary_searchIS3_S5_SD_SD_SF_NS1_21lower_bound_search_opENS9_16wrapped_functionINS0_4lessIvEEbEEEE10hipError_tPvRmT1_T2_T3_mmT4_T5_P12ihipStream_tbEUlRKtE_EESM_SQ_SR_mSS_SV_bEUlT_E_NS1_11comp_targetILNS1_3genE0ELNS1_11target_archE4294967295ELNS1_3gpuE0ELNS1_3repE0EEENS1_30default_config_static_selectorELNS0_4arch9wavefront6targetE0EEEvSP_,comdat
.Lfunc_end291:
	.size	_ZN7rocprim17ROCPRIM_400000_NS6detail17trampoline_kernelINS0_14default_configENS1_27lower_bound_config_selectorItiEEZNS1_14transform_implILb0ES3_S5_N6thrust23THRUST_200600_302600_NS6detail15normal_iteratorINS8_10device_ptrItEEEENSA_INSB_IiEEEEZNS1_13binary_searchIS3_S5_SD_SD_SF_NS1_21lower_bound_search_opENS9_16wrapped_functionINS0_4lessIvEEbEEEE10hipError_tPvRmT1_T2_T3_mmT4_T5_P12ihipStream_tbEUlRKtE_EESM_SQ_SR_mSS_SV_bEUlT_E_NS1_11comp_targetILNS1_3genE0ELNS1_11target_archE4294967295ELNS1_3gpuE0ELNS1_3repE0EEENS1_30default_config_static_selectorELNS0_4arch9wavefront6targetE0EEEvSP_, .Lfunc_end291-_ZN7rocprim17ROCPRIM_400000_NS6detail17trampoline_kernelINS0_14default_configENS1_27lower_bound_config_selectorItiEEZNS1_14transform_implILb0ES3_S5_N6thrust23THRUST_200600_302600_NS6detail15normal_iteratorINS8_10device_ptrItEEEENSA_INSB_IiEEEEZNS1_13binary_searchIS3_S5_SD_SD_SF_NS1_21lower_bound_search_opENS9_16wrapped_functionINS0_4lessIvEEbEEEE10hipError_tPvRmT1_T2_T3_mmT4_T5_P12ihipStream_tbEUlRKtE_EESM_SQ_SR_mSS_SV_bEUlT_E_NS1_11comp_targetILNS1_3genE0ELNS1_11target_archE4294967295ELNS1_3gpuE0ELNS1_3repE0EEENS1_30default_config_static_selectorELNS0_4arch9wavefront6targetE0EEEvSP_
                                        ; -- End function
	.section	.AMDGPU.csdata,"",@progbits
; Kernel info:
; codeLenInByte = 0
; NumSgprs: 0
; NumVgprs: 0
; ScratchSize: 0
; MemoryBound: 0
; FloatMode: 240
; IeeeMode: 1
; LDSByteSize: 0 bytes/workgroup (compile time only)
; SGPRBlocks: 0
; VGPRBlocks: 0
; NumSGPRsForWavesPerEU: 1
; NumVGPRsForWavesPerEU: 1
; Occupancy: 16
; WaveLimiterHint : 0
; COMPUTE_PGM_RSRC2:SCRATCH_EN: 0
; COMPUTE_PGM_RSRC2:USER_SGPR: 15
; COMPUTE_PGM_RSRC2:TRAP_HANDLER: 0
; COMPUTE_PGM_RSRC2:TGID_X_EN: 1
; COMPUTE_PGM_RSRC2:TGID_Y_EN: 0
; COMPUTE_PGM_RSRC2:TGID_Z_EN: 0
; COMPUTE_PGM_RSRC2:TIDIG_COMP_CNT: 0
	.section	.text._ZN7rocprim17ROCPRIM_400000_NS6detail17trampoline_kernelINS0_14default_configENS1_27lower_bound_config_selectorItiEEZNS1_14transform_implILb0ES3_S5_N6thrust23THRUST_200600_302600_NS6detail15normal_iteratorINS8_10device_ptrItEEEENSA_INSB_IiEEEEZNS1_13binary_searchIS3_S5_SD_SD_SF_NS1_21lower_bound_search_opENS9_16wrapped_functionINS0_4lessIvEEbEEEE10hipError_tPvRmT1_T2_T3_mmT4_T5_P12ihipStream_tbEUlRKtE_EESM_SQ_SR_mSS_SV_bEUlT_E_NS1_11comp_targetILNS1_3genE5ELNS1_11target_archE942ELNS1_3gpuE9ELNS1_3repE0EEENS1_30default_config_static_selectorELNS0_4arch9wavefront6targetE0EEEvSP_,"axG",@progbits,_ZN7rocprim17ROCPRIM_400000_NS6detail17trampoline_kernelINS0_14default_configENS1_27lower_bound_config_selectorItiEEZNS1_14transform_implILb0ES3_S5_N6thrust23THRUST_200600_302600_NS6detail15normal_iteratorINS8_10device_ptrItEEEENSA_INSB_IiEEEEZNS1_13binary_searchIS3_S5_SD_SD_SF_NS1_21lower_bound_search_opENS9_16wrapped_functionINS0_4lessIvEEbEEEE10hipError_tPvRmT1_T2_T3_mmT4_T5_P12ihipStream_tbEUlRKtE_EESM_SQ_SR_mSS_SV_bEUlT_E_NS1_11comp_targetILNS1_3genE5ELNS1_11target_archE942ELNS1_3gpuE9ELNS1_3repE0EEENS1_30default_config_static_selectorELNS0_4arch9wavefront6targetE0EEEvSP_,comdat
	.protected	_ZN7rocprim17ROCPRIM_400000_NS6detail17trampoline_kernelINS0_14default_configENS1_27lower_bound_config_selectorItiEEZNS1_14transform_implILb0ES3_S5_N6thrust23THRUST_200600_302600_NS6detail15normal_iteratorINS8_10device_ptrItEEEENSA_INSB_IiEEEEZNS1_13binary_searchIS3_S5_SD_SD_SF_NS1_21lower_bound_search_opENS9_16wrapped_functionINS0_4lessIvEEbEEEE10hipError_tPvRmT1_T2_T3_mmT4_T5_P12ihipStream_tbEUlRKtE_EESM_SQ_SR_mSS_SV_bEUlT_E_NS1_11comp_targetILNS1_3genE5ELNS1_11target_archE942ELNS1_3gpuE9ELNS1_3repE0EEENS1_30default_config_static_selectorELNS0_4arch9wavefront6targetE0EEEvSP_ ; -- Begin function _ZN7rocprim17ROCPRIM_400000_NS6detail17trampoline_kernelINS0_14default_configENS1_27lower_bound_config_selectorItiEEZNS1_14transform_implILb0ES3_S5_N6thrust23THRUST_200600_302600_NS6detail15normal_iteratorINS8_10device_ptrItEEEENSA_INSB_IiEEEEZNS1_13binary_searchIS3_S5_SD_SD_SF_NS1_21lower_bound_search_opENS9_16wrapped_functionINS0_4lessIvEEbEEEE10hipError_tPvRmT1_T2_T3_mmT4_T5_P12ihipStream_tbEUlRKtE_EESM_SQ_SR_mSS_SV_bEUlT_E_NS1_11comp_targetILNS1_3genE5ELNS1_11target_archE942ELNS1_3gpuE9ELNS1_3repE0EEENS1_30default_config_static_selectorELNS0_4arch9wavefront6targetE0EEEvSP_
	.globl	_ZN7rocprim17ROCPRIM_400000_NS6detail17trampoline_kernelINS0_14default_configENS1_27lower_bound_config_selectorItiEEZNS1_14transform_implILb0ES3_S5_N6thrust23THRUST_200600_302600_NS6detail15normal_iteratorINS8_10device_ptrItEEEENSA_INSB_IiEEEEZNS1_13binary_searchIS3_S5_SD_SD_SF_NS1_21lower_bound_search_opENS9_16wrapped_functionINS0_4lessIvEEbEEEE10hipError_tPvRmT1_T2_T3_mmT4_T5_P12ihipStream_tbEUlRKtE_EESM_SQ_SR_mSS_SV_bEUlT_E_NS1_11comp_targetILNS1_3genE5ELNS1_11target_archE942ELNS1_3gpuE9ELNS1_3repE0EEENS1_30default_config_static_selectorELNS0_4arch9wavefront6targetE0EEEvSP_
	.p2align	8
	.type	_ZN7rocprim17ROCPRIM_400000_NS6detail17trampoline_kernelINS0_14default_configENS1_27lower_bound_config_selectorItiEEZNS1_14transform_implILb0ES3_S5_N6thrust23THRUST_200600_302600_NS6detail15normal_iteratorINS8_10device_ptrItEEEENSA_INSB_IiEEEEZNS1_13binary_searchIS3_S5_SD_SD_SF_NS1_21lower_bound_search_opENS9_16wrapped_functionINS0_4lessIvEEbEEEE10hipError_tPvRmT1_T2_T3_mmT4_T5_P12ihipStream_tbEUlRKtE_EESM_SQ_SR_mSS_SV_bEUlT_E_NS1_11comp_targetILNS1_3genE5ELNS1_11target_archE942ELNS1_3gpuE9ELNS1_3repE0EEENS1_30default_config_static_selectorELNS0_4arch9wavefront6targetE0EEEvSP_,@function
_ZN7rocprim17ROCPRIM_400000_NS6detail17trampoline_kernelINS0_14default_configENS1_27lower_bound_config_selectorItiEEZNS1_14transform_implILb0ES3_S5_N6thrust23THRUST_200600_302600_NS6detail15normal_iteratorINS8_10device_ptrItEEEENSA_INSB_IiEEEEZNS1_13binary_searchIS3_S5_SD_SD_SF_NS1_21lower_bound_search_opENS9_16wrapped_functionINS0_4lessIvEEbEEEE10hipError_tPvRmT1_T2_T3_mmT4_T5_P12ihipStream_tbEUlRKtE_EESM_SQ_SR_mSS_SV_bEUlT_E_NS1_11comp_targetILNS1_3genE5ELNS1_11target_archE942ELNS1_3gpuE9ELNS1_3repE0EEENS1_30default_config_static_selectorELNS0_4arch9wavefront6targetE0EEEvSP_: ; @_ZN7rocprim17ROCPRIM_400000_NS6detail17trampoline_kernelINS0_14default_configENS1_27lower_bound_config_selectorItiEEZNS1_14transform_implILb0ES3_S5_N6thrust23THRUST_200600_302600_NS6detail15normal_iteratorINS8_10device_ptrItEEEENSA_INSB_IiEEEEZNS1_13binary_searchIS3_S5_SD_SD_SF_NS1_21lower_bound_search_opENS9_16wrapped_functionINS0_4lessIvEEbEEEE10hipError_tPvRmT1_T2_T3_mmT4_T5_P12ihipStream_tbEUlRKtE_EESM_SQ_SR_mSS_SV_bEUlT_E_NS1_11comp_targetILNS1_3genE5ELNS1_11target_archE942ELNS1_3gpuE9ELNS1_3repE0EEENS1_30default_config_static_selectorELNS0_4arch9wavefront6targetE0EEEvSP_
; %bb.0:
	.section	.rodata,"a",@progbits
	.p2align	6, 0x0
	.amdhsa_kernel _ZN7rocprim17ROCPRIM_400000_NS6detail17trampoline_kernelINS0_14default_configENS1_27lower_bound_config_selectorItiEEZNS1_14transform_implILb0ES3_S5_N6thrust23THRUST_200600_302600_NS6detail15normal_iteratorINS8_10device_ptrItEEEENSA_INSB_IiEEEEZNS1_13binary_searchIS3_S5_SD_SD_SF_NS1_21lower_bound_search_opENS9_16wrapped_functionINS0_4lessIvEEbEEEE10hipError_tPvRmT1_T2_T3_mmT4_T5_P12ihipStream_tbEUlRKtE_EESM_SQ_SR_mSS_SV_bEUlT_E_NS1_11comp_targetILNS1_3genE5ELNS1_11target_archE942ELNS1_3gpuE9ELNS1_3repE0EEENS1_30default_config_static_selectorELNS0_4arch9wavefront6targetE0EEEvSP_
		.amdhsa_group_segment_fixed_size 0
		.amdhsa_private_segment_fixed_size 0
		.amdhsa_kernarg_size 56
		.amdhsa_user_sgpr_count 15
		.amdhsa_user_sgpr_dispatch_ptr 0
		.amdhsa_user_sgpr_queue_ptr 0
		.amdhsa_user_sgpr_kernarg_segment_ptr 1
		.amdhsa_user_sgpr_dispatch_id 0
		.amdhsa_user_sgpr_private_segment_size 0
		.amdhsa_wavefront_size32 1
		.amdhsa_uses_dynamic_stack 0
		.amdhsa_enable_private_segment 0
		.amdhsa_system_sgpr_workgroup_id_x 1
		.amdhsa_system_sgpr_workgroup_id_y 0
		.amdhsa_system_sgpr_workgroup_id_z 0
		.amdhsa_system_sgpr_workgroup_info 0
		.amdhsa_system_vgpr_workitem_id 0
		.amdhsa_next_free_vgpr 1
		.amdhsa_next_free_sgpr 1
		.amdhsa_reserve_vcc 0
		.amdhsa_float_round_mode_32 0
		.amdhsa_float_round_mode_16_64 0
		.amdhsa_float_denorm_mode_32 3
		.amdhsa_float_denorm_mode_16_64 3
		.amdhsa_dx10_clamp 1
		.amdhsa_ieee_mode 1
		.amdhsa_fp16_overflow 0
		.amdhsa_workgroup_processor_mode 1
		.amdhsa_memory_ordered 1
		.amdhsa_forward_progress 0
		.amdhsa_shared_vgpr_count 0
		.amdhsa_exception_fp_ieee_invalid_op 0
		.amdhsa_exception_fp_denorm_src 0
		.amdhsa_exception_fp_ieee_div_zero 0
		.amdhsa_exception_fp_ieee_overflow 0
		.amdhsa_exception_fp_ieee_underflow 0
		.amdhsa_exception_fp_ieee_inexact 0
		.amdhsa_exception_int_div_zero 0
	.end_amdhsa_kernel
	.section	.text._ZN7rocprim17ROCPRIM_400000_NS6detail17trampoline_kernelINS0_14default_configENS1_27lower_bound_config_selectorItiEEZNS1_14transform_implILb0ES3_S5_N6thrust23THRUST_200600_302600_NS6detail15normal_iteratorINS8_10device_ptrItEEEENSA_INSB_IiEEEEZNS1_13binary_searchIS3_S5_SD_SD_SF_NS1_21lower_bound_search_opENS9_16wrapped_functionINS0_4lessIvEEbEEEE10hipError_tPvRmT1_T2_T3_mmT4_T5_P12ihipStream_tbEUlRKtE_EESM_SQ_SR_mSS_SV_bEUlT_E_NS1_11comp_targetILNS1_3genE5ELNS1_11target_archE942ELNS1_3gpuE9ELNS1_3repE0EEENS1_30default_config_static_selectorELNS0_4arch9wavefront6targetE0EEEvSP_,"axG",@progbits,_ZN7rocprim17ROCPRIM_400000_NS6detail17trampoline_kernelINS0_14default_configENS1_27lower_bound_config_selectorItiEEZNS1_14transform_implILb0ES3_S5_N6thrust23THRUST_200600_302600_NS6detail15normal_iteratorINS8_10device_ptrItEEEENSA_INSB_IiEEEEZNS1_13binary_searchIS3_S5_SD_SD_SF_NS1_21lower_bound_search_opENS9_16wrapped_functionINS0_4lessIvEEbEEEE10hipError_tPvRmT1_T2_T3_mmT4_T5_P12ihipStream_tbEUlRKtE_EESM_SQ_SR_mSS_SV_bEUlT_E_NS1_11comp_targetILNS1_3genE5ELNS1_11target_archE942ELNS1_3gpuE9ELNS1_3repE0EEENS1_30default_config_static_selectorELNS0_4arch9wavefront6targetE0EEEvSP_,comdat
.Lfunc_end292:
	.size	_ZN7rocprim17ROCPRIM_400000_NS6detail17trampoline_kernelINS0_14default_configENS1_27lower_bound_config_selectorItiEEZNS1_14transform_implILb0ES3_S5_N6thrust23THRUST_200600_302600_NS6detail15normal_iteratorINS8_10device_ptrItEEEENSA_INSB_IiEEEEZNS1_13binary_searchIS3_S5_SD_SD_SF_NS1_21lower_bound_search_opENS9_16wrapped_functionINS0_4lessIvEEbEEEE10hipError_tPvRmT1_T2_T3_mmT4_T5_P12ihipStream_tbEUlRKtE_EESM_SQ_SR_mSS_SV_bEUlT_E_NS1_11comp_targetILNS1_3genE5ELNS1_11target_archE942ELNS1_3gpuE9ELNS1_3repE0EEENS1_30default_config_static_selectorELNS0_4arch9wavefront6targetE0EEEvSP_, .Lfunc_end292-_ZN7rocprim17ROCPRIM_400000_NS6detail17trampoline_kernelINS0_14default_configENS1_27lower_bound_config_selectorItiEEZNS1_14transform_implILb0ES3_S5_N6thrust23THRUST_200600_302600_NS6detail15normal_iteratorINS8_10device_ptrItEEEENSA_INSB_IiEEEEZNS1_13binary_searchIS3_S5_SD_SD_SF_NS1_21lower_bound_search_opENS9_16wrapped_functionINS0_4lessIvEEbEEEE10hipError_tPvRmT1_T2_T3_mmT4_T5_P12ihipStream_tbEUlRKtE_EESM_SQ_SR_mSS_SV_bEUlT_E_NS1_11comp_targetILNS1_3genE5ELNS1_11target_archE942ELNS1_3gpuE9ELNS1_3repE0EEENS1_30default_config_static_selectorELNS0_4arch9wavefront6targetE0EEEvSP_
                                        ; -- End function
	.section	.AMDGPU.csdata,"",@progbits
; Kernel info:
; codeLenInByte = 0
; NumSgprs: 0
; NumVgprs: 0
; ScratchSize: 0
; MemoryBound: 0
; FloatMode: 240
; IeeeMode: 1
; LDSByteSize: 0 bytes/workgroup (compile time only)
; SGPRBlocks: 0
; VGPRBlocks: 0
; NumSGPRsForWavesPerEU: 1
; NumVGPRsForWavesPerEU: 1
; Occupancy: 16
; WaveLimiterHint : 0
; COMPUTE_PGM_RSRC2:SCRATCH_EN: 0
; COMPUTE_PGM_RSRC2:USER_SGPR: 15
; COMPUTE_PGM_RSRC2:TRAP_HANDLER: 0
; COMPUTE_PGM_RSRC2:TGID_X_EN: 1
; COMPUTE_PGM_RSRC2:TGID_Y_EN: 0
; COMPUTE_PGM_RSRC2:TGID_Z_EN: 0
; COMPUTE_PGM_RSRC2:TIDIG_COMP_CNT: 0
	.section	.text._ZN7rocprim17ROCPRIM_400000_NS6detail17trampoline_kernelINS0_14default_configENS1_27lower_bound_config_selectorItiEEZNS1_14transform_implILb0ES3_S5_N6thrust23THRUST_200600_302600_NS6detail15normal_iteratorINS8_10device_ptrItEEEENSA_INSB_IiEEEEZNS1_13binary_searchIS3_S5_SD_SD_SF_NS1_21lower_bound_search_opENS9_16wrapped_functionINS0_4lessIvEEbEEEE10hipError_tPvRmT1_T2_T3_mmT4_T5_P12ihipStream_tbEUlRKtE_EESM_SQ_SR_mSS_SV_bEUlT_E_NS1_11comp_targetILNS1_3genE4ELNS1_11target_archE910ELNS1_3gpuE8ELNS1_3repE0EEENS1_30default_config_static_selectorELNS0_4arch9wavefront6targetE0EEEvSP_,"axG",@progbits,_ZN7rocprim17ROCPRIM_400000_NS6detail17trampoline_kernelINS0_14default_configENS1_27lower_bound_config_selectorItiEEZNS1_14transform_implILb0ES3_S5_N6thrust23THRUST_200600_302600_NS6detail15normal_iteratorINS8_10device_ptrItEEEENSA_INSB_IiEEEEZNS1_13binary_searchIS3_S5_SD_SD_SF_NS1_21lower_bound_search_opENS9_16wrapped_functionINS0_4lessIvEEbEEEE10hipError_tPvRmT1_T2_T3_mmT4_T5_P12ihipStream_tbEUlRKtE_EESM_SQ_SR_mSS_SV_bEUlT_E_NS1_11comp_targetILNS1_3genE4ELNS1_11target_archE910ELNS1_3gpuE8ELNS1_3repE0EEENS1_30default_config_static_selectorELNS0_4arch9wavefront6targetE0EEEvSP_,comdat
	.protected	_ZN7rocprim17ROCPRIM_400000_NS6detail17trampoline_kernelINS0_14default_configENS1_27lower_bound_config_selectorItiEEZNS1_14transform_implILb0ES3_S5_N6thrust23THRUST_200600_302600_NS6detail15normal_iteratorINS8_10device_ptrItEEEENSA_INSB_IiEEEEZNS1_13binary_searchIS3_S5_SD_SD_SF_NS1_21lower_bound_search_opENS9_16wrapped_functionINS0_4lessIvEEbEEEE10hipError_tPvRmT1_T2_T3_mmT4_T5_P12ihipStream_tbEUlRKtE_EESM_SQ_SR_mSS_SV_bEUlT_E_NS1_11comp_targetILNS1_3genE4ELNS1_11target_archE910ELNS1_3gpuE8ELNS1_3repE0EEENS1_30default_config_static_selectorELNS0_4arch9wavefront6targetE0EEEvSP_ ; -- Begin function _ZN7rocprim17ROCPRIM_400000_NS6detail17trampoline_kernelINS0_14default_configENS1_27lower_bound_config_selectorItiEEZNS1_14transform_implILb0ES3_S5_N6thrust23THRUST_200600_302600_NS6detail15normal_iteratorINS8_10device_ptrItEEEENSA_INSB_IiEEEEZNS1_13binary_searchIS3_S5_SD_SD_SF_NS1_21lower_bound_search_opENS9_16wrapped_functionINS0_4lessIvEEbEEEE10hipError_tPvRmT1_T2_T3_mmT4_T5_P12ihipStream_tbEUlRKtE_EESM_SQ_SR_mSS_SV_bEUlT_E_NS1_11comp_targetILNS1_3genE4ELNS1_11target_archE910ELNS1_3gpuE8ELNS1_3repE0EEENS1_30default_config_static_selectorELNS0_4arch9wavefront6targetE0EEEvSP_
	.globl	_ZN7rocprim17ROCPRIM_400000_NS6detail17trampoline_kernelINS0_14default_configENS1_27lower_bound_config_selectorItiEEZNS1_14transform_implILb0ES3_S5_N6thrust23THRUST_200600_302600_NS6detail15normal_iteratorINS8_10device_ptrItEEEENSA_INSB_IiEEEEZNS1_13binary_searchIS3_S5_SD_SD_SF_NS1_21lower_bound_search_opENS9_16wrapped_functionINS0_4lessIvEEbEEEE10hipError_tPvRmT1_T2_T3_mmT4_T5_P12ihipStream_tbEUlRKtE_EESM_SQ_SR_mSS_SV_bEUlT_E_NS1_11comp_targetILNS1_3genE4ELNS1_11target_archE910ELNS1_3gpuE8ELNS1_3repE0EEENS1_30default_config_static_selectorELNS0_4arch9wavefront6targetE0EEEvSP_
	.p2align	8
	.type	_ZN7rocprim17ROCPRIM_400000_NS6detail17trampoline_kernelINS0_14default_configENS1_27lower_bound_config_selectorItiEEZNS1_14transform_implILb0ES3_S5_N6thrust23THRUST_200600_302600_NS6detail15normal_iteratorINS8_10device_ptrItEEEENSA_INSB_IiEEEEZNS1_13binary_searchIS3_S5_SD_SD_SF_NS1_21lower_bound_search_opENS9_16wrapped_functionINS0_4lessIvEEbEEEE10hipError_tPvRmT1_T2_T3_mmT4_T5_P12ihipStream_tbEUlRKtE_EESM_SQ_SR_mSS_SV_bEUlT_E_NS1_11comp_targetILNS1_3genE4ELNS1_11target_archE910ELNS1_3gpuE8ELNS1_3repE0EEENS1_30default_config_static_selectorELNS0_4arch9wavefront6targetE0EEEvSP_,@function
_ZN7rocprim17ROCPRIM_400000_NS6detail17trampoline_kernelINS0_14default_configENS1_27lower_bound_config_selectorItiEEZNS1_14transform_implILb0ES3_S5_N6thrust23THRUST_200600_302600_NS6detail15normal_iteratorINS8_10device_ptrItEEEENSA_INSB_IiEEEEZNS1_13binary_searchIS3_S5_SD_SD_SF_NS1_21lower_bound_search_opENS9_16wrapped_functionINS0_4lessIvEEbEEEE10hipError_tPvRmT1_T2_T3_mmT4_T5_P12ihipStream_tbEUlRKtE_EESM_SQ_SR_mSS_SV_bEUlT_E_NS1_11comp_targetILNS1_3genE4ELNS1_11target_archE910ELNS1_3gpuE8ELNS1_3repE0EEENS1_30default_config_static_selectorELNS0_4arch9wavefront6targetE0EEEvSP_: ; @_ZN7rocprim17ROCPRIM_400000_NS6detail17trampoline_kernelINS0_14default_configENS1_27lower_bound_config_selectorItiEEZNS1_14transform_implILb0ES3_S5_N6thrust23THRUST_200600_302600_NS6detail15normal_iteratorINS8_10device_ptrItEEEENSA_INSB_IiEEEEZNS1_13binary_searchIS3_S5_SD_SD_SF_NS1_21lower_bound_search_opENS9_16wrapped_functionINS0_4lessIvEEbEEEE10hipError_tPvRmT1_T2_T3_mmT4_T5_P12ihipStream_tbEUlRKtE_EESM_SQ_SR_mSS_SV_bEUlT_E_NS1_11comp_targetILNS1_3genE4ELNS1_11target_archE910ELNS1_3gpuE8ELNS1_3repE0EEENS1_30default_config_static_selectorELNS0_4arch9wavefront6targetE0EEEvSP_
; %bb.0:
	.section	.rodata,"a",@progbits
	.p2align	6, 0x0
	.amdhsa_kernel _ZN7rocprim17ROCPRIM_400000_NS6detail17trampoline_kernelINS0_14default_configENS1_27lower_bound_config_selectorItiEEZNS1_14transform_implILb0ES3_S5_N6thrust23THRUST_200600_302600_NS6detail15normal_iteratorINS8_10device_ptrItEEEENSA_INSB_IiEEEEZNS1_13binary_searchIS3_S5_SD_SD_SF_NS1_21lower_bound_search_opENS9_16wrapped_functionINS0_4lessIvEEbEEEE10hipError_tPvRmT1_T2_T3_mmT4_T5_P12ihipStream_tbEUlRKtE_EESM_SQ_SR_mSS_SV_bEUlT_E_NS1_11comp_targetILNS1_3genE4ELNS1_11target_archE910ELNS1_3gpuE8ELNS1_3repE0EEENS1_30default_config_static_selectorELNS0_4arch9wavefront6targetE0EEEvSP_
		.amdhsa_group_segment_fixed_size 0
		.amdhsa_private_segment_fixed_size 0
		.amdhsa_kernarg_size 56
		.amdhsa_user_sgpr_count 15
		.amdhsa_user_sgpr_dispatch_ptr 0
		.amdhsa_user_sgpr_queue_ptr 0
		.amdhsa_user_sgpr_kernarg_segment_ptr 1
		.amdhsa_user_sgpr_dispatch_id 0
		.amdhsa_user_sgpr_private_segment_size 0
		.amdhsa_wavefront_size32 1
		.amdhsa_uses_dynamic_stack 0
		.amdhsa_enable_private_segment 0
		.amdhsa_system_sgpr_workgroup_id_x 1
		.amdhsa_system_sgpr_workgroup_id_y 0
		.amdhsa_system_sgpr_workgroup_id_z 0
		.amdhsa_system_sgpr_workgroup_info 0
		.amdhsa_system_vgpr_workitem_id 0
		.amdhsa_next_free_vgpr 1
		.amdhsa_next_free_sgpr 1
		.amdhsa_reserve_vcc 0
		.amdhsa_float_round_mode_32 0
		.amdhsa_float_round_mode_16_64 0
		.amdhsa_float_denorm_mode_32 3
		.amdhsa_float_denorm_mode_16_64 3
		.amdhsa_dx10_clamp 1
		.amdhsa_ieee_mode 1
		.amdhsa_fp16_overflow 0
		.amdhsa_workgroup_processor_mode 1
		.amdhsa_memory_ordered 1
		.amdhsa_forward_progress 0
		.amdhsa_shared_vgpr_count 0
		.amdhsa_exception_fp_ieee_invalid_op 0
		.amdhsa_exception_fp_denorm_src 0
		.amdhsa_exception_fp_ieee_div_zero 0
		.amdhsa_exception_fp_ieee_overflow 0
		.amdhsa_exception_fp_ieee_underflow 0
		.amdhsa_exception_fp_ieee_inexact 0
		.amdhsa_exception_int_div_zero 0
	.end_amdhsa_kernel
	.section	.text._ZN7rocprim17ROCPRIM_400000_NS6detail17trampoline_kernelINS0_14default_configENS1_27lower_bound_config_selectorItiEEZNS1_14transform_implILb0ES3_S5_N6thrust23THRUST_200600_302600_NS6detail15normal_iteratorINS8_10device_ptrItEEEENSA_INSB_IiEEEEZNS1_13binary_searchIS3_S5_SD_SD_SF_NS1_21lower_bound_search_opENS9_16wrapped_functionINS0_4lessIvEEbEEEE10hipError_tPvRmT1_T2_T3_mmT4_T5_P12ihipStream_tbEUlRKtE_EESM_SQ_SR_mSS_SV_bEUlT_E_NS1_11comp_targetILNS1_3genE4ELNS1_11target_archE910ELNS1_3gpuE8ELNS1_3repE0EEENS1_30default_config_static_selectorELNS0_4arch9wavefront6targetE0EEEvSP_,"axG",@progbits,_ZN7rocprim17ROCPRIM_400000_NS6detail17trampoline_kernelINS0_14default_configENS1_27lower_bound_config_selectorItiEEZNS1_14transform_implILb0ES3_S5_N6thrust23THRUST_200600_302600_NS6detail15normal_iteratorINS8_10device_ptrItEEEENSA_INSB_IiEEEEZNS1_13binary_searchIS3_S5_SD_SD_SF_NS1_21lower_bound_search_opENS9_16wrapped_functionINS0_4lessIvEEbEEEE10hipError_tPvRmT1_T2_T3_mmT4_T5_P12ihipStream_tbEUlRKtE_EESM_SQ_SR_mSS_SV_bEUlT_E_NS1_11comp_targetILNS1_3genE4ELNS1_11target_archE910ELNS1_3gpuE8ELNS1_3repE0EEENS1_30default_config_static_selectorELNS0_4arch9wavefront6targetE0EEEvSP_,comdat
.Lfunc_end293:
	.size	_ZN7rocprim17ROCPRIM_400000_NS6detail17trampoline_kernelINS0_14default_configENS1_27lower_bound_config_selectorItiEEZNS1_14transform_implILb0ES3_S5_N6thrust23THRUST_200600_302600_NS6detail15normal_iteratorINS8_10device_ptrItEEEENSA_INSB_IiEEEEZNS1_13binary_searchIS3_S5_SD_SD_SF_NS1_21lower_bound_search_opENS9_16wrapped_functionINS0_4lessIvEEbEEEE10hipError_tPvRmT1_T2_T3_mmT4_T5_P12ihipStream_tbEUlRKtE_EESM_SQ_SR_mSS_SV_bEUlT_E_NS1_11comp_targetILNS1_3genE4ELNS1_11target_archE910ELNS1_3gpuE8ELNS1_3repE0EEENS1_30default_config_static_selectorELNS0_4arch9wavefront6targetE0EEEvSP_, .Lfunc_end293-_ZN7rocprim17ROCPRIM_400000_NS6detail17trampoline_kernelINS0_14default_configENS1_27lower_bound_config_selectorItiEEZNS1_14transform_implILb0ES3_S5_N6thrust23THRUST_200600_302600_NS6detail15normal_iteratorINS8_10device_ptrItEEEENSA_INSB_IiEEEEZNS1_13binary_searchIS3_S5_SD_SD_SF_NS1_21lower_bound_search_opENS9_16wrapped_functionINS0_4lessIvEEbEEEE10hipError_tPvRmT1_T2_T3_mmT4_T5_P12ihipStream_tbEUlRKtE_EESM_SQ_SR_mSS_SV_bEUlT_E_NS1_11comp_targetILNS1_3genE4ELNS1_11target_archE910ELNS1_3gpuE8ELNS1_3repE0EEENS1_30default_config_static_selectorELNS0_4arch9wavefront6targetE0EEEvSP_
                                        ; -- End function
	.section	.AMDGPU.csdata,"",@progbits
; Kernel info:
; codeLenInByte = 0
; NumSgprs: 0
; NumVgprs: 0
; ScratchSize: 0
; MemoryBound: 0
; FloatMode: 240
; IeeeMode: 1
; LDSByteSize: 0 bytes/workgroup (compile time only)
; SGPRBlocks: 0
; VGPRBlocks: 0
; NumSGPRsForWavesPerEU: 1
; NumVGPRsForWavesPerEU: 1
; Occupancy: 16
; WaveLimiterHint : 0
; COMPUTE_PGM_RSRC2:SCRATCH_EN: 0
; COMPUTE_PGM_RSRC2:USER_SGPR: 15
; COMPUTE_PGM_RSRC2:TRAP_HANDLER: 0
; COMPUTE_PGM_RSRC2:TGID_X_EN: 1
; COMPUTE_PGM_RSRC2:TGID_Y_EN: 0
; COMPUTE_PGM_RSRC2:TGID_Z_EN: 0
; COMPUTE_PGM_RSRC2:TIDIG_COMP_CNT: 0
	.section	.text._ZN7rocprim17ROCPRIM_400000_NS6detail17trampoline_kernelINS0_14default_configENS1_27lower_bound_config_selectorItiEEZNS1_14transform_implILb0ES3_S5_N6thrust23THRUST_200600_302600_NS6detail15normal_iteratorINS8_10device_ptrItEEEENSA_INSB_IiEEEEZNS1_13binary_searchIS3_S5_SD_SD_SF_NS1_21lower_bound_search_opENS9_16wrapped_functionINS0_4lessIvEEbEEEE10hipError_tPvRmT1_T2_T3_mmT4_T5_P12ihipStream_tbEUlRKtE_EESM_SQ_SR_mSS_SV_bEUlT_E_NS1_11comp_targetILNS1_3genE3ELNS1_11target_archE908ELNS1_3gpuE7ELNS1_3repE0EEENS1_30default_config_static_selectorELNS0_4arch9wavefront6targetE0EEEvSP_,"axG",@progbits,_ZN7rocprim17ROCPRIM_400000_NS6detail17trampoline_kernelINS0_14default_configENS1_27lower_bound_config_selectorItiEEZNS1_14transform_implILb0ES3_S5_N6thrust23THRUST_200600_302600_NS6detail15normal_iteratorINS8_10device_ptrItEEEENSA_INSB_IiEEEEZNS1_13binary_searchIS3_S5_SD_SD_SF_NS1_21lower_bound_search_opENS9_16wrapped_functionINS0_4lessIvEEbEEEE10hipError_tPvRmT1_T2_T3_mmT4_T5_P12ihipStream_tbEUlRKtE_EESM_SQ_SR_mSS_SV_bEUlT_E_NS1_11comp_targetILNS1_3genE3ELNS1_11target_archE908ELNS1_3gpuE7ELNS1_3repE0EEENS1_30default_config_static_selectorELNS0_4arch9wavefront6targetE0EEEvSP_,comdat
	.protected	_ZN7rocprim17ROCPRIM_400000_NS6detail17trampoline_kernelINS0_14default_configENS1_27lower_bound_config_selectorItiEEZNS1_14transform_implILb0ES3_S5_N6thrust23THRUST_200600_302600_NS6detail15normal_iteratorINS8_10device_ptrItEEEENSA_INSB_IiEEEEZNS1_13binary_searchIS3_S5_SD_SD_SF_NS1_21lower_bound_search_opENS9_16wrapped_functionINS0_4lessIvEEbEEEE10hipError_tPvRmT1_T2_T3_mmT4_T5_P12ihipStream_tbEUlRKtE_EESM_SQ_SR_mSS_SV_bEUlT_E_NS1_11comp_targetILNS1_3genE3ELNS1_11target_archE908ELNS1_3gpuE7ELNS1_3repE0EEENS1_30default_config_static_selectorELNS0_4arch9wavefront6targetE0EEEvSP_ ; -- Begin function _ZN7rocprim17ROCPRIM_400000_NS6detail17trampoline_kernelINS0_14default_configENS1_27lower_bound_config_selectorItiEEZNS1_14transform_implILb0ES3_S5_N6thrust23THRUST_200600_302600_NS6detail15normal_iteratorINS8_10device_ptrItEEEENSA_INSB_IiEEEEZNS1_13binary_searchIS3_S5_SD_SD_SF_NS1_21lower_bound_search_opENS9_16wrapped_functionINS0_4lessIvEEbEEEE10hipError_tPvRmT1_T2_T3_mmT4_T5_P12ihipStream_tbEUlRKtE_EESM_SQ_SR_mSS_SV_bEUlT_E_NS1_11comp_targetILNS1_3genE3ELNS1_11target_archE908ELNS1_3gpuE7ELNS1_3repE0EEENS1_30default_config_static_selectorELNS0_4arch9wavefront6targetE0EEEvSP_
	.globl	_ZN7rocprim17ROCPRIM_400000_NS6detail17trampoline_kernelINS0_14default_configENS1_27lower_bound_config_selectorItiEEZNS1_14transform_implILb0ES3_S5_N6thrust23THRUST_200600_302600_NS6detail15normal_iteratorINS8_10device_ptrItEEEENSA_INSB_IiEEEEZNS1_13binary_searchIS3_S5_SD_SD_SF_NS1_21lower_bound_search_opENS9_16wrapped_functionINS0_4lessIvEEbEEEE10hipError_tPvRmT1_T2_T3_mmT4_T5_P12ihipStream_tbEUlRKtE_EESM_SQ_SR_mSS_SV_bEUlT_E_NS1_11comp_targetILNS1_3genE3ELNS1_11target_archE908ELNS1_3gpuE7ELNS1_3repE0EEENS1_30default_config_static_selectorELNS0_4arch9wavefront6targetE0EEEvSP_
	.p2align	8
	.type	_ZN7rocprim17ROCPRIM_400000_NS6detail17trampoline_kernelINS0_14default_configENS1_27lower_bound_config_selectorItiEEZNS1_14transform_implILb0ES3_S5_N6thrust23THRUST_200600_302600_NS6detail15normal_iteratorINS8_10device_ptrItEEEENSA_INSB_IiEEEEZNS1_13binary_searchIS3_S5_SD_SD_SF_NS1_21lower_bound_search_opENS9_16wrapped_functionINS0_4lessIvEEbEEEE10hipError_tPvRmT1_T2_T3_mmT4_T5_P12ihipStream_tbEUlRKtE_EESM_SQ_SR_mSS_SV_bEUlT_E_NS1_11comp_targetILNS1_3genE3ELNS1_11target_archE908ELNS1_3gpuE7ELNS1_3repE0EEENS1_30default_config_static_selectorELNS0_4arch9wavefront6targetE0EEEvSP_,@function
_ZN7rocprim17ROCPRIM_400000_NS6detail17trampoline_kernelINS0_14default_configENS1_27lower_bound_config_selectorItiEEZNS1_14transform_implILb0ES3_S5_N6thrust23THRUST_200600_302600_NS6detail15normal_iteratorINS8_10device_ptrItEEEENSA_INSB_IiEEEEZNS1_13binary_searchIS3_S5_SD_SD_SF_NS1_21lower_bound_search_opENS9_16wrapped_functionINS0_4lessIvEEbEEEE10hipError_tPvRmT1_T2_T3_mmT4_T5_P12ihipStream_tbEUlRKtE_EESM_SQ_SR_mSS_SV_bEUlT_E_NS1_11comp_targetILNS1_3genE3ELNS1_11target_archE908ELNS1_3gpuE7ELNS1_3repE0EEENS1_30default_config_static_selectorELNS0_4arch9wavefront6targetE0EEEvSP_: ; @_ZN7rocprim17ROCPRIM_400000_NS6detail17trampoline_kernelINS0_14default_configENS1_27lower_bound_config_selectorItiEEZNS1_14transform_implILb0ES3_S5_N6thrust23THRUST_200600_302600_NS6detail15normal_iteratorINS8_10device_ptrItEEEENSA_INSB_IiEEEEZNS1_13binary_searchIS3_S5_SD_SD_SF_NS1_21lower_bound_search_opENS9_16wrapped_functionINS0_4lessIvEEbEEEE10hipError_tPvRmT1_T2_T3_mmT4_T5_P12ihipStream_tbEUlRKtE_EESM_SQ_SR_mSS_SV_bEUlT_E_NS1_11comp_targetILNS1_3genE3ELNS1_11target_archE908ELNS1_3gpuE7ELNS1_3repE0EEENS1_30default_config_static_selectorELNS0_4arch9wavefront6targetE0EEEvSP_
; %bb.0:
	.section	.rodata,"a",@progbits
	.p2align	6, 0x0
	.amdhsa_kernel _ZN7rocprim17ROCPRIM_400000_NS6detail17trampoline_kernelINS0_14default_configENS1_27lower_bound_config_selectorItiEEZNS1_14transform_implILb0ES3_S5_N6thrust23THRUST_200600_302600_NS6detail15normal_iteratorINS8_10device_ptrItEEEENSA_INSB_IiEEEEZNS1_13binary_searchIS3_S5_SD_SD_SF_NS1_21lower_bound_search_opENS9_16wrapped_functionINS0_4lessIvEEbEEEE10hipError_tPvRmT1_T2_T3_mmT4_T5_P12ihipStream_tbEUlRKtE_EESM_SQ_SR_mSS_SV_bEUlT_E_NS1_11comp_targetILNS1_3genE3ELNS1_11target_archE908ELNS1_3gpuE7ELNS1_3repE0EEENS1_30default_config_static_selectorELNS0_4arch9wavefront6targetE0EEEvSP_
		.amdhsa_group_segment_fixed_size 0
		.amdhsa_private_segment_fixed_size 0
		.amdhsa_kernarg_size 56
		.amdhsa_user_sgpr_count 15
		.amdhsa_user_sgpr_dispatch_ptr 0
		.amdhsa_user_sgpr_queue_ptr 0
		.amdhsa_user_sgpr_kernarg_segment_ptr 1
		.amdhsa_user_sgpr_dispatch_id 0
		.amdhsa_user_sgpr_private_segment_size 0
		.amdhsa_wavefront_size32 1
		.amdhsa_uses_dynamic_stack 0
		.amdhsa_enable_private_segment 0
		.amdhsa_system_sgpr_workgroup_id_x 1
		.amdhsa_system_sgpr_workgroup_id_y 0
		.amdhsa_system_sgpr_workgroup_id_z 0
		.amdhsa_system_sgpr_workgroup_info 0
		.amdhsa_system_vgpr_workitem_id 0
		.amdhsa_next_free_vgpr 1
		.amdhsa_next_free_sgpr 1
		.amdhsa_reserve_vcc 0
		.amdhsa_float_round_mode_32 0
		.amdhsa_float_round_mode_16_64 0
		.amdhsa_float_denorm_mode_32 3
		.amdhsa_float_denorm_mode_16_64 3
		.amdhsa_dx10_clamp 1
		.amdhsa_ieee_mode 1
		.amdhsa_fp16_overflow 0
		.amdhsa_workgroup_processor_mode 1
		.amdhsa_memory_ordered 1
		.amdhsa_forward_progress 0
		.amdhsa_shared_vgpr_count 0
		.amdhsa_exception_fp_ieee_invalid_op 0
		.amdhsa_exception_fp_denorm_src 0
		.amdhsa_exception_fp_ieee_div_zero 0
		.amdhsa_exception_fp_ieee_overflow 0
		.amdhsa_exception_fp_ieee_underflow 0
		.amdhsa_exception_fp_ieee_inexact 0
		.amdhsa_exception_int_div_zero 0
	.end_amdhsa_kernel
	.section	.text._ZN7rocprim17ROCPRIM_400000_NS6detail17trampoline_kernelINS0_14default_configENS1_27lower_bound_config_selectorItiEEZNS1_14transform_implILb0ES3_S5_N6thrust23THRUST_200600_302600_NS6detail15normal_iteratorINS8_10device_ptrItEEEENSA_INSB_IiEEEEZNS1_13binary_searchIS3_S5_SD_SD_SF_NS1_21lower_bound_search_opENS9_16wrapped_functionINS0_4lessIvEEbEEEE10hipError_tPvRmT1_T2_T3_mmT4_T5_P12ihipStream_tbEUlRKtE_EESM_SQ_SR_mSS_SV_bEUlT_E_NS1_11comp_targetILNS1_3genE3ELNS1_11target_archE908ELNS1_3gpuE7ELNS1_3repE0EEENS1_30default_config_static_selectorELNS0_4arch9wavefront6targetE0EEEvSP_,"axG",@progbits,_ZN7rocprim17ROCPRIM_400000_NS6detail17trampoline_kernelINS0_14default_configENS1_27lower_bound_config_selectorItiEEZNS1_14transform_implILb0ES3_S5_N6thrust23THRUST_200600_302600_NS6detail15normal_iteratorINS8_10device_ptrItEEEENSA_INSB_IiEEEEZNS1_13binary_searchIS3_S5_SD_SD_SF_NS1_21lower_bound_search_opENS9_16wrapped_functionINS0_4lessIvEEbEEEE10hipError_tPvRmT1_T2_T3_mmT4_T5_P12ihipStream_tbEUlRKtE_EESM_SQ_SR_mSS_SV_bEUlT_E_NS1_11comp_targetILNS1_3genE3ELNS1_11target_archE908ELNS1_3gpuE7ELNS1_3repE0EEENS1_30default_config_static_selectorELNS0_4arch9wavefront6targetE0EEEvSP_,comdat
.Lfunc_end294:
	.size	_ZN7rocprim17ROCPRIM_400000_NS6detail17trampoline_kernelINS0_14default_configENS1_27lower_bound_config_selectorItiEEZNS1_14transform_implILb0ES3_S5_N6thrust23THRUST_200600_302600_NS6detail15normal_iteratorINS8_10device_ptrItEEEENSA_INSB_IiEEEEZNS1_13binary_searchIS3_S5_SD_SD_SF_NS1_21lower_bound_search_opENS9_16wrapped_functionINS0_4lessIvEEbEEEE10hipError_tPvRmT1_T2_T3_mmT4_T5_P12ihipStream_tbEUlRKtE_EESM_SQ_SR_mSS_SV_bEUlT_E_NS1_11comp_targetILNS1_3genE3ELNS1_11target_archE908ELNS1_3gpuE7ELNS1_3repE0EEENS1_30default_config_static_selectorELNS0_4arch9wavefront6targetE0EEEvSP_, .Lfunc_end294-_ZN7rocprim17ROCPRIM_400000_NS6detail17trampoline_kernelINS0_14default_configENS1_27lower_bound_config_selectorItiEEZNS1_14transform_implILb0ES3_S5_N6thrust23THRUST_200600_302600_NS6detail15normal_iteratorINS8_10device_ptrItEEEENSA_INSB_IiEEEEZNS1_13binary_searchIS3_S5_SD_SD_SF_NS1_21lower_bound_search_opENS9_16wrapped_functionINS0_4lessIvEEbEEEE10hipError_tPvRmT1_T2_T3_mmT4_T5_P12ihipStream_tbEUlRKtE_EESM_SQ_SR_mSS_SV_bEUlT_E_NS1_11comp_targetILNS1_3genE3ELNS1_11target_archE908ELNS1_3gpuE7ELNS1_3repE0EEENS1_30default_config_static_selectorELNS0_4arch9wavefront6targetE0EEEvSP_
                                        ; -- End function
	.section	.AMDGPU.csdata,"",@progbits
; Kernel info:
; codeLenInByte = 0
; NumSgprs: 0
; NumVgprs: 0
; ScratchSize: 0
; MemoryBound: 0
; FloatMode: 240
; IeeeMode: 1
; LDSByteSize: 0 bytes/workgroup (compile time only)
; SGPRBlocks: 0
; VGPRBlocks: 0
; NumSGPRsForWavesPerEU: 1
; NumVGPRsForWavesPerEU: 1
; Occupancy: 16
; WaveLimiterHint : 0
; COMPUTE_PGM_RSRC2:SCRATCH_EN: 0
; COMPUTE_PGM_RSRC2:USER_SGPR: 15
; COMPUTE_PGM_RSRC2:TRAP_HANDLER: 0
; COMPUTE_PGM_RSRC2:TGID_X_EN: 1
; COMPUTE_PGM_RSRC2:TGID_Y_EN: 0
; COMPUTE_PGM_RSRC2:TGID_Z_EN: 0
; COMPUTE_PGM_RSRC2:TIDIG_COMP_CNT: 0
	.section	.text._ZN7rocprim17ROCPRIM_400000_NS6detail17trampoline_kernelINS0_14default_configENS1_27lower_bound_config_selectorItiEEZNS1_14transform_implILb0ES3_S5_N6thrust23THRUST_200600_302600_NS6detail15normal_iteratorINS8_10device_ptrItEEEENSA_INSB_IiEEEEZNS1_13binary_searchIS3_S5_SD_SD_SF_NS1_21lower_bound_search_opENS9_16wrapped_functionINS0_4lessIvEEbEEEE10hipError_tPvRmT1_T2_T3_mmT4_T5_P12ihipStream_tbEUlRKtE_EESM_SQ_SR_mSS_SV_bEUlT_E_NS1_11comp_targetILNS1_3genE2ELNS1_11target_archE906ELNS1_3gpuE6ELNS1_3repE0EEENS1_30default_config_static_selectorELNS0_4arch9wavefront6targetE0EEEvSP_,"axG",@progbits,_ZN7rocprim17ROCPRIM_400000_NS6detail17trampoline_kernelINS0_14default_configENS1_27lower_bound_config_selectorItiEEZNS1_14transform_implILb0ES3_S5_N6thrust23THRUST_200600_302600_NS6detail15normal_iteratorINS8_10device_ptrItEEEENSA_INSB_IiEEEEZNS1_13binary_searchIS3_S5_SD_SD_SF_NS1_21lower_bound_search_opENS9_16wrapped_functionINS0_4lessIvEEbEEEE10hipError_tPvRmT1_T2_T3_mmT4_T5_P12ihipStream_tbEUlRKtE_EESM_SQ_SR_mSS_SV_bEUlT_E_NS1_11comp_targetILNS1_3genE2ELNS1_11target_archE906ELNS1_3gpuE6ELNS1_3repE0EEENS1_30default_config_static_selectorELNS0_4arch9wavefront6targetE0EEEvSP_,comdat
	.protected	_ZN7rocprim17ROCPRIM_400000_NS6detail17trampoline_kernelINS0_14default_configENS1_27lower_bound_config_selectorItiEEZNS1_14transform_implILb0ES3_S5_N6thrust23THRUST_200600_302600_NS6detail15normal_iteratorINS8_10device_ptrItEEEENSA_INSB_IiEEEEZNS1_13binary_searchIS3_S5_SD_SD_SF_NS1_21lower_bound_search_opENS9_16wrapped_functionINS0_4lessIvEEbEEEE10hipError_tPvRmT1_T2_T3_mmT4_T5_P12ihipStream_tbEUlRKtE_EESM_SQ_SR_mSS_SV_bEUlT_E_NS1_11comp_targetILNS1_3genE2ELNS1_11target_archE906ELNS1_3gpuE6ELNS1_3repE0EEENS1_30default_config_static_selectorELNS0_4arch9wavefront6targetE0EEEvSP_ ; -- Begin function _ZN7rocprim17ROCPRIM_400000_NS6detail17trampoline_kernelINS0_14default_configENS1_27lower_bound_config_selectorItiEEZNS1_14transform_implILb0ES3_S5_N6thrust23THRUST_200600_302600_NS6detail15normal_iteratorINS8_10device_ptrItEEEENSA_INSB_IiEEEEZNS1_13binary_searchIS3_S5_SD_SD_SF_NS1_21lower_bound_search_opENS9_16wrapped_functionINS0_4lessIvEEbEEEE10hipError_tPvRmT1_T2_T3_mmT4_T5_P12ihipStream_tbEUlRKtE_EESM_SQ_SR_mSS_SV_bEUlT_E_NS1_11comp_targetILNS1_3genE2ELNS1_11target_archE906ELNS1_3gpuE6ELNS1_3repE0EEENS1_30default_config_static_selectorELNS0_4arch9wavefront6targetE0EEEvSP_
	.globl	_ZN7rocprim17ROCPRIM_400000_NS6detail17trampoline_kernelINS0_14default_configENS1_27lower_bound_config_selectorItiEEZNS1_14transform_implILb0ES3_S5_N6thrust23THRUST_200600_302600_NS6detail15normal_iteratorINS8_10device_ptrItEEEENSA_INSB_IiEEEEZNS1_13binary_searchIS3_S5_SD_SD_SF_NS1_21lower_bound_search_opENS9_16wrapped_functionINS0_4lessIvEEbEEEE10hipError_tPvRmT1_T2_T3_mmT4_T5_P12ihipStream_tbEUlRKtE_EESM_SQ_SR_mSS_SV_bEUlT_E_NS1_11comp_targetILNS1_3genE2ELNS1_11target_archE906ELNS1_3gpuE6ELNS1_3repE0EEENS1_30default_config_static_selectorELNS0_4arch9wavefront6targetE0EEEvSP_
	.p2align	8
	.type	_ZN7rocprim17ROCPRIM_400000_NS6detail17trampoline_kernelINS0_14default_configENS1_27lower_bound_config_selectorItiEEZNS1_14transform_implILb0ES3_S5_N6thrust23THRUST_200600_302600_NS6detail15normal_iteratorINS8_10device_ptrItEEEENSA_INSB_IiEEEEZNS1_13binary_searchIS3_S5_SD_SD_SF_NS1_21lower_bound_search_opENS9_16wrapped_functionINS0_4lessIvEEbEEEE10hipError_tPvRmT1_T2_T3_mmT4_T5_P12ihipStream_tbEUlRKtE_EESM_SQ_SR_mSS_SV_bEUlT_E_NS1_11comp_targetILNS1_3genE2ELNS1_11target_archE906ELNS1_3gpuE6ELNS1_3repE0EEENS1_30default_config_static_selectorELNS0_4arch9wavefront6targetE0EEEvSP_,@function
_ZN7rocprim17ROCPRIM_400000_NS6detail17trampoline_kernelINS0_14default_configENS1_27lower_bound_config_selectorItiEEZNS1_14transform_implILb0ES3_S5_N6thrust23THRUST_200600_302600_NS6detail15normal_iteratorINS8_10device_ptrItEEEENSA_INSB_IiEEEEZNS1_13binary_searchIS3_S5_SD_SD_SF_NS1_21lower_bound_search_opENS9_16wrapped_functionINS0_4lessIvEEbEEEE10hipError_tPvRmT1_T2_T3_mmT4_T5_P12ihipStream_tbEUlRKtE_EESM_SQ_SR_mSS_SV_bEUlT_E_NS1_11comp_targetILNS1_3genE2ELNS1_11target_archE906ELNS1_3gpuE6ELNS1_3repE0EEENS1_30default_config_static_selectorELNS0_4arch9wavefront6targetE0EEEvSP_: ; @_ZN7rocprim17ROCPRIM_400000_NS6detail17trampoline_kernelINS0_14default_configENS1_27lower_bound_config_selectorItiEEZNS1_14transform_implILb0ES3_S5_N6thrust23THRUST_200600_302600_NS6detail15normal_iteratorINS8_10device_ptrItEEEENSA_INSB_IiEEEEZNS1_13binary_searchIS3_S5_SD_SD_SF_NS1_21lower_bound_search_opENS9_16wrapped_functionINS0_4lessIvEEbEEEE10hipError_tPvRmT1_T2_T3_mmT4_T5_P12ihipStream_tbEUlRKtE_EESM_SQ_SR_mSS_SV_bEUlT_E_NS1_11comp_targetILNS1_3genE2ELNS1_11target_archE906ELNS1_3gpuE6ELNS1_3repE0EEENS1_30default_config_static_selectorELNS0_4arch9wavefront6targetE0EEEvSP_
; %bb.0:
	.section	.rodata,"a",@progbits
	.p2align	6, 0x0
	.amdhsa_kernel _ZN7rocprim17ROCPRIM_400000_NS6detail17trampoline_kernelINS0_14default_configENS1_27lower_bound_config_selectorItiEEZNS1_14transform_implILb0ES3_S5_N6thrust23THRUST_200600_302600_NS6detail15normal_iteratorINS8_10device_ptrItEEEENSA_INSB_IiEEEEZNS1_13binary_searchIS3_S5_SD_SD_SF_NS1_21lower_bound_search_opENS9_16wrapped_functionINS0_4lessIvEEbEEEE10hipError_tPvRmT1_T2_T3_mmT4_T5_P12ihipStream_tbEUlRKtE_EESM_SQ_SR_mSS_SV_bEUlT_E_NS1_11comp_targetILNS1_3genE2ELNS1_11target_archE906ELNS1_3gpuE6ELNS1_3repE0EEENS1_30default_config_static_selectorELNS0_4arch9wavefront6targetE0EEEvSP_
		.amdhsa_group_segment_fixed_size 0
		.amdhsa_private_segment_fixed_size 0
		.amdhsa_kernarg_size 56
		.amdhsa_user_sgpr_count 15
		.amdhsa_user_sgpr_dispatch_ptr 0
		.amdhsa_user_sgpr_queue_ptr 0
		.amdhsa_user_sgpr_kernarg_segment_ptr 1
		.amdhsa_user_sgpr_dispatch_id 0
		.amdhsa_user_sgpr_private_segment_size 0
		.amdhsa_wavefront_size32 1
		.amdhsa_uses_dynamic_stack 0
		.amdhsa_enable_private_segment 0
		.amdhsa_system_sgpr_workgroup_id_x 1
		.amdhsa_system_sgpr_workgroup_id_y 0
		.amdhsa_system_sgpr_workgroup_id_z 0
		.amdhsa_system_sgpr_workgroup_info 0
		.amdhsa_system_vgpr_workitem_id 0
		.amdhsa_next_free_vgpr 1
		.amdhsa_next_free_sgpr 1
		.amdhsa_reserve_vcc 0
		.amdhsa_float_round_mode_32 0
		.amdhsa_float_round_mode_16_64 0
		.amdhsa_float_denorm_mode_32 3
		.amdhsa_float_denorm_mode_16_64 3
		.amdhsa_dx10_clamp 1
		.amdhsa_ieee_mode 1
		.amdhsa_fp16_overflow 0
		.amdhsa_workgroup_processor_mode 1
		.amdhsa_memory_ordered 1
		.amdhsa_forward_progress 0
		.amdhsa_shared_vgpr_count 0
		.amdhsa_exception_fp_ieee_invalid_op 0
		.amdhsa_exception_fp_denorm_src 0
		.amdhsa_exception_fp_ieee_div_zero 0
		.amdhsa_exception_fp_ieee_overflow 0
		.amdhsa_exception_fp_ieee_underflow 0
		.amdhsa_exception_fp_ieee_inexact 0
		.amdhsa_exception_int_div_zero 0
	.end_amdhsa_kernel
	.section	.text._ZN7rocprim17ROCPRIM_400000_NS6detail17trampoline_kernelINS0_14default_configENS1_27lower_bound_config_selectorItiEEZNS1_14transform_implILb0ES3_S5_N6thrust23THRUST_200600_302600_NS6detail15normal_iteratorINS8_10device_ptrItEEEENSA_INSB_IiEEEEZNS1_13binary_searchIS3_S5_SD_SD_SF_NS1_21lower_bound_search_opENS9_16wrapped_functionINS0_4lessIvEEbEEEE10hipError_tPvRmT1_T2_T3_mmT4_T5_P12ihipStream_tbEUlRKtE_EESM_SQ_SR_mSS_SV_bEUlT_E_NS1_11comp_targetILNS1_3genE2ELNS1_11target_archE906ELNS1_3gpuE6ELNS1_3repE0EEENS1_30default_config_static_selectorELNS0_4arch9wavefront6targetE0EEEvSP_,"axG",@progbits,_ZN7rocprim17ROCPRIM_400000_NS6detail17trampoline_kernelINS0_14default_configENS1_27lower_bound_config_selectorItiEEZNS1_14transform_implILb0ES3_S5_N6thrust23THRUST_200600_302600_NS6detail15normal_iteratorINS8_10device_ptrItEEEENSA_INSB_IiEEEEZNS1_13binary_searchIS3_S5_SD_SD_SF_NS1_21lower_bound_search_opENS9_16wrapped_functionINS0_4lessIvEEbEEEE10hipError_tPvRmT1_T2_T3_mmT4_T5_P12ihipStream_tbEUlRKtE_EESM_SQ_SR_mSS_SV_bEUlT_E_NS1_11comp_targetILNS1_3genE2ELNS1_11target_archE906ELNS1_3gpuE6ELNS1_3repE0EEENS1_30default_config_static_selectorELNS0_4arch9wavefront6targetE0EEEvSP_,comdat
.Lfunc_end295:
	.size	_ZN7rocprim17ROCPRIM_400000_NS6detail17trampoline_kernelINS0_14default_configENS1_27lower_bound_config_selectorItiEEZNS1_14transform_implILb0ES3_S5_N6thrust23THRUST_200600_302600_NS6detail15normal_iteratorINS8_10device_ptrItEEEENSA_INSB_IiEEEEZNS1_13binary_searchIS3_S5_SD_SD_SF_NS1_21lower_bound_search_opENS9_16wrapped_functionINS0_4lessIvEEbEEEE10hipError_tPvRmT1_T2_T3_mmT4_T5_P12ihipStream_tbEUlRKtE_EESM_SQ_SR_mSS_SV_bEUlT_E_NS1_11comp_targetILNS1_3genE2ELNS1_11target_archE906ELNS1_3gpuE6ELNS1_3repE0EEENS1_30default_config_static_selectorELNS0_4arch9wavefront6targetE0EEEvSP_, .Lfunc_end295-_ZN7rocprim17ROCPRIM_400000_NS6detail17trampoline_kernelINS0_14default_configENS1_27lower_bound_config_selectorItiEEZNS1_14transform_implILb0ES3_S5_N6thrust23THRUST_200600_302600_NS6detail15normal_iteratorINS8_10device_ptrItEEEENSA_INSB_IiEEEEZNS1_13binary_searchIS3_S5_SD_SD_SF_NS1_21lower_bound_search_opENS9_16wrapped_functionINS0_4lessIvEEbEEEE10hipError_tPvRmT1_T2_T3_mmT4_T5_P12ihipStream_tbEUlRKtE_EESM_SQ_SR_mSS_SV_bEUlT_E_NS1_11comp_targetILNS1_3genE2ELNS1_11target_archE906ELNS1_3gpuE6ELNS1_3repE0EEENS1_30default_config_static_selectorELNS0_4arch9wavefront6targetE0EEEvSP_
                                        ; -- End function
	.section	.AMDGPU.csdata,"",@progbits
; Kernel info:
; codeLenInByte = 0
; NumSgprs: 0
; NumVgprs: 0
; ScratchSize: 0
; MemoryBound: 0
; FloatMode: 240
; IeeeMode: 1
; LDSByteSize: 0 bytes/workgroup (compile time only)
; SGPRBlocks: 0
; VGPRBlocks: 0
; NumSGPRsForWavesPerEU: 1
; NumVGPRsForWavesPerEU: 1
; Occupancy: 16
; WaveLimiterHint : 0
; COMPUTE_PGM_RSRC2:SCRATCH_EN: 0
; COMPUTE_PGM_RSRC2:USER_SGPR: 15
; COMPUTE_PGM_RSRC2:TRAP_HANDLER: 0
; COMPUTE_PGM_RSRC2:TGID_X_EN: 1
; COMPUTE_PGM_RSRC2:TGID_Y_EN: 0
; COMPUTE_PGM_RSRC2:TGID_Z_EN: 0
; COMPUTE_PGM_RSRC2:TIDIG_COMP_CNT: 0
	.section	.text._ZN7rocprim17ROCPRIM_400000_NS6detail17trampoline_kernelINS0_14default_configENS1_27lower_bound_config_selectorItiEEZNS1_14transform_implILb0ES3_S5_N6thrust23THRUST_200600_302600_NS6detail15normal_iteratorINS8_10device_ptrItEEEENSA_INSB_IiEEEEZNS1_13binary_searchIS3_S5_SD_SD_SF_NS1_21lower_bound_search_opENS9_16wrapped_functionINS0_4lessIvEEbEEEE10hipError_tPvRmT1_T2_T3_mmT4_T5_P12ihipStream_tbEUlRKtE_EESM_SQ_SR_mSS_SV_bEUlT_E_NS1_11comp_targetILNS1_3genE10ELNS1_11target_archE1201ELNS1_3gpuE5ELNS1_3repE0EEENS1_30default_config_static_selectorELNS0_4arch9wavefront6targetE0EEEvSP_,"axG",@progbits,_ZN7rocprim17ROCPRIM_400000_NS6detail17trampoline_kernelINS0_14default_configENS1_27lower_bound_config_selectorItiEEZNS1_14transform_implILb0ES3_S5_N6thrust23THRUST_200600_302600_NS6detail15normal_iteratorINS8_10device_ptrItEEEENSA_INSB_IiEEEEZNS1_13binary_searchIS3_S5_SD_SD_SF_NS1_21lower_bound_search_opENS9_16wrapped_functionINS0_4lessIvEEbEEEE10hipError_tPvRmT1_T2_T3_mmT4_T5_P12ihipStream_tbEUlRKtE_EESM_SQ_SR_mSS_SV_bEUlT_E_NS1_11comp_targetILNS1_3genE10ELNS1_11target_archE1201ELNS1_3gpuE5ELNS1_3repE0EEENS1_30default_config_static_selectorELNS0_4arch9wavefront6targetE0EEEvSP_,comdat
	.protected	_ZN7rocprim17ROCPRIM_400000_NS6detail17trampoline_kernelINS0_14default_configENS1_27lower_bound_config_selectorItiEEZNS1_14transform_implILb0ES3_S5_N6thrust23THRUST_200600_302600_NS6detail15normal_iteratorINS8_10device_ptrItEEEENSA_INSB_IiEEEEZNS1_13binary_searchIS3_S5_SD_SD_SF_NS1_21lower_bound_search_opENS9_16wrapped_functionINS0_4lessIvEEbEEEE10hipError_tPvRmT1_T2_T3_mmT4_T5_P12ihipStream_tbEUlRKtE_EESM_SQ_SR_mSS_SV_bEUlT_E_NS1_11comp_targetILNS1_3genE10ELNS1_11target_archE1201ELNS1_3gpuE5ELNS1_3repE0EEENS1_30default_config_static_selectorELNS0_4arch9wavefront6targetE0EEEvSP_ ; -- Begin function _ZN7rocprim17ROCPRIM_400000_NS6detail17trampoline_kernelINS0_14default_configENS1_27lower_bound_config_selectorItiEEZNS1_14transform_implILb0ES3_S5_N6thrust23THRUST_200600_302600_NS6detail15normal_iteratorINS8_10device_ptrItEEEENSA_INSB_IiEEEEZNS1_13binary_searchIS3_S5_SD_SD_SF_NS1_21lower_bound_search_opENS9_16wrapped_functionINS0_4lessIvEEbEEEE10hipError_tPvRmT1_T2_T3_mmT4_T5_P12ihipStream_tbEUlRKtE_EESM_SQ_SR_mSS_SV_bEUlT_E_NS1_11comp_targetILNS1_3genE10ELNS1_11target_archE1201ELNS1_3gpuE5ELNS1_3repE0EEENS1_30default_config_static_selectorELNS0_4arch9wavefront6targetE0EEEvSP_
	.globl	_ZN7rocprim17ROCPRIM_400000_NS6detail17trampoline_kernelINS0_14default_configENS1_27lower_bound_config_selectorItiEEZNS1_14transform_implILb0ES3_S5_N6thrust23THRUST_200600_302600_NS6detail15normal_iteratorINS8_10device_ptrItEEEENSA_INSB_IiEEEEZNS1_13binary_searchIS3_S5_SD_SD_SF_NS1_21lower_bound_search_opENS9_16wrapped_functionINS0_4lessIvEEbEEEE10hipError_tPvRmT1_T2_T3_mmT4_T5_P12ihipStream_tbEUlRKtE_EESM_SQ_SR_mSS_SV_bEUlT_E_NS1_11comp_targetILNS1_3genE10ELNS1_11target_archE1201ELNS1_3gpuE5ELNS1_3repE0EEENS1_30default_config_static_selectorELNS0_4arch9wavefront6targetE0EEEvSP_
	.p2align	8
	.type	_ZN7rocprim17ROCPRIM_400000_NS6detail17trampoline_kernelINS0_14default_configENS1_27lower_bound_config_selectorItiEEZNS1_14transform_implILb0ES3_S5_N6thrust23THRUST_200600_302600_NS6detail15normal_iteratorINS8_10device_ptrItEEEENSA_INSB_IiEEEEZNS1_13binary_searchIS3_S5_SD_SD_SF_NS1_21lower_bound_search_opENS9_16wrapped_functionINS0_4lessIvEEbEEEE10hipError_tPvRmT1_T2_T3_mmT4_T5_P12ihipStream_tbEUlRKtE_EESM_SQ_SR_mSS_SV_bEUlT_E_NS1_11comp_targetILNS1_3genE10ELNS1_11target_archE1201ELNS1_3gpuE5ELNS1_3repE0EEENS1_30default_config_static_selectorELNS0_4arch9wavefront6targetE0EEEvSP_,@function
_ZN7rocprim17ROCPRIM_400000_NS6detail17trampoline_kernelINS0_14default_configENS1_27lower_bound_config_selectorItiEEZNS1_14transform_implILb0ES3_S5_N6thrust23THRUST_200600_302600_NS6detail15normal_iteratorINS8_10device_ptrItEEEENSA_INSB_IiEEEEZNS1_13binary_searchIS3_S5_SD_SD_SF_NS1_21lower_bound_search_opENS9_16wrapped_functionINS0_4lessIvEEbEEEE10hipError_tPvRmT1_T2_T3_mmT4_T5_P12ihipStream_tbEUlRKtE_EESM_SQ_SR_mSS_SV_bEUlT_E_NS1_11comp_targetILNS1_3genE10ELNS1_11target_archE1201ELNS1_3gpuE5ELNS1_3repE0EEENS1_30default_config_static_selectorELNS0_4arch9wavefront6targetE0EEEvSP_: ; @_ZN7rocprim17ROCPRIM_400000_NS6detail17trampoline_kernelINS0_14default_configENS1_27lower_bound_config_selectorItiEEZNS1_14transform_implILb0ES3_S5_N6thrust23THRUST_200600_302600_NS6detail15normal_iteratorINS8_10device_ptrItEEEENSA_INSB_IiEEEEZNS1_13binary_searchIS3_S5_SD_SD_SF_NS1_21lower_bound_search_opENS9_16wrapped_functionINS0_4lessIvEEbEEEE10hipError_tPvRmT1_T2_T3_mmT4_T5_P12ihipStream_tbEUlRKtE_EESM_SQ_SR_mSS_SV_bEUlT_E_NS1_11comp_targetILNS1_3genE10ELNS1_11target_archE1201ELNS1_3gpuE5ELNS1_3repE0EEENS1_30default_config_static_selectorELNS0_4arch9wavefront6targetE0EEEvSP_
; %bb.0:
	.section	.rodata,"a",@progbits
	.p2align	6, 0x0
	.amdhsa_kernel _ZN7rocprim17ROCPRIM_400000_NS6detail17trampoline_kernelINS0_14default_configENS1_27lower_bound_config_selectorItiEEZNS1_14transform_implILb0ES3_S5_N6thrust23THRUST_200600_302600_NS6detail15normal_iteratorINS8_10device_ptrItEEEENSA_INSB_IiEEEEZNS1_13binary_searchIS3_S5_SD_SD_SF_NS1_21lower_bound_search_opENS9_16wrapped_functionINS0_4lessIvEEbEEEE10hipError_tPvRmT1_T2_T3_mmT4_T5_P12ihipStream_tbEUlRKtE_EESM_SQ_SR_mSS_SV_bEUlT_E_NS1_11comp_targetILNS1_3genE10ELNS1_11target_archE1201ELNS1_3gpuE5ELNS1_3repE0EEENS1_30default_config_static_selectorELNS0_4arch9wavefront6targetE0EEEvSP_
		.amdhsa_group_segment_fixed_size 0
		.amdhsa_private_segment_fixed_size 0
		.amdhsa_kernarg_size 56
		.amdhsa_user_sgpr_count 15
		.amdhsa_user_sgpr_dispatch_ptr 0
		.amdhsa_user_sgpr_queue_ptr 0
		.amdhsa_user_sgpr_kernarg_segment_ptr 1
		.amdhsa_user_sgpr_dispatch_id 0
		.amdhsa_user_sgpr_private_segment_size 0
		.amdhsa_wavefront_size32 1
		.amdhsa_uses_dynamic_stack 0
		.amdhsa_enable_private_segment 0
		.amdhsa_system_sgpr_workgroup_id_x 1
		.amdhsa_system_sgpr_workgroup_id_y 0
		.amdhsa_system_sgpr_workgroup_id_z 0
		.amdhsa_system_sgpr_workgroup_info 0
		.amdhsa_system_vgpr_workitem_id 0
		.amdhsa_next_free_vgpr 1
		.amdhsa_next_free_sgpr 1
		.amdhsa_reserve_vcc 0
		.amdhsa_float_round_mode_32 0
		.amdhsa_float_round_mode_16_64 0
		.amdhsa_float_denorm_mode_32 3
		.amdhsa_float_denorm_mode_16_64 3
		.amdhsa_dx10_clamp 1
		.amdhsa_ieee_mode 1
		.amdhsa_fp16_overflow 0
		.amdhsa_workgroup_processor_mode 1
		.amdhsa_memory_ordered 1
		.amdhsa_forward_progress 0
		.amdhsa_shared_vgpr_count 0
		.amdhsa_exception_fp_ieee_invalid_op 0
		.amdhsa_exception_fp_denorm_src 0
		.amdhsa_exception_fp_ieee_div_zero 0
		.amdhsa_exception_fp_ieee_overflow 0
		.amdhsa_exception_fp_ieee_underflow 0
		.amdhsa_exception_fp_ieee_inexact 0
		.amdhsa_exception_int_div_zero 0
	.end_amdhsa_kernel
	.section	.text._ZN7rocprim17ROCPRIM_400000_NS6detail17trampoline_kernelINS0_14default_configENS1_27lower_bound_config_selectorItiEEZNS1_14transform_implILb0ES3_S5_N6thrust23THRUST_200600_302600_NS6detail15normal_iteratorINS8_10device_ptrItEEEENSA_INSB_IiEEEEZNS1_13binary_searchIS3_S5_SD_SD_SF_NS1_21lower_bound_search_opENS9_16wrapped_functionINS0_4lessIvEEbEEEE10hipError_tPvRmT1_T2_T3_mmT4_T5_P12ihipStream_tbEUlRKtE_EESM_SQ_SR_mSS_SV_bEUlT_E_NS1_11comp_targetILNS1_3genE10ELNS1_11target_archE1201ELNS1_3gpuE5ELNS1_3repE0EEENS1_30default_config_static_selectorELNS0_4arch9wavefront6targetE0EEEvSP_,"axG",@progbits,_ZN7rocprim17ROCPRIM_400000_NS6detail17trampoline_kernelINS0_14default_configENS1_27lower_bound_config_selectorItiEEZNS1_14transform_implILb0ES3_S5_N6thrust23THRUST_200600_302600_NS6detail15normal_iteratorINS8_10device_ptrItEEEENSA_INSB_IiEEEEZNS1_13binary_searchIS3_S5_SD_SD_SF_NS1_21lower_bound_search_opENS9_16wrapped_functionINS0_4lessIvEEbEEEE10hipError_tPvRmT1_T2_T3_mmT4_T5_P12ihipStream_tbEUlRKtE_EESM_SQ_SR_mSS_SV_bEUlT_E_NS1_11comp_targetILNS1_3genE10ELNS1_11target_archE1201ELNS1_3gpuE5ELNS1_3repE0EEENS1_30default_config_static_selectorELNS0_4arch9wavefront6targetE0EEEvSP_,comdat
.Lfunc_end296:
	.size	_ZN7rocprim17ROCPRIM_400000_NS6detail17trampoline_kernelINS0_14default_configENS1_27lower_bound_config_selectorItiEEZNS1_14transform_implILb0ES3_S5_N6thrust23THRUST_200600_302600_NS6detail15normal_iteratorINS8_10device_ptrItEEEENSA_INSB_IiEEEEZNS1_13binary_searchIS3_S5_SD_SD_SF_NS1_21lower_bound_search_opENS9_16wrapped_functionINS0_4lessIvEEbEEEE10hipError_tPvRmT1_T2_T3_mmT4_T5_P12ihipStream_tbEUlRKtE_EESM_SQ_SR_mSS_SV_bEUlT_E_NS1_11comp_targetILNS1_3genE10ELNS1_11target_archE1201ELNS1_3gpuE5ELNS1_3repE0EEENS1_30default_config_static_selectorELNS0_4arch9wavefront6targetE0EEEvSP_, .Lfunc_end296-_ZN7rocprim17ROCPRIM_400000_NS6detail17trampoline_kernelINS0_14default_configENS1_27lower_bound_config_selectorItiEEZNS1_14transform_implILb0ES3_S5_N6thrust23THRUST_200600_302600_NS6detail15normal_iteratorINS8_10device_ptrItEEEENSA_INSB_IiEEEEZNS1_13binary_searchIS3_S5_SD_SD_SF_NS1_21lower_bound_search_opENS9_16wrapped_functionINS0_4lessIvEEbEEEE10hipError_tPvRmT1_T2_T3_mmT4_T5_P12ihipStream_tbEUlRKtE_EESM_SQ_SR_mSS_SV_bEUlT_E_NS1_11comp_targetILNS1_3genE10ELNS1_11target_archE1201ELNS1_3gpuE5ELNS1_3repE0EEENS1_30default_config_static_selectorELNS0_4arch9wavefront6targetE0EEEvSP_
                                        ; -- End function
	.section	.AMDGPU.csdata,"",@progbits
; Kernel info:
; codeLenInByte = 0
; NumSgprs: 0
; NumVgprs: 0
; ScratchSize: 0
; MemoryBound: 0
; FloatMode: 240
; IeeeMode: 1
; LDSByteSize: 0 bytes/workgroup (compile time only)
; SGPRBlocks: 0
; VGPRBlocks: 0
; NumSGPRsForWavesPerEU: 1
; NumVGPRsForWavesPerEU: 1
; Occupancy: 16
; WaveLimiterHint : 0
; COMPUTE_PGM_RSRC2:SCRATCH_EN: 0
; COMPUTE_PGM_RSRC2:USER_SGPR: 15
; COMPUTE_PGM_RSRC2:TRAP_HANDLER: 0
; COMPUTE_PGM_RSRC2:TGID_X_EN: 1
; COMPUTE_PGM_RSRC2:TGID_Y_EN: 0
; COMPUTE_PGM_RSRC2:TGID_Z_EN: 0
; COMPUTE_PGM_RSRC2:TIDIG_COMP_CNT: 0
	.section	.text._ZN7rocprim17ROCPRIM_400000_NS6detail17trampoline_kernelINS0_14default_configENS1_27lower_bound_config_selectorItiEEZNS1_14transform_implILb0ES3_S5_N6thrust23THRUST_200600_302600_NS6detail15normal_iteratorINS8_10device_ptrItEEEENSA_INSB_IiEEEEZNS1_13binary_searchIS3_S5_SD_SD_SF_NS1_21lower_bound_search_opENS9_16wrapped_functionINS0_4lessIvEEbEEEE10hipError_tPvRmT1_T2_T3_mmT4_T5_P12ihipStream_tbEUlRKtE_EESM_SQ_SR_mSS_SV_bEUlT_E_NS1_11comp_targetILNS1_3genE10ELNS1_11target_archE1200ELNS1_3gpuE4ELNS1_3repE0EEENS1_30default_config_static_selectorELNS0_4arch9wavefront6targetE0EEEvSP_,"axG",@progbits,_ZN7rocprim17ROCPRIM_400000_NS6detail17trampoline_kernelINS0_14default_configENS1_27lower_bound_config_selectorItiEEZNS1_14transform_implILb0ES3_S5_N6thrust23THRUST_200600_302600_NS6detail15normal_iteratorINS8_10device_ptrItEEEENSA_INSB_IiEEEEZNS1_13binary_searchIS3_S5_SD_SD_SF_NS1_21lower_bound_search_opENS9_16wrapped_functionINS0_4lessIvEEbEEEE10hipError_tPvRmT1_T2_T3_mmT4_T5_P12ihipStream_tbEUlRKtE_EESM_SQ_SR_mSS_SV_bEUlT_E_NS1_11comp_targetILNS1_3genE10ELNS1_11target_archE1200ELNS1_3gpuE4ELNS1_3repE0EEENS1_30default_config_static_selectorELNS0_4arch9wavefront6targetE0EEEvSP_,comdat
	.protected	_ZN7rocprim17ROCPRIM_400000_NS6detail17trampoline_kernelINS0_14default_configENS1_27lower_bound_config_selectorItiEEZNS1_14transform_implILb0ES3_S5_N6thrust23THRUST_200600_302600_NS6detail15normal_iteratorINS8_10device_ptrItEEEENSA_INSB_IiEEEEZNS1_13binary_searchIS3_S5_SD_SD_SF_NS1_21lower_bound_search_opENS9_16wrapped_functionINS0_4lessIvEEbEEEE10hipError_tPvRmT1_T2_T3_mmT4_T5_P12ihipStream_tbEUlRKtE_EESM_SQ_SR_mSS_SV_bEUlT_E_NS1_11comp_targetILNS1_3genE10ELNS1_11target_archE1200ELNS1_3gpuE4ELNS1_3repE0EEENS1_30default_config_static_selectorELNS0_4arch9wavefront6targetE0EEEvSP_ ; -- Begin function _ZN7rocprim17ROCPRIM_400000_NS6detail17trampoline_kernelINS0_14default_configENS1_27lower_bound_config_selectorItiEEZNS1_14transform_implILb0ES3_S5_N6thrust23THRUST_200600_302600_NS6detail15normal_iteratorINS8_10device_ptrItEEEENSA_INSB_IiEEEEZNS1_13binary_searchIS3_S5_SD_SD_SF_NS1_21lower_bound_search_opENS9_16wrapped_functionINS0_4lessIvEEbEEEE10hipError_tPvRmT1_T2_T3_mmT4_T5_P12ihipStream_tbEUlRKtE_EESM_SQ_SR_mSS_SV_bEUlT_E_NS1_11comp_targetILNS1_3genE10ELNS1_11target_archE1200ELNS1_3gpuE4ELNS1_3repE0EEENS1_30default_config_static_selectorELNS0_4arch9wavefront6targetE0EEEvSP_
	.globl	_ZN7rocprim17ROCPRIM_400000_NS6detail17trampoline_kernelINS0_14default_configENS1_27lower_bound_config_selectorItiEEZNS1_14transform_implILb0ES3_S5_N6thrust23THRUST_200600_302600_NS6detail15normal_iteratorINS8_10device_ptrItEEEENSA_INSB_IiEEEEZNS1_13binary_searchIS3_S5_SD_SD_SF_NS1_21lower_bound_search_opENS9_16wrapped_functionINS0_4lessIvEEbEEEE10hipError_tPvRmT1_T2_T3_mmT4_T5_P12ihipStream_tbEUlRKtE_EESM_SQ_SR_mSS_SV_bEUlT_E_NS1_11comp_targetILNS1_3genE10ELNS1_11target_archE1200ELNS1_3gpuE4ELNS1_3repE0EEENS1_30default_config_static_selectorELNS0_4arch9wavefront6targetE0EEEvSP_
	.p2align	8
	.type	_ZN7rocprim17ROCPRIM_400000_NS6detail17trampoline_kernelINS0_14default_configENS1_27lower_bound_config_selectorItiEEZNS1_14transform_implILb0ES3_S5_N6thrust23THRUST_200600_302600_NS6detail15normal_iteratorINS8_10device_ptrItEEEENSA_INSB_IiEEEEZNS1_13binary_searchIS3_S5_SD_SD_SF_NS1_21lower_bound_search_opENS9_16wrapped_functionINS0_4lessIvEEbEEEE10hipError_tPvRmT1_T2_T3_mmT4_T5_P12ihipStream_tbEUlRKtE_EESM_SQ_SR_mSS_SV_bEUlT_E_NS1_11comp_targetILNS1_3genE10ELNS1_11target_archE1200ELNS1_3gpuE4ELNS1_3repE0EEENS1_30default_config_static_selectorELNS0_4arch9wavefront6targetE0EEEvSP_,@function
_ZN7rocprim17ROCPRIM_400000_NS6detail17trampoline_kernelINS0_14default_configENS1_27lower_bound_config_selectorItiEEZNS1_14transform_implILb0ES3_S5_N6thrust23THRUST_200600_302600_NS6detail15normal_iteratorINS8_10device_ptrItEEEENSA_INSB_IiEEEEZNS1_13binary_searchIS3_S5_SD_SD_SF_NS1_21lower_bound_search_opENS9_16wrapped_functionINS0_4lessIvEEbEEEE10hipError_tPvRmT1_T2_T3_mmT4_T5_P12ihipStream_tbEUlRKtE_EESM_SQ_SR_mSS_SV_bEUlT_E_NS1_11comp_targetILNS1_3genE10ELNS1_11target_archE1200ELNS1_3gpuE4ELNS1_3repE0EEENS1_30default_config_static_selectorELNS0_4arch9wavefront6targetE0EEEvSP_: ; @_ZN7rocprim17ROCPRIM_400000_NS6detail17trampoline_kernelINS0_14default_configENS1_27lower_bound_config_selectorItiEEZNS1_14transform_implILb0ES3_S5_N6thrust23THRUST_200600_302600_NS6detail15normal_iteratorINS8_10device_ptrItEEEENSA_INSB_IiEEEEZNS1_13binary_searchIS3_S5_SD_SD_SF_NS1_21lower_bound_search_opENS9_16wrapped_functionINS0_4lessIvEEbEEEE10hipError_tPvRmT1_T2_T3_mmT4_T5_P12ihipStream_tbEUlRKtE_EESM_SQ_SR_mSS_SV_bEUlT_E_NS1_11comp_targetILNS1_3genE10ELNS1_11target_archE1200ELNS1_3gpuE4ELNS1_3repE0EEENS1_30default_config_static_selectorELNS0_4arch9wavefront6targetE0EEEvSP_
; %bb.0:
	.section	.rodata,"a",@progbits
	.p2align	6, 0x0
	.amdhsa_kernel _ZN7rocprim17ROCPRIM_400000_NS6detail17trampoline_kernelINS0_14default_configENS1_27lower_bound_config_selectorItiEEZNS1_14transform_implILb0ES3_S5_N6thrust23THRUST_200600_302600_NS6detail15normal_iteratorINS8_10device_ptrItEEEENSA_INSB_IiEEEEZNS1_13binary_searchIS3_S5_SD_SD_SF_NS1_21lower_bound_search_opENS9_16wrapped_functionINS0_4lessIvEEbEEEE10hipError_tPvRmT1_T2_T3_mmT4_T5_P12ihipStream_tbEUlRKtE_EESM_SQ_SR_mSS_SV_bEUlT_E_NS1_11comp_targetILNS1_3genE10ELNS1_11target_archE1200ELNS1_3gpuE4ELNS1_3repE0EEENS1_30default_config_static_selectorELNS0_4arch9wavefront6targetE0EEEvSP_
		.amdhsa_group_segment_fixed_size 0
		.amdhsa_private_segment_fixed_size 0
		.amdhsa_kernarg_size 56
		.amdhsa_user_sgpr_count 15
		.amdhsa_user_sgpr_dispatch_ptr 0
		.amdhsa_user_sgpr_queue_ptr 0
		.amdhsa_user_sgpr_kernarg_segment_ptr 1
		.amdhsa_user_sgpr_dispatch_id 0
		.amdhsa_user_sgpr_private_segment_size 0
		.amdhsa_wavefront_size32 1
		.amdhsa_uses_dynamic_stack 0
		.amdhsa_enable_private_segment 0
		.amdhsa_system_sgpr_workgroup_id_x 1
		.amdhsa_system_sgpr_workgroup_id_y 0
		.amdhsa_system_sgpr_workgroup_id_z 0
		.amdhsa_system_sgpr_workgroup_info 0
		.amdhsa_system_vgpr_workitem_id 0
		.amdhsa_next_free_vgpr 1
		.amdhsa_next_free_sgpr 1
		.amdhsa_reserve_vcc 0
		.amdhsa_float_round_mode_32 0
		.amdhsa_float_round_mode_16_64 0
		.amdhsa_float_denorm_mode_32 3
		.amdhsa_float_denorm_mode_16_64 3
		.amdhsa_dx10_clamp 1
		.amdhsa_ieee_mode 1
		.amdhsa_fp16_overflow 0
		.amdhsa_workgroup_processor_mode 1
		.amdhsa_memory_ordered 1
		.amdhsa_forward_progress 0
		.amdhsa_shared_vgpr_count 0
		.amdhsa_exception_fp_ieee_invalid_op 0
		.amdhsa_exception_fp_denorm_src 0
		.amdhsa_exception_fp_ieee_div_zero 0
		.amdhsa_exception_fp_ieee_overflow 0
		.amdhsa_exception_fp_ieee_underflow 0
		.amdhsa_exception_fp_ieee_inexact 0
		.amdhsa_exception_int_div_zero 0
	.end_amdhsa_kernel
	.section	.text._ZN7rocprim17ROCPRIM_400000_NS6detail17trampoline_kernelINS0_14default_configENS1_27lower_bound_config_selectorItiEEZNS1_14transform_implILb0ES3_S5_N6thrust23THRUST_200600_302600_NS6detail15normal_iteratorINS8_10device_ptrItEEEENSA_INSB_IiEEEEZNS1_13binary_searchIS3_S5_SD_SD_SF_NS1_21lower_bound_search_opENS9_16wrapped_functionINS0_4lessIvEEbEEEE10hipError_tPvRmT1_T2_T3_mmT4_T5_P12ihipStream_tbEUlRKtE_EESM_SQ_SR_mSS_SV_bEUlT_E_NS1_11comp_targetILNS1_3genE10ELNS1_11target_archE1200ELNS1_3gpuE4ELNS1_3repE0EEENS1_30default_config_static_selectorELNS0_4arch9wavefront6targetE0EEEvSP_,"axG",@progbits,_ZN7rocprim17ROCPRIM_400000_NS6detail17trampoline_kernelINS0_14default_configENS1_27lower_bound_config_selectorItiEEZNS1_14transform_implILb0ES3_S5_N6thrust23THRUST_200600_302600_NS6detail15normal_iteratorINS8_10device_ptrItEEEENSA_INSB_IiEEEEZNS1_13binary_searchIS3_S5_SD_SD_SF_NS1_21lower_bound_search_opENS9_16wrapped_functionINS0_4lessIvEEbEEEE10hipError_tPvRmT1_T2_T3_mmT4_T5_P12ihipStream_tbEUlRKtE_EESM_SQ_SR_mSS_SV_bEUlT_E_NS1_11comp_targetILNS1_3genE10ELNS1_11target_archE1200ELNS1_3gpuE4ELNS1_3repE0EEENS1_30default_config_static_selectorELNS0_4arch9wavefront6targetE0EEEvSP_,comdat
.Lfunc_end297:
	.size	_ZN7rocprim17ROCPRIM_400000_NS6detail17trampoline_kernelINS0_14default_configENS1_27lower_bound_config_selectorItiEEZNS1_14transform_implILb0ES3_S5_N6thrust23THRUST_200600_302600_NS6detail15normal_iteratorINS8_10device_ptrItEEEENSA_INSB_IiEEEEZNS1_13binary_searchIS3_S5_SD_SD_SF_NS1_21lower_bound_search_opENS9_16wrapped_functionINS0_4lessIvEEbEEEE10hipError_tPvRmT1_T2_T3_mmT4_T5_P12ihipStream_tbEUlRKtE_EESM_SQ_SR_mSS_SV_bEUlT_E_NS1_11comp_targetILNS1_3genE10ELNS1_11target_archE1200ELNS1_3gpuE4ELNS1_3repE0EEENS1_30default_config_static_selectorELNS0_4arch9wavefront6targetE0EEEvSP_, .Lfunc_end297-_ZN7rocprim17ROCPRIM_400000_NS6detail17trampoline_kernelINS0_14default_configENS1_27lower_bound_config_selectorItiEEZNS1_14transform_implILb0ES3_S5_N6thrust23THRUST_200600_302600_NS6detail15normal_iteratorINS8_10device_ptrItEEEENSA_INSB_IiEEEEZNS1_13binary_searchIS3_S5_SD_SD_SF_NS1_21lower_bound_search_opENS9_16wrapped_functionINS0_4lessIvEEbEEEE10hipError_tPvRmT1_T2_T3_mmT4_T5_P12ihipStream_tbEUlRKtE_EESM_SQ_SR_mSS_SV_bEUlT_E_NS1_11comp_targetILNS1_3genE10ELNS1_11target_archE1200ELNS1_3gpuE4ELNS1_3repE0EEENS1_30default_config_static_selectorELNS0_4arch9wavefront6targetE0EEEvSP_
                                        ; -- End function
	.section	.AMDGPU.csdata,"",@progbits
; Kernel info:
; codeLenInByte = 0
; NumSgprs: 0
; NumVgprs: 0
; ScratchSize: 0
; MemoryBound: 0
; FloatMode: 240
; IeeeMode: 1
; LDSByteSize: 0 bytes/workgroup (compile time only)
; SGPRBlocks: 0
; VGPRBlocks: 0
; NumSGPRsForWavesPerEU: 1
; NumVGPRsForWavesPerEU: 1
; Occupancy: 16
; WaveLimiterHint : 0
; COMPUTE_PGM_RSRC2:SCRATCH_EN: 0
; COMPUTE_PGM_RSRC2:USER_SGPR: 15
; COMPUTE_PGM_RSRC2:TRAP_HANDLER: 0
; COMPUTE_PGM_RSRC2:TGID_X_EN: 1
; COMPUTE_PGM_RSRC2:TGID_Y_EN: 0
; COMPUTE_PGM_RSRC2:TGID_Z_EN: 0
; COMPUTE_PGM_RSRC2:TIDIG_COMP_CNT: 0
	.section	.text._ZN7rocprim17ROCPRIM_400000_NS6detail17trampoline_kernelINS0_14default_configENS1_27lower_bound_config_selectorItiEEZNS1_14transform_implILb0ES3_S5_N6thrust23THRUST_200600_302600_NS6detail15normal_iteratorINS8_10device_ptrItEEEENSA_INSB_IiEEEEZNS1_13binary_searchIS3_S5_SD_SD_SF_NS1_21lower_bound_search_opENS9_16wrapped_functionINS0_4lessIvEEbEEEE10hipError_tPvRmT1_T2_T3_mmT4_T5_P12ihipStream_tbEUlRKtE_EESM_SQ_SR_mSS_SV_bEUlT_E_NS1_11comp_targetILNS1_3genE9ELNS1_11target_archE1100ELNS1_3gpuE3ELNS1_3repE0EEENS1_30default_config_static_selectorELNS0_4arch9wavefront6targetE0EEEvSP_,"axG",@progbits,_ZN7rocprim17ROCPRIM_400000_NS6detail17trampoline_kernelINS0_14default_configENS1_27lower_bound_config_selectorItiEEZNS1_14transform_implILb0ES3_S5_N6thrust23THRUST_200600_302600_NS6detail15normal_iteratorINS8_10device_ptrItEEEENSA_INSB_IiEEEEZNS1_13binary_searchIS3_S5_SD_SD_SF_NS1_21lower_bound_search_opENS9_16wrapped_functionINS0_4lessIvEEbEEEE10hipError_tPvRmT1_T2_T3_mmT4_T5_P12ihipStream_tbEUlRKtE_EESM_SQ_SR_mSS_SV_bEUlT_E_NS1_11comp_targetILNS1_3genE9ELNS1_11target_archE1100ELNS1_3gpuE3ELNS1_3repE0EEENS1_30default_config_static_selectorELNS0_4arch9wavefront6targetE0EEEvSP_,comdat
	.protected	_ZN7rocprim17ROCPRIM_400000_NS6detail17trampoline_kernelINS0_14default_configENS1_27lower_bound_config_selectorItiEEZNS1_14transform_implILb0ES3_S5_N6thrust23THRUST_200600_302600_NS6detail15normal_iteratorINS8_10device_ptrItEEEENSA_INSB_IiEEEEZNS1_13binary_searchIS3_S5_SD_SD_SF_NS1_21lower_bound_search_opENS9_16wrapped_functionINS0_4lessIvEEbEEEE10hipError_tPvRmT1_T2_T3_mmT4_T5_P12ihipStream_tbEUlRKtE_EESM_SQ_SR_mSS_SV_bEUlT_E_NS1_11comp_targetILNS1_3genE9ELNS1_11target_archE1100ELNS1_3gpuE3ELNS1_3repE0EEENS1_30default_config_static_selectorELNS0_4arch9wavefront6targetE0EEEvSP_ ; -- Begin function _ZN7rocprim17ROCPRIM_400000_NS6detail17trampoline_kernelINS0_14default_configENS1_27lower_bound_config_selectorItiEEZNS1_14transform_implILb0ES3_S5_N6thrust23THRUST_200600_302600_NS6detail15normal_iteratorINS8_10device_ptrItEEEENSA_INSB_IiEEEEZNS1_13binary_searchIS3_S5_SD_SD_SF_NS1_21lower_bound_search_opENS9_16wrapped_functionINS0_4lessIvEEbEEEE10hipError_tPvRmT1_T2_T3_mmT4_T5_P12ihipStream_tbEUlRKtE_EESM_SQ_SR_mSS_SV_bEUlT_E_NS1_11comp_targetILNS1_3genE9ELNS1_11target_archE1100ELNS1_3gpuE3ELNS1_3repE0EEENS1_30default_config_static_selectorELNS0_4arch9wavefront6targetE0EEEvSP_
	.globl	_ZN7rocprim17ROCPRIM_400000_NS6detail17trampoline_kernelINS0_14default_configENS1_27lower_bound_config_selectorItiEEZNS1_14transform_implILb0ES3_S5_N6thrust23THRUST_200600_302600_NS6detail15normal_iteratorINS8_10device_ptrItEEEENSA_INSB_IiEEEEZNS1_13binary_searchIS3_S5_SD_SD_SF_NS1_21lower_bound_search_opENS9_16wrapped_functionINS0_4lessIvEEbEEEE10hipError_tPvRmT1_T2_T3_mmT4_T5_P12ihipStream_tbEUlRKtE_EESM_SQ_SR_mSS_SV_bEUlT_E_NS1_11comp_targetILNS1_3genE9ELNS1_11target_archE1100ELNS1_3gpuE3ELNS1_3repE0EEENS1_30default_config_static_selectorELNS0_4arch9wavefront6targetE0EEEvSP_
	.p2align	8
	.type	_ZN7rocprim17ROCPRIM_400000_NS6detail17trampoline_kernelINS0_14default_configENS1_27lower_bound_config_selectorItiEEZNS1_14transform_implILb0ES3_S5_N6thrust23THRUST_200600_302600_NS6detail15normal_iteratorINS8_10device_ptrItEEEENSA_INSB_IiEEEEZNS1_13binary_searchIS3_S5_SD_SD_SF_NS1_21lower_bound_search_opENS9_16wrapped_functionINS0_4lessIvEEbEEEE10hipError_tPvRmT1_T2_T3_mmT4_T5_P12ihipStream_tbEUlRKtE_EESM_SQ_SR_mSS_SV_bEUlT_E_NS1_11comp_targetILNS1_3genE9ELNS1_11target_archE1100ELNS1_3gpuE3ELNS1_3repE0EEENS1_30default_config_static_selectorELNS0_4arch9wavefront6targetE0EEEvSP_,@function
_ZN7rocprim17ROCPRIM_400000_NS6detail17trampoline_kernelINS0_14default_configENS1_27lower_bound_config_selectorItiEEZNS1_14transform_implILb0ES3_S5_N6thrust23THRUST_200600_302600_NS6detail15normal_iteratorINS8_10device_ptrItEEEENSA_INSB_IiEEEEZNS1_13binary_searchIS3_S5_SD_SD_SF_NS1_21lower_bound_search_opENS9_16wrapped_functionINS0_4lessIvEEbEEEE10hipError_tPvRmT1_T2_T3_mmT4_T5_P12ihipStream_tbEUlRKtE_EESM_SQ_SR_mSS_SV_bEUlT_E_NS1_11comp_targetILNS1_3genE9ELNS1_11target_archE1100ELNS1_3gpuE3ELNS1_3repE0EEENS1_30default_config_static_selectorELNS0_4arch9wavefront6targetE0EEEvSP_: ; @_ZN7rocprim17ROCPRIM_400000_NS6detail17trampoline_kernelINS0_14default_configENS1_27lower_bound_config_selectorItiEEZNS1_14transform_implILb0ES3_S5_N6thrust23THRUST_200600_302600_NS6detail15normal_iteratorINS8_10device_ptrItEEEENSA_INSB_IiEEEEZNS1_13binary_searchIS3_S5_SD_SD_SF_NS1_21lower_bound_search_opENS9_16wrapped_functionINS0_4lessIvEEbEEEE10hipError_tPvRmT1_T2_T3_mmT4_T5_P12ihipStream_tbEUlRKtE_EESM_SQ_SR_mSS_SV_bEUlT_E_NS1_11comp_targetILNS1_3genE9ELNS1_11target_archE1100ELNS1_3gpuE3ELNS1_3repE0EEENS1_30default_config_static_selectorELNS0_4arch9wavefront6targetE0EEEvSP_
; %bb.0:
	s_clause 0x2
	s_load_b256 s[4:11], s[0:1], 0x0
	s_load_b32 s2, s[0:1], 0x38
	s_load_b128 s[16:19], s[0:1], 0x20
	s_waitcnt lgkmcnt(0)
	s_lshl_b64 s[0:1], s[6:7], 1
	s_delay_alu instid0(SALU_CYCLE_1) | instskip(SKIP_2) | instid1(SALU_CYCLE_1)
	s_add_u32 s3, s4, s0
	s_addc_u32 s4, s5, s1
	s_lshl_b64 s[0:1], s[6:7], 2
	s_add_u32 s7, s10, s0
	s_addc_u32 s9, s11, s1
	s_lshl_b32 s10, s15, 9
	s_mov_b32 s11, 0
	s_add_i32 s2, s2, -1
	s_lshl_b64 s[0:1], s[10:11], 1
	s_delay_alu instid0(SALU_CYCLE_1)
	s_add_u32 s12, s3, s0
	s_addc_u32 s13, s4, s1
	s_cmp_lg_u32 s15, s2
	s_mov_b32 s0, -1
	s_cbranch_scc0 .LBB298_26
; %bb.1:
	v_lshlrev_b32_e32 v1, 1, v0
	s_cmp_lg_u64 s[18:19], 0
	s_mov_b32 s1, 0
	s_delay_alu instid0(VALU_DEP_1) | instskip(NEXT) | instid1(VALU_DEP_1)
	v_add_co_u32 v1, s0, s12, v1
	v_add_co_ci_u32_e64 v2, null, s13, 0, s0
	s_cselect_b32 s0, -1, 0
	s_cmp_eq_u64 s[18:19], 0
	s_clause 0x6
	flat_load_u16 v6, v[1:2] offset:128
	flat_load_u16 v7, v[1:2] offset:256
	;; [unrolled: 1-line block ×7, first 2 shown]
	s_cbranch_scc1 .LBB298_27
; %bb.2:
	flat_load_u16 v5, v[1:2]
	v_mov_b32_e32 v1, 0
	v_dual_mov_b32 v2, 0 :: v_dual_mov_b32 v3, s18
	v_mov_b32_e32 v4, s19
	.p2align	6
.LBB298_3:                              ; =>This Inner Loop Header: Depth=1
	s_delay_alu instid0(VALU_DEP_2) | instskip(NEXT) | instid1(VALU_DEP_2)
	v_sub_co_u32 v14, vcc_lo, v3, v1
	v_sub_co_ci_u32_e32 v15, vcc_lo, v4, v2, vcc_lo
	s_delay_alu instid0(VALU_DEP_1) | instskip(SKIP_1) | instid1(VALU_DEP_2)
	v_lshrrev_b64 v[16:17], 1, v[14:15]
	v_lshrrev_b64 v[14:15], 6, v[14:15]
	v_add_co_u32 v12, vcc_lo, v16, v1
	s_delay_alu instid0(VALU_DEP_3) | instskip(NEXT) | instid1(VALU_DEP_2)
	v_add_co_ci_u32_e32 v16, vcc_lo, v17, v2, vcc_lo
	v_add_co_u32 v14, vcc_lo, v12, v14
	s_delay_alu instid0(VALU_DEP_2) | instskip(NEXT) | instid1(VALU_DEP_1)
	v_add_co_ci_u32_e32 v15, vcc_lo, v16, v15, vcc_lo
	v_lshlrev_b64 v[16:17], 1, v[14:15]
	s_delay_alu instid0(VALU_DEP_1) | instskip(NEXT) | instid1(VALU_DEP_2)
	v_add_co_u32 v16, vcc_lo, s16, v16
	v_add_co_ci_u32_e32 v17, vcc_lo, s17, v17, vcc_lo
	global_load_u16 v12, v[16:17], off
	v_add_co_u32 v16, vcc_lo, v14, 1
	v_add_co_ci_u32_e32 v17, vcc_lo, 0, v15, vcc_lo
	s_waitcnt vmcnt(0) lgkmcnt(0)
	v_cmp_lt_u16_e32 vcc_lo, v12, v5
	v_dual_cndmask_b32 v4, v15, v4 :: v_dual_cndmask_b32 v3, v14, v3
	s_delay_alu instid0(VALU_DEP_3) | instskip(NEXT) | instid1(VALU_DEP_1)
	v_dual_cndmask_b32 v2, v2, v17 :: v_dual_cndmask_b32 v1, v1, v16
	v_cmp_ge_u64_e32 vcc_lo, v[1:2], v[3:4]
	s_or_b32 s1, vcc_lo, s1
	s_delay_alu instid0(SALU_CYCLE_1)
	s_and_not1_b32 exec_lo, exec_lo, s1
	s_cbranch_execnz .LBB298_3
; %bb.4:
	s_or_b32 exec_lo, exec_lo, s1
	v_cndmask_b32_e64 v12, 0, 1, s0
	s_and_not1_b32 vcc_lo, exec_lo, s0
	s_cbranch_vccnz .LBB298_28
.LBB298_5:
	v_mov_b32_e32 v2, 0
	v_dual_mov_b32 v3, 0 :: v_dual_mov_b32 v4, s18
	v_mov_b32_e32 v5, s19
	s_mov_b32 s0, 0
	.p2align	6
.LBB298_6:                              ; =>This Inner Loop Header: Depth=1
	s_delay_alu instid0(VALU_DEP_2) | instskip(NEXT) | instid1(VALU_DEP_2)
	v_sub_co_u32 v14, vcc_lo, v4, v2
	v_sub_co_ci_u32_e32 v15, vcc_lo, v5, v3, vcc_lo
	s_delay_alu instid0(VALU_DEP_1) | instskip(SKIP_1) | instid1(VALU_DEP_2)
	v_lshrrev_b64 v[16:17], 1, v[14:15]
	v_lshrrev_b64 v[14:15], 6, v[14:15]
	v_add_co_u32 v16, vcc_lo, v16, v2
	s_delay_alu instid0(VALU_DEP_3) | instskip(NEXT) | instid1(VALU_DEP_2)
	v_add_co_ci_u32_e32 v17, vcc_lo, v17, v3, vcc_lo
	v_add_co_u32 v14, vcc_lo, v16, v14
	s_delay_alu instid0(VALU_DEP_2) | instskip(NEXT) | instid1(VALU_DEP_1)
	v_add_co_ci_u32_e32 v15, vcc_lo, v17, v15, vcc_lo
	v_lshlrev_b64 v[16:17], 1, v[14:15]
	s_delay_alu instid0(VALU_DEP_1) | instskip(NEXT) | instid1(VALU_DEP_2)
	v_add_co_u32 v16, vcc_lo, s16, v16
	v_add_co_ci_u32_e32 v17, vcc_lo, s17, v17, vcc_lo
	global_load_u16 v16, v[16:17], off
	v_add_co_u32 v17, vcc_lo, v14, 1
	v_add_co_ci_u32_e32 v18, vcc_lo, 0, v15, vcc_lo
	s_waitcnt vmcnt(0) lgkmcnt(6)
	v_cmp_lt_u16_e32 vcc_lo, v16, v6
	v_dual_cndmask_b32 v5, v15, v5 :: v_dual_cndmask_b32 v4, v14, v4
	s_delay_alu instid0(VALU_DEP_3) | instskip(NEXT) | instid1(VALU_DEP_1)
	v_dual_cndmask_b32 v3, v3, v18 :: v_dual_cndmask_b32 v2, v2, v17
	v_cmp_ge_u64_e32 vcc_lo, v[2:3], v[4:5]
	s_or_b32 s0, vcc_lo, s0
	s_delay_alu instid0(SALU_CYCLE_1)
	s_and_not1_b32 exec_lo, exec_lo, s0
	s_cbranch_execnz .LBB298_6
; %bb.7:
	s_or_b32 exec_lo, exec_lo, s0
	v_cmp_ne_u32_e32 vcc_lo, 1, v12
	s_cbranch_vccnz .LBB298_29
.LBB298_8:
	v_mov_b32_e32 v3, 0
	s_waitcnt vmcnt(6) lgkmcnt(6)
	v_dual_mov_b32 v4, 0 :: v_dual_mov_b32 v5, s18
	v_mov_b32_e32 v6, s19
	s_mov_b32 s0, 0
	.p2align	6
.LBB298_9:                              ; =>This Inner Loop Header: Depth=1
	s_delay_alu instid0(VALU_DEP_2) | instskip(NEXT) | instid1(VALU_DEP_2)
	v_sub_co_u32 v14, vcc_lo, v5, v3
	v_sub_co_ci_u32_e32 v15, vcc_lo, v6, v4, vcc_lo
	s_delay_alu instid0(VALU_DEP_1) | instskip(SKIP_1) | instid1(VALU_DEP_2)
	v_lshrrev_b64 v[16:17], 1, v[14:15]
	v_lshrrev_b64 v[14:15], 6, v[14:15]
	v_add_co_u32 v16, vcc_lo, v16, v3
	s_delay_alu instid0(VALU_DEP_3) | instskip(NEXT) | instid1(VALU_DEP_2)
	v_add_co_ci_u32_e32 v17, vcc_lo, v17, v4, vcc_lo
	v_add_co_u32 v14, vcc_lo, v16, v14
	s_delay_alu instid0(VALU_DEP_2) | instskip(NEXT) | instid1(VALU_DEP_1)
	v_add_co_ci_u32_e32 v15, vcc_lo, v17, v15, vcc_lo
	v_lshlrev_b64 v[16:17], 1, v[14:15]
	s_delay_alu instid0(VALU_DEP_1) | instskip(NEXT) | instid1(VALU_DEP_2)
	v_add_co_u32 v16, vcc_lo, s16, v16
	v_add_co_ci_u32_e32 v17, vcc_lo, s17, v17, vcc_lo
	global_load_u16 v16, v[16:17], off
	v_add_co_u32 v17, vcc_lo, v14, 1
	v_add_co_ci_u32_e32 v18, vcc_lo, 0, v15, vcc_lo
	s_waitcnt vmcnt(0) lgkmcnt(5)
	v_cmp_lt_u16_e32 vcc_lo, v16, v7
	v_dual_cndmask_b32 v6, v15, v6 :: v_dual_cndmask_b32 v5, v14, v5
	s_delay_alu instid0(VALU_DEP_3) | instskip(NEXT) | instid1(VALU_DEP_1)
	v_dual_cndmask_b32 v4, v4, v18 :: v_dual_cndmask_b32 v3, v3, v17
	v_cmp_ge_u64_e32 vcc_lo, v[3:4], v[5:6]
	s_or_b32 s0, vcc_lo, s0
	s_delay_alu instid0(SALU_CYCLE_1)
	s_and_not1_b32 exec_lo, exec_lo, s0
	s_cbranch_execnz .LBB298_9
; %bb.10:
	s_or_b32 exec_lo, exec_lo, s0
	v_cmp_ne_u32_e32 vcc_lo, 1, v12
	s_cbranch_vccnz .LBB298_30
.LBB298_11:
	v_mov_b32_e32 v4, 0
	s_waitcnt vmcnt(5) lgkmcnt(5)
	v_dual_mov_b32 v5, 0 :: v_dual_mov_b32 v6, s18
	v_mov_b32_e32 v7, s19
	s_mov_b32 s0, 0
	.p2align	6
.LBB298_12:                             ; =>This Inner Loop Header: Depth=1
	s_delay_alu instid0(VALU_DEP_2) | instskip(NEXT) | instid1(VALU_DEP_2)
	v_sub_co_u32 v14, vcc_lo, v6, v4
	v_sub_co_ci_u32_e32 v15, vcc_lo, v7, v5, vcc_lo
	s_delay_alu instid0(VALU_DEP_1) | instskip(SKIP_1) | instid1(VALU_DEP_2)
	v_lshrrev_b64 v[16:17], 1, v[14:15]
	v_lshrrev_b64 v[14:15], 6, v[14:15]
	v_add_co_u32 v16, vcc_lo, v16, v4
	s_delay_alu instid0(VALU_DEP_3) | instskip(NEXT) | instid1(VALU_DEP_2)
	v_add_co_ci_u32_e32 v17, vcc_lo, v17, v5, vcc_lo
	v_add_co_u32 v14, vcc_lo, v16, v14
	s_delay_alu instid0(VALU_DEP_2) | instskip(NEXT) | instid1(VALU_DEP_1)
	v_add_co_ci_u32_e32 v15, vcc_lo, v17, v15, vcc_lo
	v_lshlrev_b64 v[16:17], 1, v[14:15]
	s_delay_alu instid0(VALU_DEP_1) | instskip(NEXT) | instid1(VALU_DEP_2)
	v_add_co_u32 v16, vcc_lo, s16, v16
	v_add_co_ci_u32_e32 v17, vcc_lo, s17, v17, vcc_lo
	global_load_u16 v16, v[16:17], off
	v_add_co_u32 v17, vcc_lo, v14, 1
	v_add_co_ci_u32_e32 v18, vcc_lo, 0, v15, vcc_lo
	s_waitcnt vmcnt(0) lgkmcnt(4)
	v_cmp_lt_u16_e32 vcc_lo, v16, v8
	v_dual_cndmask_b32 v7, v15, v7 :: v_dual_cndmask_b32 v6, v14, v6
	s_delay_alu instid0(VALU_DEP_3) | instskip(NEXT) | instid1(VALU_DEP_1)
	v_dual_cndmask_b32 v5, v5, v18 :: v_dual_cndmask_b32 v4, v4, v17
	v_cmp_ge_u64_e32 vcc_lo, v[4:5], v[6:7]
	s_or_b32 s0, vcc_lo, s0
	s_delay_alu instid0(SALU_CYCLE_1)
	s_and_not1_b32 exec_lo, exec_lo, s0
	s_cbranch_execnz .LBB298_12
; %bb.13:
	s_or_b32 exec_lo, exec_lo, s0
	v_cmp_ne_u32_e32 vcc_lo, 1, v12
	s_cbranch_vccnz .LBB298_31
.LBB298_14:
	s_waitcnt vmcnt(6) lgkmcnt(6)
	v_mov_b32_e32 v5, 0
	s_waitcnt vmcnt(4) lgkmcnt(4)
	v_dual_mov_b32 v6, 0 :: v_dual_mov_b32 v7, s18
	v_mov_b32_e32 v8, s19
	s_mov_b32 s0, 0
	.p2align	6
.LBB298_15:                             ; =>This Inner Loop Header: Depth=1
	s_delay_alu instid0(VALU_DEP_2) | instskip(NEXT) | instid1(VALU_DEP_2)
	v_sub_co_u32 v14, vcc_lo, v7, v5
	v_sub_co_ci_u32_e32 v15, vcc_lo, v8, v6, vcc_lo
	s_delay_alu instid0(VALU_DEP_1) | instskip(SKIP_1) | instid1(VALU_DEP_2)
	v_lshrrev_b64 v[16:17], 1, v[14:15]
	v_lshrrev_b64 v[14:15], 6, v[14:15]
	v_add_co_u32 v16, vcc_lo, v16, v5
	s_delay_alu instid0(VALU_DEP_3) | instskip(NEXT) | instid1(VALU_DEP_2)
	v_add_co_ci_u32_e32 v17, vcc_lo, v17, v6, vcc_lo
	v_add_co_u32 v14, vcc_lo, v16, v14
	s_delay_alu instid0(VALU_DEP_2) | instskip(NEXT) | instid1(VALU_DEP_1)
	v_add_co_ci_u32_e32 v15, vcc_lo, v17, v15, vcc_lo
	v_lshlrev_b64 v[16:17], 1, v[14:15]
	s_delay_alu instid0(VALU_DEP_1) | instskip(NEXT) | instid1(VALU_DEP_2)
	v_add_co_u32 v16, vcc_lo, s16, v16
	v_add_co_ci_u32_e32 v17, vcc_lo, s17, v17, vcc_lo
	global_load_u16 v16, v[16:17], off
	v_add_co_u32 v17, vcc_lo, v14, 1
	v_add_co_ci_u32_e32 v18, vcc_lo, 0, v15, vcc_lo
	s_waitcnt vmcnt(0) lgkmcnt(3)
	v_cmp_lt_u16_e32 vcc_lo, v16, v9
	v_dual_cndmask_b32 v8, v15, v8 :: v_dual_cndmask_b32 v7, v14, v7
	s_delay_alu instid0(VALU_DEP_3) | instskip(NEXT) | instid1(VALU_DEP_1)
	v_dual_cndmask_b32 v6, v6, v18 :: v_dual_cndmask_b32 v5, v5, v17
	v_cmp_ge_u64_e32 vcc_lo, v[5:6], v[7:8]
	s_or_b32 s0, vcc_lo, s0
	s_delay_alu instid0(SALU_CYCLE_1)
	s_and_not1_b32 exec_lo, exec_lo, s0
	s_cbranch_execnz .LBB298_15
; %bb.16:
	s_or_b32 exec_lo, exec_lo, s0
	v_cmp_ne_u32_e32 vcc_lo, 1, v12
	s_cbranch_vccnz .LBB298_32
.LBB298_17:
	s_waitcnt vmcnt(5) lgkmcnt(5)
	v_mov_b32_e32 v6, 0
	s_waitcnt vmcnt(3) lgkmcnt(3)
	v_dual_mov_b32 v7, 0 :: v_dual_mov_b32 v8, s18
	v_mov_b32_e32 v9, s19
	s_mov_b32 s0, 0
	.p2align	6
.LBB298_18:                             ; =>This Inner Loop Header: Depth=1
	s_delay_alu instid0(VALU_DEP_2) | instskip(NEXT) | instid1(VALU_DEP_2)
	v_sub_co_u32 v14, vcc_lo, v8, v6
	v_sub_co_ci_u32_e32 v15, vcc_lo, v9, v7, vcc_lo
	s_delay_alu instid0(VALU_DEP_1) | instskip(SKIP_1) | instid1(VALU_DEP_2)
	v_lshrrev_b64 v[16:17], 1, v[14:15]
	v_lshrrev_b64 v[14:15], 6, v[14:15]
	v_add_co_u32 v16, vcc_lo, v16, v6
	s_delay_alu instid0(VALU_DEP_3) | instskip(NEXT) | instid1(VALU_DEP_2)
	v_add_co_ci_u32_e32 v17, vcc_lo, v17, v7, vcc_lo
	v_add_co_u32 v14, vcc_lo, v16, v14
	s_delay_alu instid0(VALU_DEP_2) | instskip(NEXT) | instid1(VALU_DEP_1)
	v_add_co_ci_u32_e32 v15, vcc_lo, v17, v15, vcc_lo
	v_lshlrev_b64 v[16:17], 1, v[14:15]
	s_delay_alu instid0(VALU_DEP_1) | instskip(NEXT) | instid1(VALU_DEP_2)
	v_add_co_u32 v16, vcc_lo, s16, v16
	v_add_co_ci_u32_e32 v17, vcc_lo, s17, v17, vcc_lo
	global_load_u16 v16, v[16:17], off
	v_add_co_u32 v17, vcc_lo, v14, 1
	v_add_co_ci_u32_e32 v18, vcc_lo, 0, v15, vcc_lo
	s_waitcnt vmcnt(0) lgkmcnt(2)
	v_cmp_lt_u16_e32 vcc_lo, v16, v10
	v_dual_cndmask_b32 v9, v15, v9 :: v_dual_cndmask_b32 v8, v14, v8
	s_delay_alu instid0(VALU_DEP_3) | instskip(NEXT) | instid1(VALU_DEP_1)
	v_dual_cndmask_b32 v7, v7, v18 :: v_dual_cndmask_b32 v6, v6, v17
	v_cmp_ge_u64_e32 vcc_lo, v[6:7], v[8:9]
	s_or_b32 s0, vcc_lo, s0
	s_delay_alu instid0(SALU_CYCLE_1)
	s_and_not1_b32 exec_lo, exec_lo, s0
	s_cbranch_execnz .LBB298_18
; %bb.19:
	s_or_b32 exec_lo, exec_lo, s0
	v_cmp_ne_u32_e32 vcc_lo, 1, v12
	s_cbranch_vccnz .LBB298_33
.LBB298_20:
	s_waitcnt vmcnt(4) lgkmcnt(4)
	v_mov_b32_e32 v7, 0
	s_waitcnt vmcnt(2) lgkmcnt(2)
	v_dual_mov_b32 v8, 0 :: v_dual_mov_b32 v9, s18
	v_mov_b32_e32 v10, s19
	s_mov_b32 s0, 0
	.p2align	6
.LBB298_21:                             ; =>This Inner Loop Header: Depth=1
	s_delay_alu instid0(VALU_DEP_2) | instskip(NEXT) | instid1(VALU_DEP_2)
	v_sub_co_u32 v14, vcc_lo, v9, v7
	v_sub_co_ci_u32_e32 v15, vcc_lo, v10, v8, vcc_lo
	s_delay_alu instid0(VALU_DEP_1) | instskip(SKIP_1) | instid1(VALU_DEP_2)
	v_lshrrev_b64 v[16:17], 1, v[14:15]
	v_lshrrev_b64 v[14:15], 6, v[14:15]
	v_add_co_u32 v16, vcc_lo, v16, v7
	s_delay_alu instid0(VALU_DEP_3) | instskip(NEXT) | instid1(VALU_DEP_2)
	v_add_co_ci_u32_e32 v17, vcc_lo, v17, v8, vcc_lo
	v_add_co_u32 v14, vcc_lo, v16, v14
	s_delay_alu instid0(VALU_DEP_2) | instskip(NEXT) | instid1(VALU_DEP_1)
	v_add_co_ci_u32_e32 v15, vcc_lo, v17, v15, vcc_lo
	v_lshlrev_b64 v[16:17], 1, v[14:15]
	s_delay_alu instid0(VALU_DEP_1) | instskip(NEXT) | instid1(VALU_DEP_2)
	v_add_co_u32 v16, vcc_lo, s16, v16
	v_add_co_ci_u32_e32 v17, vcc_lo, s17, v17, vcc_lo
	global_load_u16 v16, v[16:17], off
	v_add_co_u32 v17, vcc_lo, v14, 1
	v_add_co_ci_u32_e32 v18, vcc_lo, 0, v15, vcc_lo
	s_waitcnt vmcnt(0) lgkmcnt(1)
	v_cmp_lt_u16_e32 vcc_lo, v16, v11
	v_dual_cndmask_b32 v10, v15, v10 :: v_dual_cndmask_b32 v9, v14, v9
	s_delay_alu instid0(VALU_DEP_3) | instskip(NEXT) | instid1(VALU_DEP_1)
	v_dual_cndmask_b32 v8, v8, v18 :: v_dual_cndmask_b32 v7, v7, v17
	v_cmp_ge_u64_e32 vcc_lo, v[7:8], v[9:10]
	s_or_b32 s0, vcc_lo, s0
	s_delay_alu instid0(SALU_CYCLE_1)
	s_and_not1_b32 exec_lo, exec_lo, s0
	s_cbranch_execnz .LBB298_21
; %bb.22:
	s_or_b32 exec_lo, exec_lo, s0
	v_cmp_ne_u32_e32 vcc_lo, 1, v12
	s_cbranch_vccnz .LBB298_34
.LBB298_23:
	s_waitcnt vmcnt(2) lgkmcnt(2)
	v_mov_b32_e32 v9, 0
	s_waitcnt vmcnt(1) lgkmcnt(1)
	v_dual_mov_b32 v10, 0 :: v_dual_mov_b32 v11, s18
	v_mov_b32_e32 v12, s19
	s_mov_b32 s0, 0
	.p2align	6
.LBB298_24:                             ; =>This Inner Loop Header: Depth=1
	s_delay_alu instid0(VALU_DEP_2) | instskip(NEXT) | instid1(VALU_DEP_2)
	v_sub_co_u32 v14, vcc_lo, v11, v9
	v_sub_co_ci_u32_e32 v15, vcc_lo, v12, v10, vcc_lo
	s_delay_alu instid0(VALU_DEP_1) | instskip(SKIP_1) | instid1(VALU_DEP_2)
	v_lshrrev_b64 v[16:17], 1, v[14:15]
	v_lshrrev_b64 v[14:15], 6, v[14:15]
	v_add_co_u32 v8, vcc_lo, v16, v9
	s_delay_alu instid0(VALU_DEP_3) | instskip(NEXT) | instid1(VALU_DEP_2)
	v_add_co_ci_u32_e32 v16, vcc_lo, v17, v10, vcc_lo
	v_add_co_u32 v14, vcc_lo, v8, v14
	s_delay_alu instid0(VALU_DEP_2) | instskip(NEXT) | instid1(VALU_DEP_1)
	v_add_co_ci_u32_e32 v15, vcc_lo, v16, v15, vcc_lo
	v_lshlrev_b64 v[16:17], 1, v[14:15]
	s_delay_alu instid0(VALU_DEP_1) | instskip(NEXT) | instid1(VALU_DEP_2)
	v_add_co_u32 v16, vcc_lo, s16, v16
	v_add_co_ci_u32_e32 v17, vcc_lo, s17, v17, vcc_lo
	global_load_u16 v8, v[16:17], off
	v_add_co_u32 v16, vcc_lo, v14, 1
	v_add_co_ci_u32_e32 v17, vcc_lo, 0, v15, vcc_lo
	s_waitcnt vmcnt(0) lgkmcnt(0)
	v_cmp_lt_u16_e32 vcc_lo, v8, v13
	v_dual_cndmask_b32 v12, v15, v12 :: v_dual_cndmask_b32 v11, v14, v11
	s_delay_alu instid0(VALU_DEP_3) | instskip(NEXT) | instid1(VALU_DEP_1)
	v_dual_cndmask_b32 v10, v10, v17 :: v_dual_cndmask_b32 v9, v9, v16
	v_cmp_ge_u64_e32 vcc_lo, v[9:10], v[11:12]
	s_or_b32 s0, vcc_lo, s0
	s_delay_alu instid0(SALU_CYCLE_1)
	s_and_not1_b32 exec_lo, exec_lo, s0
	s_cbranch_execnz .LBB298_24
; %bb.25:
	s_or_b32 exec_lo, exec_lo, s0
	s_branch .LBB298_35
.LBB298_26:
	s_mov_b32 s14, s11
                                        ; implicit-def: $vgpr9
                                        ; implicit-def: $vgpr12_vgpr13
	s_and_b32 vcc_lo, exec_lo, s0
	s_cbranch_vccnz .LBB298_36
	s_branch .LBB298_107
.LBB298_27:
	v_mov_b32_e32 v1, 0
	v_cndmask_b32_e64 v12, 0, 1, s0
	s_and_not1_b32 vcc_lo, exec_lo, s0
	s_cbranch_vccz .LBB298_5
.LBB298_28:
	v_mov_b32_e32 v2, 0
	s_delay_alu instid0(VALU_DEP_2)
	v_cmp_ne_u32_e32 vcc_lo, 1, v12
	s_cbranch_vccz .LBB298_8
.LBB298_29:
	v_mov_b32_e32 v3, 0
	v_cmp_ne_u32_e32 vcc_lo, 1, v12
	s_cbranch_vccz .LBB298_11
.LBB298_30:
	v_mov_b32_e32 v4, 0
	v_cmp_ne_u32_e32 vcc_lo, 1, v12
	s_cbranch_vccz .LBB298_14
.LBB298_31:
	v_mov_b32_e32 v5, 0
	v_cmp_ne_u32_e32 vcc_lo, 1, v12
	s_cbranch_vccz .LBB298_17
.LBB298_32:
	s_waitcnt vmcnt(6) lgkmcnt(6)
	v_mov_b32_e32 v6, 0
	v_cmp_ne_u32_e32 vcc_lo, 1, v12
	s_cbranch_vccz .LBB298_20
.LBB298_33:
	s_waitcnt vmcnt(5) lgkmcnt(5)
	v_mov_b32_e32 v7, 0
	v_cmp_ne_u32_e32 vcc_lo, 1, v12
	s_cbranch_vccz .LBB298_23
.LBB298_34:
	s_waitcnt vmcnt(3) lgkmcnt(3)
	v_mov_b32_e32 v9, 0
.LBB298_35:
	v_lshlrev_b32_e32 v8, 2, v0
	s_lshl_b64 s[0:1], s[10:11], 2
	s_mov_b32 s14, -1
	s_add_u32 s0, s7, s0
	s_addc_u32 s1, s9, s1
	v_add_co_u32 v12, s0, s0, v8
	s_waitcnt vmcnt(0) lgkmcnt(0)
	v_add_co_ci_u32_e64 v13, null, s1, 0, s0
	s_clause 0x6
	flat_store_b32 v[12:13], v1
	flat_store_b32 v[12:13], v2 offset:256
	flat_store_b32 v[12:13], v3 offset:512
	;; [unrolled: 1-line block ×6, first 2 shown]
	s_branch .LBB298_107
.LBB298_36:
	s_sub_i32 s8, s8, s10
                                        ; implicit-def: $vgpr1_vgpr2_vgpr3_vgpr4
	s_delay_alu instid0(SALU_CYCLE_1) | instskip(NEXT) | instid1(VALU_DEP_1)
	v_cmp_gt_u32_e64 s0, s8, v0
	s_and_saveexec_b32 s1, s0
	s_cbranch_execz .LBB298_38
; %bb.37:
	v_lshlrev_b32_e32 v1, 1, v0
	s_delay_alu instid0(VALU_DEP_1) | instskip(NEXT) | instid1(VALU_DEP_1)
	v_add_co_u32 v1, s2, s12, v1
	v_add_co_ci_u32_e64 v2, null, s13, 0, s2
	flat_load_d16_b16 v1, v[1:2]
.LBB298_38:
	s_or_b32 exec_lo, exec_lo, s1
	v_or_b32_e32 v5, 64, v0
	s_delay_alu instid0(VALU_DEP_1) | instskip(NEXT) | instid1(VALU_DEP_1)
	v_cmp_gt_u32_e64 s1, s8, v5
	s_and_saveexec_b32 s2, s1
	s_cbranch_execz .LBB298_40
; %bb.39:
	v_lshlrev_b32_e32 v5, 1, v0
	s_delay_alu instid0(VALU_DEP_1) | instskip(NEXT) | instid1(VALU_DEP_1)
	v_add_co_u32 v5, s3, s12, v5
	v_add_co_ci_u32_e64 v6, null, s13, 0, s3
	s_waitcnt vmcnt(0) lgkmcnt(0)
	flat_load_d16_hi_b16 v1, v[5:6] offset:128
.LBB298_40:
	s_or_b32 exec_lo, exec_lo, s2
	v_or_b32_e32 v5, 0x80, v0
	s_delay_alu instid0(VALU_DEP_1) | instskip(NEXT) | instid1(VALU_DEP_1)
	v_cmp_gt_u32_e64 s2, s8, v5
	s_and_saveexec_b32 s3, s2
	s_cbranch_execz .LBB298_42
; %bb.41:
	v_lshlrev_b32_e32 v5, 1, v0
	s_delay_alu instid0(VALU_DEP_1) | instskip(NEXT) | instid1(VALU_DEP_1)
	v_add_co_u32 v5, s4, s12, v5
	v_add_co_ci_u32_e64 v6, null, s13, 0, s4
	flat_load_d16_b16 v2, v[5:6] offset:256
.LBB298_42:
	s_or_b32 exec_lo, exec_lo, s3
	v_or_b32_e32 v5, 0xc0, v0
	s_delay_alu instid0(VALU_DEP_1) | instskip(NEXT) | instid1(VALU_DEP_1)
	v_cmp_gt_u32_e64 s3, s8, v5
	s_and_saveexec_b32 s4, s3
	s_cbranch_execz .LBB298_44
; %bb.43:
	v_lshlrev_b32_e32 v5, 1, v0
	s_delay_alu instid0(VALU_DEP_1) | instskip(NEXT) | instid1(VALU_DEP_1)
	v_add_co_u32 v5, s5, s12, v5
	v_add_co_ci_u32_e64 v6, null, s13, 0, s5
	s_waitcnt vmcnt(0) lgkmcnt(0)
	flat_load_d16_hi_b16 v2, v[5:6] offset:384
.LBB298_44:
	s_or_b32 exec_lo, exec_lo, s4
	v_or_b32_e32 v5, 0x100, v0
	s_delay_alu instid0(VALU_DEP_1) | instskip(NEXT) | instid1(VALU_DEP_1)
	v_cmp_gt_u32_e64 s4, s8, v5
	s_and_saveexec_b32 s5, s4
	s_cbranch_execz .LBB298_46
; %bb.45:
	v_lshlrev_b32_e32 v5, 1, v0
	s_delay_alu instid0(VALU_DEP_1) | instskip(NEXT) | instid1(VALU_DEP_1)
	v_add_co_u32 v5, s6, s12, v5
	v_add_co_ci_u32_e64 v6, null, s13, 0, s6
	flat_load_d16_b16 v3, v[5:6] offset:512
.LBB298_46:
	;; [unrolled: 27-line block ×3, first 2 shown]
	s_or_b32 exec_lo, exec_lo, s14
	v_or_b32_e32 v5, 0x1c0, v0
	s_delay_alu instid0(VALU_DEP_1) | instskip(NEXT) | instid1(VALU_DEP_1)
	v_cmp_gt_u32_e64 s14, s8, v5
	s_and_saveexec_b32 s8, s14
	s_cbranch_execz .LBB298_52
; %bb.51:
	v_lshlrev_b32_e32 v5, 1, v0
	s_delay_alu instid0(VALU_DEP_1) | instskip(NEXT) | instid1(VALU_DEP_1)
	v_add_co_u32 v5, s12, s12, v5
	v_add_co_ci_u32_e64 v6, null, s13, 0, s12
	s_waitcnt vmcnt(0) lgkmcnt(0)
	flat_load_d16_hi_b16 v4, v[5:6] offset:896
.LBB298_52:
	s_or_b32 exec_lo, exec_lo, s8
	s_cmp_lg_u64 s[18:19], 0
                                        ; implicit-def: $vgpr5
	s_cselect_b32 s8, -1, 0
	s_and_saveexec_b32 s12, s0
	s_cbranch_execz .LBB298_57
; %bb.53:
	v_mov_b32_e32 v5, 0
	v_mov_b32_e32 v6, 0
	s_and_not1_b32 vcc_lo, exec_lo, s8
	s_cbranch_vccnz .LBB298_57
; %bb.54:
	v_dual_mov_b32 v7, s18 :: v_dual_mov_b32 v8, s19
	s_mov_b32 s13, 0
	.p2align	6
.LBB298_55:                             ; =>This Inner Loop Header: Depth=1
	s_delay_alu instid0(VALU_DEP_1) | instskip(NEXT) | instid1(VALU_DEP_2)
	v_sub_co_u32 v9, vcc_lo, v7, v5
	v_sub_co_ci_u32_e32 v10, vcc_lo, v8, v6, vcc_lo
	s_delay_alu instid0(VALU_DEP_1) | instskip(SKIP_1) | instid1(VALU_DEP_2)
	v_lshrrev_b64 v[11:12], 1, v[9:10]
	v_lshrrev_b64 v[9:10], 6, v[9:10]
	v_add_co_u32 v11, vcc_lo, v11, v5
	s_delay_alu instid0(VALU_DEP_3) | instskip(NEXT) | instid1(VALU_DEP_2)
	v_add_co_ci_u32_e32 v12, vcc_lo, v12, v6, vcc_lo
	v_add_co_u32 v9, vcc_lo, v11, v9
	s_delay_alu instid0(VALU_DEP_2) | instskip(NEXT) | instid1(VALU_DEP_1)
	v_add_co_ci_u32_e32 v10, vcc_lo, v12, v10, vcc_lo
	v_lshlrev_b64 v[11:12], 1, v[9:10]
	s_delay_alu instid0(VALU_DEP_1) | instskip(NEXT) | instid1(VALU_DEP_2)
	v_add_co_u32 v11, vcc_lo, s16, v11
	v_add_co_ci_u32_e32 v12, vcc_lo, s17, v12, vcc_lo
	global_load_u16 v11, v[11:12], off
	v_add_co_u32 v12, vcc_lo, v9, 1
	v_add_co_ci_u32_e32 v13, vcc_lo, 0, v10, vcc_lo
	s_waitcnt vmcnt(0) lgkmcnt(0)
	v_cmp_lt_u16_e32 vcc_lo, v11, v1
	v_dual_cndmask_b32 v8, v10, v8 :: v_dual_cndmask_b32 v7, v9, v7
	s_delay_alu instid0(VALU_DEP_3) | instskip(NEXT) | instid1(VALU_DEP_1)
	v_dual_cndmask_b32 v6, v6, v13 :: v_dual_cndmask_b32 v5, v5, v12
	v_cmp_ge_u64_e32 vcc_lo, v[5:6], v[7:8]
	s_or_b32 s13, vcc_lo, s13
	s_delay_alu instid0(SALU_CYCLE_1)
	s_and_not1_b32 exec_lo, exec_lo, s13
	s_cbranch_execnz .LBB298_55
; %bb.56:
	s_or_b32 exec_lo, exec_lo, s13
.LBB298_57:
	s_delay_alu instid0(SALU_CYCLE_1)
	s_or_b32 exec_lo, exec_lo, s12
                                        ; implicit-def: $vgpr6
	s_and_saveexec_b32 s12, s1
	s_cbranch_execz .LBB298_62
; %bb.58:
	s_and_not1_b32 vcc_lo, exec_lo, s8
	s_cbranch_vccnz .LBB298_67
; %bb.59:
	v_mov_b32_e32 v6, 0
	v_dual_mov_b32 v7, 0 :: v_dual_mov_b32 v8, s18
	s_waitcnt vmcnt(0) lgkmcnt(0)
	v_lshrrev_b32_e32 v1, 16, v1
	v_mov_b32_e32 v9, s19
	s_mov_b32 s13, 0
	.p2align	6
.LBB298_60:                             ; =>This Inner Loop Header: Depth=1
	v_sub_co_u32 v10, vcc_lo, v8, v6
	s_delay_alu instid0(VALU_DEP_2) | instskip(NEXT) | instid1(VALU_DEP_1)
	v_sub_co_ci_u32_e32 v11, vcc_lo, v9, v7, vcc_lo
	v_lshrrev_b64 v[12:13], 1, v[10:11]
	v_lshrrev_b64 v[10:11], 6, v[10:11]
	s_delay_alu instid0(VALU_DEP_2) | instskip(NEXT) | instid1(VALU_DEP_3)
	v_add_co_u32 v12, vcc_lo, v12, v6
	v_add_co_ci_u32_e32 v13, vcc_lo, v13, v7, vcc_lo
	s_delay_alu instid0(VALU_DEP_2) | instskip(NEXT) | instid1(VALU_DEP_2)
	v_add_co_u32 v10, vcc_lo, v12, v10
	v_add_co_ci_u32_e32 v11, vcc_lo, v13, v11, vcc_lo
	s_delay_alu instid0(VALU_DEP_1) | instskip(NEXT) | instid1(VALU_DEP_1)
	v_lshlrev_b64 v[12:13], 1, v[10:11]
	v_add_co_u32 v12, vcc_lo, s16, v12
	s_delay_alu instid0(VALU_DEP_2)
	v_add_co_ci_u32_e32 v13, vcc_lo, s17, v13, vcc_lo
	global_load_u16 v12, v[12:13], off
	v_add_co_u32 v13, vcc_lo, v10, 1
	v_add_co_ci_u32_e32 v14, vcc_lo, 0, v11, vcc_lo
	s_waitcnt vmcnt(0)
	v_cmp_lt_u16_e32 vcc_lo, v12, v1
	v_dual_cndmask_b32 v9, v11, v9 :: v_dual_cndmask_b32 v8, v10, v8
	s_delay_alu instid0(VALU_DEP_3) | instskip(NEXT) | instid1(VALU_DEP_1)
	v_dual_cndmask_b32 v7, v7, v14 :: v_dual_cndmask_b32 v6, v6, v13
	v_cmp_ge_u64_e32 vcc_lo, v[6:7], v[8:9]
	s_or_b32 s13, vcc_lo, s13
	s_delay_alu instid0(SALU_CYCLE_1)
	s_and_not1_b32 exec_lo, exec_lo, s13
	s_cbranch_execnz .LBB298_60
; %bb.61:
	s_or_b32 exec_lo, exec_lo, s13
.LBB298_62:
	s_delay_alu instid0(SALU_CYCLE_1)
	s_or_b32 exec_lo, exec_lo, s12
                                        ; implicit-def: $vgpr7
	s_and_saveexec_b32 s12, s2
	s_cbranch_execz .LBB298_68
.LBB298_63:
	v_mov_b32_e32 v7, 0
	v_mov_b32_e32 v8, 0
	s_and_not1_b32 vcc_lo, exec_lo, s8
	s_cbranch_vccnz .LBB298_68
; %bb.64:
	v_dual_mov_b32 v9, s18 :: v_dual_mov_b32 v10, s19
	s_mov_b32 s13, 0
	.p2align	6
.LBB298_65:                             ; =>This Inner Loop Header: Depth=1
	s_delay_alu instid0(VALU_DEP_1) | instskip(NEXT) | instid1(VALU_DEP_2)
	v_sub_co_u32 v11, vcc_lo, v9, v7
	v_sub_co_ci_u32_e32 v12, vcc_lo, v10, v8, vcc_lo
	s_delay_alu instid0(VALU_DEP_1) | instskip(SKIP_2) | instid1(VALU_DEP_2)
	v_lshrrev_b64 v[13:14], 1, v[11:12]
	v_lshrrev_b64 v[11:12], 6, v[11:12]
	s_waitcnt vmcnt(0) lgkmcnt(0)
	v_add_co_u32 v1, vcc_lo, v13, v7
	s_delay_alu instid0(VALU_DEP_3) | instskip(NEXT) | instid1(VALU_DEP_2)
	v_add_co_ci_u32_e32 v13, vcc_lo, v14, v8, vcc_lo
	v_add_co_u32 v11, vcc_lo, v1, v11
	s_delay_alu instid0(VALU_DEP_2) | instskip(NEXT) | instid1(VALU_DEP_1)
	v_add_co_ci_u32_e32 v12, vcc_lo, v13, v12, vcc_lo
	v_lshlrev_b64 v[13:14], 1, v[11:12]
	s_delay_alu instid0(VALU_DEP_1) | instskip(NEXT) | instid1(VALU_DEP_2)
	v_add_co_u32 v13, vcc_lo, s16, v13
	v_add_co_ci_u32_e32 v14, vcc_lo, s17, v14, vcc_lo
	global_load_u16 v1, v[13:14], off
	v_add_co_u32 v13, vcc_lo, v11, 1
	v_add_co_ci_u32_e32 v14, vcc_lo, 0, v12, vcc_lo
	s_waitcnt vmcnt(0)
	v_cmp_lt_u16_e32 vcc_lo, v1, v2
	v_dual_cndmask_b32 v10, v12, v10 :: v_dual_cndmask_b32 v9, v11, v9
	s_delay_alu instid0(VALU_DEP_3) | instskip(NEXT) | instid1(VALU_DEP_1)
	v_dual_cndmask_b32 v8, v8, v14 :: v_dual_cndmask_b32 v7, v7, v13
	v_cmp_ge_u64_e32 vcc_lo, v[7:8], v[9:10]
	s_or_b32 s13, vcc_lo, s13
	s_delay_alu instid0(SALU_CYCLE_1)
	s_and_not1_b32 exec_lo, exec_lo, s13
	s_cbranch_execnz .LBB298_65
; %bb.66:
	s_or_b32 exec_lo, exec_lo, s13
	s_branch .LBB298_68
.LBB298_67:
	v_mov_b32_e32 v6, 0
	v_mov_b32_e32 v7, 0
	s_or_b32 exec_lo, exec_lo, s12
                                        ; implicit-def: $vgpr7
	s_and_saveexec_b32 s12, s2
	s_cbranch_execnz .LBB298_63
.LBB298_68:
	s_or_b32 exec_lo, exec_lo, s12
                                        ; implicit-def: $vgpr1
	s_and_saveexec_b32 s12, s3
	s_cbranch_execz .LBB298_73
; %bb.69:
	s_and_not1_b32 vcc_lo, exec_lo, s8
	s_cbranch_vccnz .LBB298_78
; %bb.70:
	s_waitcnt vmcnt(0) lgkmcnt(0)
	v_lshrrev_b32_e32 v10, 16, v2
	v_dual_mov_b32 v1, 0 :: v_dual_mov_b32 v8, s18
	v_dual_mov_b32 v2, 0 :: v_dual_mov_b32 v9, s19
	s_mov_b32 s13, 0
	.p2align	6
.LBB298_71:                             ; =>This Inner Loop Header: Depth=1
	s_delay_alu instid0(VALU_DEP_2) | instskip(NEXT) | instid1(VALU_DEP_2)
	v_sub_co_u32 v11, vcc_lo, v8, v1
	v_sub_co_ci_u32_e32 v12, vcc_lo, v9, v2, vcc_lo
	s_delay_alu instid0(VALU_DEP_1) | instskip(SKIP_1) | instid1(VALU_DEP_2)
	v_lshrrev_b64 v[13:14], 1, v[11:12]
	v_lshrrev_b64 v[11:12], 6, v[11:12]
	v_add_co_u32 v13, vcc_lo, v13, v1
	s_delay_alu instid0(VALU_DEP_3) | instskip(NEXT) | instid1(VALU_DEP_2)
	v_add_co_ci_u32_e32 v14, vcc_lo, v14, v2, vcc_lo
	v_add_co_u32 v11, vcc_lo, v13, v11
	s_delay_alu instid0(VALU_DEP_2) | instskip(NEXT) | instid1(VALU_DEP_1)
	v_add_co_ci_u32_e32 v12, vcc_lo, v14, v12, vcc_lo
	v_lshlrev_b64 v[13:14], 1, v[11:12]
	s_delay_alu instid0(VALU_DEP_1) | instskip(NEXT) | instid1(VALU_DEP_2)
	v_add_co_u32 v13, vcc_lo, s16, v13
	v_add_co_ci_u32_e32 v14, vcc_lo, s17, v14, vcc_lo
	global_load_u16 v13, v[13:14], off
	v_add_co_u32 v14, vcc_lo, v11, 1
	v_add_co_ci_u32_e32 v15, vcc_lo, 0, v12, vcc_lo
	s_waitcnt vmcnt(0)
	v_cmp_lt_u16_e32 vcc_lo, v13, v10
	v_dual_cndmask_b32 v9, v12, v9 :: v_dual_cndmask_b32 v8, v11, v8
	s_delay_alu instid0(VALU_DEP_3) | instskip(NEXT) | instid1(VALU_DEP_1)
	v_dual_cndmask_b32 v2, v2, v15 :: v_dual_cndmask_b32 v1, v1, v14
	v_cmp_ge_u64_e32 vcc_lo, v[1:2], v[8:9]
	s_or_b32 s13, vcc_lo, s13
	s_delay_alu instid0(SALU_CYCLE_1)
	s_and_not1_b32 exec_lo, exec_lo, s13
	s_cbranch_execnz .LBB298_71
; %bb.72:
	s_or_b32 exec_lo, exec_lo, s13
.LBB298_73:
	s_delay_alu instid0(SALU_CYCLE_1)
	s_or_b32 exec_lo, exec_lo, s12
                                        ; implicit-def: $vgpr8
	s_and_saveexec_b32 s12, s4
	s_cbranch_execz .LBB298_79
.LBB298_74:
	v_mov_b32_e32 v8, 0
	v_mov_b32_e32 v9, 0
	s_and_not1_b32 vcc_lo, exec_lo, s8
	s_cbranch_vccnz .LBB298_79
; %bb.75:
	v_dual_mov_b32 v10, s18 :: v_dual_mov_b32 v11, s19
	s_mov_b32 s13, 0
	.p2align	6
.LBB298_76:                             ; =>This Inner Loop Header: Depth=1
	s_delay_alu instid0(VALU_DEP_1) | instskip(NEXT) | instid1(VALU_DEP_2)
	v_sub_co_u32 v12, vcc_lo, v10, v8
	v_sub_co_ci_u32_e32 v13, vcc_lo, v11, v9, vcc_lo
	s_delay_alu instid0(VALU_DEP_1) | instskip(SKIP_2) | instid1(VALU_DEP_2)
	v_lshrrev_b64 v[14:15], 1, v[12:13]
	v_lshrrev_b64 v[12:13], 6, v[12:13]
	s_waitcnt vmcnt(0) lgkmcnt(0)
	v_add_co_u32 v2, vcc_lo, v14, v8
	s_delay_alu instid0(VALU_DEP_3) | instskip(NEXT) | instid1(VALU_DEP_2)
	v_add_co_ci_u32_e32 v14, vcc_lo, v15, v9, vcc_lo
	v_add_co_u32 v12, vcc_lo, v2, v12
	s_delay_alu instid0(VALU_DEP_2) | instskip(NEXT) | instid1(VALU_DEP_1)
	v_add_co_ci_u32_e32 v13, vcc_lo, v14, v13, vcc_lo
	v_lshlrev_b64 v[14:15], 1, v[12:13]
	s_delay_alu instid0(VALU_DEP_1) | instskip(NEXT) | instid1(VALU_DEP_2)
	v_add_co_u32 v14, vcc_lo, s16, v14
	v_add_co_ci_u32_e32 v15, vcc_lo, s17, v15, vcc_lo
	global_load_u16 v2, v[14:15], off
	v_add_co_u32 v14, vcc_lo, v12, 1
	v_add_co_ci_u32_e32 v15, vcc_lo, 0, v13, vcc_lo
	s_waitcnt vmcnt(0)
	v_cmp_lt_u16_e32 vcc_lo, v2, v3
	v_dual_cndmask_b32 v11, v13, v11 :: v_dual_cndmask_b32 v10, v12, v10
	s_delay_alu instid0(VALU_DEP_3) | instskip(NEXT) | instid1(VALU_DEP_1)
	v_dual_cndmask_b32 v9, v9, v15 :: v_dual_cndmask_b32 v8, v8, v14
	v_cmp_ge_u64_e32 vcc_lo, v[8:9], v[10:11]
	s_or_b32 s13, vcc_lo, s13
	s_delay_alu instid0(SALU_CYCLE_1)
	s_and_not1_b32 exec_lo, exec_lo, s13
	s_cbranch_execnz .LBB298_76
; %bb.77:
	s_or_b32 exec_lo, exec_lo, s13
	s_branch .LBB298_79
.LBB298_78:
	s_waitcnt vmcnt(0) lgkmcnt(0)
	v_mov_b32_e32 v1, 0
	v_mov_b32_e32 v2, 0
	s_or_b32 exec_lo, exec_lo, s12
                                        ; implicit-def: $vgpr8
	s_and_saveexec_b32 s12, s4
	s_cbranch_execnz .LBB298_74
.LBB298_79:
	s_or_b32 exec_lo, exec_lo, s12
                                        ; implicit-def: $vgpr2
	s_and_saveexec_b32 s12, s5
	s_cbranch_execnz .LBB298_82
; %bb.80:
	s_or_b32 exec_lo, exec_lo, s12
                                        ; implicit-def: $vgpr11
	s_and_saveexec_b32 s12, s6
	s_cbranch_execnz .LBB298_87
.LBB298_81:
	s_or_b32 exec_lo, exec_lo, s12
                                        ; implicit-def: $vgpr9
	s_and_saveexec_b32 s12, s14
	s_cbranch_execnz .LBB298_92
	s_branch .LBB298_97
.LBB298_82:
	s_and_not1_b32 vcc_lo, exec_lo, s8
	s_cbranch_vccnz .LBB298_86
; %bb.83:
	s_waitcnt vmcnt(0) lgkmcnt(0)
	v_lshrrev_b32_e32 v11, 16, v3
	v_dual_mov_b32 v2, 0 :: v_dual_mov_b32 v9, s18
	v_dual_mov_b32 v3, 0 :: v_dual_mov_b32 v10, s19
	s_mov_b32 s13, 0
	.p2align	6
.LBB298_84:                             ; =>This Inner Loop Header: Depth=1
	s_delay_alu instid0(VALU_DEP_2) | instskip(NEXT) | instid1(VALU_DEP_2)
	v_sub_co_u32 v12, vcc_lo, v9, v2
	v_sub_co_ci_u32_e32 v13, vcc_lo, v10, v3, vcc_lo
	s_delay_alu instid0(VALU_DEP_1) | instskip(SKIP_1) | instid1(VALU_DEP_2)
	v_lshrrev_b64 v[14:15], 1, v[12:13]
	v_lshrrev_b64 v[12:13], 6, v[12:13]
	v_add_co_u32 v14, vcc_lo, v14, v2
	s_delay_alu instid0(VALU_DEP_3) | instskip(NEXT) | instid1(VALU_DEP_2)
	v_add_co_ci_u32_e32 v15, vcc_lo, v15, v3, vcc_lo
	v_add_co_u32 v12, vcc_lo, v14, v12
	s_delay_alu instid0(VALU_DEP_2) | instskip(NEXT) | instid1(VALU_DEP_1)
	v_add_co_ci_u32_e32 v13, vcc_lo, v15, v13, vcc_lo
	v_lshlrev_b64 v[14:15], 1, v[12:13]
	s_delay_alu instid0(VALU_DEP_1) | instskip(NEXT) | instid1(VALU_DEP_2)
	v_add_co_u32 v14, vcc_lo, s16, v14
	v_add_co_ci_u32_e32 v15, vcc_lo, s17, v15, vcc_lo
	global_load_u16 v14, v[14:15], off
	v_add_co_u32 v15, vcc_lo, v12, 1
	v_add_co_ci_u32_e32 v16, vcc_lo, 0, v13, vcc_lo
	s_waitcnt vmcnt(0)
	v_cmp_lt_u16_e32 vcc_lo, v14, v11
	v_dual_cndmask_b32 v10, v13, v10 :: v_dual_cndmask_b32 v9, v12, v9
	s_delay_alu instid0(VALU_DEP_3) | instskip(NEXT) | instid1(VALU_DEP_1)
	v_dual_cndmask_b32 v3, v3, v16 :: v_dual_cndmask_b32 v2, v2, v15
	v_cmp_ge_u64_e32 vcc_lo, v[2:3], v[9:10]
	s_or_b32 s13, vcc_lo, s13
	s_delay_alu instid0(SALU_CYCLE_1)
	s_and_not1_b32 exec_lo, exec_lo, s13
	s_cbranch_execnz .LBB298_84
; %bb.85:
	s_or_b32 exec_lo, exec_lo, s13
	s_delay_alu instid0(SALU_CYCLE_1)
	s_or_b32 exec_lo, exec_lo, s12
                                        ; implicit-def: $vgpr11
	s_and_saveexec_b32 s12, s6
	s_cbranch_execz .LBB298_81
	s_branch .LBB298_87
.LBB298_86:
	s_waitcnt vmcnt(0) lgkmcnt(0)
	v_mov_b32_e32 v2, 0
	s_or_b32 exec_lo, exec_lo, s12
                                        ; implicit-def: $vgpr11
	s_and_saveexec_b32 s12, s6
	s_cbranch_execz .LBB298_81
.LBB298_87:
	s_and_not1_b32 vcc_lo, exec_lo, s8
	s_cbranch_vccnz .LBB298_91
; %bb.88:
	v_mov_b32_e32 v11, 0
	v_dual_mov_b32 v12, 0 :: v_dual_mov_b32 v9, s18
	v_mov_b32_e32 v10, s19
	s_mov_b32 s13, 0
	.p2align	6
.LBB298_89:                             ; =>This Inner Loop Header: Depth=1
	s_delay_alu instid0(VALU_DEP_2) | instskip(NEXT) | instid1(VALU_DEP_2)
	v_sub_co_u32 v13, vcc_lo, v9, v11
	v_sub_co_ci_u32_e32 v14, vcc_lo, v10, v12, vcc_lo
	s_delay_alu instid0(VALU_DEP_1) | instskip(SKIP_2) | instid1(VALU_DEP_2)
	v_lshrrev_b64 v[15:16], 1, v[13:14]
	v_lshrrev_b64 v[13:14], 6, v[13:14]
	s_waitcnt vmcnt(0) lgkmcnt(0)
	v_add_co_u32 v3, vcc_lo, v15, v11
	s_delay_alu instid0(VALU_DEP_3) | instskip(NEXT) | instid1(VALU_DEP_2)
	v_add_co_ci_u32_e32 v15, vcc_lo, v16, v12, vcc_lo
	v_add_co_u32 v13, vcc_lo, v3, v13
	s_delay_alu instid0(VALU_DEP_2) | instskip(NEXT) | instid1(VALU_DEP_1)
	v_add_co_ci_u32_e32 v14, vcc_lo, v15, v14, vcc_lo
	v_lshlrev_b64 v[15:16], 1, v[13:14]
	s_delay_alu instid0(VALU_DEP_1) | instskip(NEXT) | instid1(VALU_DEP_2)
	v_add_co_u32 v15, vcc_lo, s16, v15
	v_add_co_ci_u32_e32 v16, vcc_lo, s17, v16, vcc_lo
	global_load_u16 v3, v[15:16], off
	v_add_co_u32 v15, vcc_lo, v13, 1
	v_add_co_ci_u32_e32 v16, vcc_lo, 0, v14, vcc_lo
	s_waitcnt vmcnt(0)
	v_cmp_lt_u16_e32 vcc_lo, v3, v4
	v_dual_cndmask_b32 v10, v14, v10 :: v_dual_cndmask_b32 v9, v13, v9
	s_delay_alu instid0(VALU_DEP_3) | instskip(NEXT) | instid1(VALU_DEP_1)
	v_dual_cndmask_b32 v12, v12, v16 :: v_dual_cndmask_b32 v11, v11, v15
	v_cmp_ge_u64_e32 vcc_lo, v[11:12], v[9:10]
	s_or_b32 s13, vcc_lo, s13
	s_delay_alu instid0(SALU_CYCLE_1)
	s_and_not1_b32 exec_lo, exec_lo, s13
	s_cbranch_execnz .LBB298_89
; %bb.90:
	s_or_b32 exec_lo, exec_lo, s13
	s_delay_alu instid0(SALU_CYCLE_1)
	s_or_b32 exec_lo, exec_lo, s12
                                        ; implicit-def: $vgpr9
	s_and_saveexec_b32 s12, s14
	s_cbranch_execnz .LBB298_92
	s_branch .LBB298_97
.LBB298_91:
	v_mov_b32_e32 v11, 0
	s_or_b32 exec_lo, exec_lo, s12
                                        ; implicit-def: $vgpr9
	s_and_saveexec_b32 s12, s14
	s_cbranch_execz .LBB298_97
.LBB298_92:
	s_and_not1_b32 vcc_lo, exec_lo, s8
	s_cbranch_vccnz .LBB298_96
; %bb.93:
	v_mov_b32_e32 v9, 0
	s_waitcnt vmcnt(0) lgkmcnt(0)
	v_lshrrev_b32_e32 v12, 16, v4
	v_dual_mov_b32 v10, 0 :: v_dual_mov_b32 v3, s18
	v_mov_b32_e32 v4, s19
	s_mov_b32 s8, 0
	.p2align	6
.LBB298_94:                             ; =>This Inner Loop Header: Depth=1
	s_delay_alu instid0(VALU_DEP_2) | instskip(NEXT) | instid1(VALU_DEP_2)
	v_sub_co_u32 v13, vcc_lo, v3, v9
	v_sub_co_ci_u32_e32 v14, vcc_lo, v4, v10, vcc_lo
	s_delay_alu instid0(VALU_DEP_1) | instskip(SKIP_1) | instid1(VALU_DEP_2)
	v_lshrrev_b64 v[15:16], 1, v[13:14]
	v_lshrrev_b64 v[13:14], 6, v[13:14]
	v_add_co_u32 v15, vcc_lo, v15, v9
	s_delay_alu instid0(VALU_DEP_3) | instskip(NEXT) | instid1(VALU_DEP_2)
	v_add_co_ci_u32_e32 v16, vcc_lo, v16, v10, vcc_lo
	v_add_co_u32 v13, vcc_lo, v15, v13
	s_delay_alu instid0(VALU_DEP_2) | instskip(NEXT) | instid1(VALU_DEP_1)
	v_add_co_ci_u32_e32 v14, vcc_lo, v16, v14, vcc_lo
	v_lshlrev_b64 v[15:16], 1, v[13:14]
	s_delay_alu instid0(VALU_DEP_1) | instskip(NEXT) | instid1(VALU_DEP_2)
	v_add_co_u32 v15, vcc_lo, s16, v15
	v_add_co_ci_u32_e32 v16, vcc_lo, s17, v16, vcc_lo
	global_load_u16 v15, v[15:16], off
	v_add_co_u32 v16, vcc_lo, v13, 1
	v_add_co_ci_u32_e32 v17, vcc_lo, 0, v14, vcc_lo
	s_waitcnt vmcnt(0)
	v_cmp_lt_u16_e32 vcc_lo, v15, v12
	v_dual_cndmask_b32 v4, v14, v4 :: v_dual_cndmask_b32 v3, v13, v3
	s_delay_alu instid0(VALU_DEP_3) | instskip(NEXT) | instid1(VALU_DEP_1)
	v_dual_cndmask_b32 v10, v10, v17 :: v_dual_cndmask_b32 v9, v9, v16
	v_cmp_ge_u64_e32 vcc_lo, v[9:10], v[3:4]
	s_or_b32 s8, vcc_lo, s8
	s_delay_alu instid0(SALU_CYCLE_1)
	s_and_not1_b32 exec_lo, exec_lo, s8
	s_cbranch_execnz .LBB298_94
; %bb.95:
	s_or_b32 exec_lo, exec_lo, s8
	s_branch .LBB298_97
.LBB298_96:
	v_mov_b32_e32 v9, 0
.LBB298_97:
	s_or_b32 exec_lo, exec_lo, s12
	v_lshlrev_b32_e32 v0, 2, v0
	s_lshl_b64 s[10:11], s[10:11], 2
	s_delay_alu instid0(SALU_CYCLE_1) | instskip(SKIP_1) | instid1(VALU_DEP_1)
	s_add_u32 s7, s7, s10
	s_addc_u32 s8, s9, s11
	v_add_co_u32 v12, s7, s7, v0
	s_delay_alu instid0(VALU_DEP_1) | instskip(SKIP_1) | instid1(SALU_CYCLE_1)
	v_add_co_ci_u32_e64 v13, null, s8, 0, s7
	s_and_saveexec_b32 s7, s0
	s_xor_b32 s0, exec_lo, s7
	s_cbranch_execz .LBB298_99
; %bb.98:
	flat_store_b32 v[12:13], v5
.LBB298_99:
	s_or_b32 exec_lo, exec_lo, s0
	s_and_saveexec_b32 s0, s1
	s_cbranch_execnz .LBB298_110
; %bb.100:
	s_or_b32 exec_lo, exec_lo, s0
	s_and_saveexec_b32 s0, s2
	s_cbranch_execnz .LBB298_111
.LBB298_101:
	s_or_b32 exec_lo, exec_lo, s0
	s_and_saveexec_b32 s0, s3
	s_cbranch_execnz .LBB298_112
.LBB298_102:
	s_or_b32 exec_lo, exec_lo, s0
	s_and_saveexec_b32 s0, s4
	s_cbranch_execnz .LBB298_113
.LBB298_103:
	s_or_b32 exec_lo, exec_lo, s0
	s_and_saveexec_b32 s0, s5
	s_cbranch_execnz .LBB298_114
.LBB298_104:
	s_or_b32 exec_lo, exec_lo, s0
	s_and_saveexec_b32 s0, s6
	s_cbranch_execz .LBB298_106
.LBB298_105:
	flat_store_b32 v[12:13], v11 offset:1536
.LBB298_106:
	s_or_b32 exec_lo, exec_lo, s0
.LBB298_107:
	s_and_saveexec_b32 s0, s14
	s_cbranch_execnz .LBB298_109
; %bb.108:
	s_endpgm
.LBB298_109:
	flat_store_b32 v[12:13], v9 offset:1792
	s_endpgm
.LBB298_110:
	flat_store_b32 v[12:13], v6 offset:256
	s_or_b32 exec_lo, exec_lo, s0
	s_and_saveexec_b32 s0, s2
	s_cbranch_execz .LBB298_101
.LBB298_111:
	flat_store_b32 v[12:13], v7 offset:512
	s_or_b32 exec_lo, exec_lo, s0
	s_and_saveexec_b32 s0, s3
	s_cbranch_execz .LBB298_102
.LBB298_112:
	s_waitcnt vmcnt(0) lgkmcnt(0)
	flat_store_b32 v[12:13], v1 offset:768
	s_or_b32 exec_lo, exec_lo, s0
	s_and_saveexec_b32 s0, s4
	s_cbranch_execz .LBB298_103
.LBB298_113:
	flat_store_b32 v[12:13], v8 offset:1024
	s_or_b32 exec_lo, exec_lo, s0
	s_and_saveexec_b32 s0, s5
	s_cbranch_execz .LBB298_104
.LBB298_114:
	s_waitcnt vmcnt(0) lgkmcnt(0)
	flat_store_b32 v[12:13], v2 offset:1280
	s_or_b32 exec_lo, exec_lo, s0
	s_and_saveexec_b32 s0, s6
	s_cbranch_execnz .LBB298_105
	s_branch .LBB298_106
	.section	.rodata,"a",@progbits
	.p2align	6, 0x0
	.amdhsa_kernel _ZN7rocprim17ROCPRIM_400000_NS6detail17trampoline_kernelINS0_14default_configENS1_27lower_bound_config_selectorItiEEZNS1_14transform_implILb0ES3_S5_N6thrust23THRUST_200600_302600_NS6detail15normal_iteratorINS8_10device_ptrItEEEENSA_INSB_IiEEEEZNS1_13binary_searchIS3_S5_SD_SD_SF_NS1_21lower_bound_search_opENS9_16wrapped_functionINS0_4lessIvEEbEEEE10hipError_tPvRmT1_T2_T3_mmT4_T5_P12ihipStream_tbEUlRKtE_EESM_SQ_SR_mSS_SV_bEUlT_E_NS1_11comp_targetILNS1_3genE9ELNS1_11target_archE1100ELNS1_3gpuE3ELNS1_3repE0EEENS1_30default_config_static_selectorELNS0_4arch9wavefront6targetE0EEEvSP_
		.amdhsa_group_segment_fixed_size 0
		.amdhsa_private_segment_fixed_size 0
		.amdhsa_kernarg_size 312
		.amdhsa_user_sgpr_count 15
		.amdhsa_user_sgpr_dispatch_ptr 0
		.amdhsa_user_sgpr_queue_ptr 0
		.amdhsa_user_sgpr_kernarg_segment_ptr 1
		.amdhsa_user_sgpr_dispatch_id 0
		.amdhsa_user_sgpr_private_segment_size 0
		.amdhsa_wavefront_size32 1
		.amdhsa_uses_dynamic_stack 0
		.amdhsa_enable_private_segment 0
		.amdhsa_system_sgpr_workgroup_id_x 1
		.amdhsa_system_sgpr_workgroup_id_y 0
		.amdhsa_system_sgpr_workgroup_id_z 0
		.amdhsa_system_sgpr_workgroup_info 0
		.amdhsa_system_vgpr_workitem_id 0
		.amdhsa_next_free_vgpr 19
		.amdhsa_next_free_sgpr 20
		.amdhsa_reserve_vcc 1
		.amdhsa_float_round_mode_32 0
		.amdhsa_float_round_mode_16_64 0
		.amdhsa_float_denorm_mode_32 3
		.amdhsa_float_denorm_mode_16_64 3
		.amdhsa_dx10_clamp 1
		.amdhsa_ieee_mode 1
		.amdhsa_fp16_overflow 0
		.amdhsa_workgroup_processor_mode 1
		.amdhsa_memory_ordered 1
		.amdhsa_forward_progress 0
		.amdhsa_shared_vgpr_count 0
		.amdhsa_exception_fp_ieee_invalid_op 0
		.amdhsa_exception_fp_denorm_src 0
		.amdhsa_exception_fp_ieee_div_zero 0
		.amdhsa_exception_fp_ieee_overflow 0
		.amdhsa_exception_fp_ieee_underflow 0
		.amdhsa_exception_fp_ieee_inexact 0
		.amdhsa_exception_int_div_zero 0
	.end_amdhsa_kernel
	.section	.text._ZN7rocprim17ROCPRIM_400000_NS6detail17trampoline_kernelINS0_14default_configENS1_27lower_bound_config_selectorItiEEZNS1_14transform_implILb0ES3_S5_N6thrust23THRUST_200600_302600_NS6detail15normal_iteratorINS8_10device_ptrItEEEENSA_INSB_IiEEEEZNS1_13binary_searchIS3_S5_SD_SD_SF_NS1_21lower_bound_search_opENS9_16wrapped_functionINS0_4lessIvEEbEEEE10hipError_tPvRmT1_T2_T3_mmT4_T5_P12ihipStream_tbEUlRKtE_EESM_SQ_SR_mSS_SV_bEUlT_E_NS1_11comp_targetILNS1_3genE9ELNS1_11target_archE1100ELNS1_3gpuE3ELNS1_3repE0EEENS1_30default_config_static_selectorELNS0_4arch9wavefront6targetE0EEEvSP_,"axG",@progbits,_ZN7rocprim17ROCPRIM_400000_NS6detail17trampoline_kernelINS0_14default_configENS1_27lower_bound_config_selectorItiEEZNS1_14transform_implILb0ES3_S5_N6thrust23THRUST_200600_302600_NS6detail15normal_iteratorINS8_10device_ptrItEEEENSA_INSB_IiEEEEZNS1_13binary_searchIS3_S5_SD_SD_SF_NS1_21lower_bound_search_opENS9_16wrapped_functionINS0_4lessIvEEbEEEE10hipError_tPvRmT1_T2_T3_mmT4_T5_P12ihipStream_tbEUlRKtE_EESM_SQ_SR_mSS_SV_bEUlT_E_NS1_11comp_targetILNS1_3genE9ELNS1_11target_archE1100ELNS1_3gpuE3ELNS1_3repE0EEENS1_30default_config_static_selectorELNS0_4arch9wavefront6targetE0EEEvSP_,comdat
.Lfunc_end298:
	.size	_ZN7rocprim17ROCPRIM_400000_NS6detail17trampoline_kernelINS0_14default_configENS1_27lower_bound_config_selectorItiEEZNS1_14transform_implILb0ES3_S5_N6thrust23THRUST_200600_302600_NS6detail15normal_iteratorINS8_10device_ptrItEEEENSA_INSB_IiEEEEZNS1_13binary_searchIS3_S5_SD_SD_SF_NS1_21lower_bound_search_opENS9_16wrapped_functionINS0_4lessIvEEbEEEE10hipError_tPvRmT1_T2_T3_mmT4_T5_P12ihipStream_tbEUlRKtE_EESM_SQ_SR_mSS_SV_bEUlT_E_NS1_11comp_targetILNS1_3genE9ELNS1_11target_archE1100ELNS1_3gpuE3ELNS1_3repE0EEENS1_30default_config_static_selectorELNS0_4arch9wavefront6targetE0EEEvSP_, .Lfunc_end298-_ZN7rocprim17ROCPRIM_400000_NS6detail17trampoline_kernelINS0_14default_configENS1_27lower_bound_config_selectorItiEEZNS1_14transform_implILb0ES3_S5_N6thrust23THRUST_200600_302600_NS6detail15normal_iteratorINS8_10device_ptrItEEEENSA_INSB_IiEEEEZNS1_13binary_searchIS3_S5_SD_SD_SF_NS1_21lower_bound_search_opENS9_16wrapped_functionINS0_4lessIvEEbEEEE10hipError_tPvRmT1_T2_T3_mmT4_T5_P12ihipStream_tbEUlRKtE_EESM_SQ_SR_mSS_SV_bEUlT_E_NS1_11comp_targetILNS1_3genE9ELNS1_11target_archE1100ELNS1_3gpuE3ELNS1_3repE0EEENS1_30default_config_static_selectorELNS0_4arch9wavefront6targetE0EEEvSP_
                                        ; -- End function
	.section	.AMDGPU.csdata,"",@progbits
; Kernel info:
; codeLenInByte = 4656
; NumSgprs: 22
; NumVgprs: 19
; ScratchSize: 0
; MemoryBound: 0
; FloatMode: 240
; IeeeMode: 1
; LDSByteSize: 0 bytes/workgroup (compile time only)
; SGPRBlocks: 2
; VGPRBlocks: 2
; NumSGPRsForWavesPerEU: 22
; NumVGPRsForWavesPerEU: 19
; Occupancy: 16
; WaveLimiterHint : 1
; COMPUTE_PGM_RSRC2:SCRATCH_EN: 0
; COMPUTE_PGM_RSRC2:USER_SGPR: 15
; COMPUTE_PGM_RSRC2:TRAP_HANDLER: 0
; COMPUTE_PGM_RSRC2:TGID_X_EN: 1
; COMPUTE_PGM_RSRC2:TGID_Y_EN: 0
; COMPUTE_PGM_RSRC2:TGID_Z_EN: 0
; COMPUTE_PGM_RSRC2:TIDIG_COMP_CNT: 0
	.section	.text._ZN7rocprim17ROCPRIM_400000_NS6detail17trampoline_kernelINS0_14default_configENS1_27lower_bound_config_selectorItiEEZNS1_14transform_implILb0ES3_S5_N6thrust23THRUST_200600_302600_NS6detail15normal_iteratorINS8_10device_ptrItEEEENSA_INSB_IiEEEEZNS1_13binary_searchIS3_S5_SD_SD_SF_NS1_21lower_bound_search_opENS9_16wrapped_functionINS0_4lessIvEEbEEEE10hipError_tPvRmT1_T2_T3_mmT4_T5_P12ihipStream_tbEUlRKtE_EESM_SQ_SR_mSS_SV_bEUlT_E_NS1_11comp_targetILNS1_3genE8ELNS1_11target_archE1030ELNS1_3gpuE2ELNS1_3repE0EEENS1_30default_config_static_selectorELNS0_4arch9wavefront6targetE0EEEvSP_,"axG",@progbits,_ZN7rocprim17ROCPRIM_400000_NS6detail17trampoline_kernelINS0_14default_configENS1_27lower_bound_config_selectorItiEEZNS1_14transform_implILb0ES3_S5_N6thrust23THRUST_200600_302600_NS6detail15normal_iteratorINS8_10device_ptrItEEEENSA_INSB_IiEEEEZNS1_13binary_searchIS3_S5_SD_SD_SF_NS1_21lower_bound_search_opENS9_16wrapped_functionINS0_4lessIvEEbEEEE10hipError_tPvRmT1_T2_T3_mmT4_T5_P12ihipStream_tbEUlRKtE_EESM_SQ_SR_mSS_SV_bEUlT_E_NS1_11comp_targetILNS1_3genE8ELNS1_11target_archE1030ELNS1_3gpuE2ELNS1_3repE0EEENS1_30default_config_static_selectorELNS0_4arch9wavefront6targetE0EEEvSP_,comdat
	.protected	_ZN7rocprim17ROCPRIM_400000_NS6detail17trampoline_kernelINS0_14default_configENS1_27lower_bound_config_selectorItiEEZNS1_14transform_implILb0ES3_S5_N6thrust23THRUST_200600_302600_NS6detail15normal_iteratorINS8_10device_ptrItEEEENSA_INSB_IiEEEEZNS1_13binary_searchIS3_S5_SD_SD_SF_NS1_21lower_bound_search_opENS9_16wrapped_functionINS0_4lessIvEEbEEEE10hipError_tPvRmT1_T2_T3_mmT4_T5_P12ihipStream_tbEUlRKtE_EESM_SQ_SR_mSS_SV_bEUlT_E_NS1_11comp_targetILNS1_3genE8ELNS1_11target_archE1030ELNS1_3gpuE2ELNS1_3repE0EEENS1_30default_config_static_selectorELNS0_4arch9wavefront6targetE0EEEvSP_ ; -- Begin function _ZN7rocprim17ROCPRIM_400000_NS6detail17trampoline_kernelINS0_14default_configENS1_27lower_bound_config_selectorItiEEZNS1_14transform_implILb0ES3_S5_N6thrust23THRUST_200600_302600_NS6detail15normal_iteratorINS8_10device_ptrItEEEENSA_INSB_IiEEEEZNS1_13binary_searchIS3_S5_SD_SD_SF_NS1_21lower_bound_search_opENS9_16wrapped_functionINS0_4lessIvEEbEEEE10hipError_tPvRmT1_T2_T3_mmT4_T5_P12ihipStream_tbEUlRKtE_EESM_SQ_SR_mSS_SV_bEUlT_E_NS1_11comp_targetILNS1_3genE8ELNS1_11target_archE1030ELNS1_3gpuE2ELNS1_3repE0EEENS1_30default_config_static_selectorELNS0_4arch9wavefront6targetE0EEEvSP_
	.globl	_ZN7rocprim17ROCPRIM_400000_NS6detail17trampoline_kernelINS0_14default_configENS1_27lower_bound_config_selectorItiEEZNS1_14transform_implILb0ES3_S5_N6thrust23THRUST_200600_302600_NS6detail15normal_iteratorINS8_10device_ptrItEEEENSA_INSB_IiEEEEZNS1_13binary_searchIS3_S5_SD_SD_SF_NS1_21lower_bound_search_opENS9_16wrapped_functionINS0_4lessIvEEbEEEE10hipError_tPvRmT1_T2_T3_mmT4_T5_P12ihipStream_tbEUlRKtE_EESM_SQ_SR_mSS_SV_bEUlT_E_NS1_11comp_targetILNS1_3genE8ELNS1_11target_archE1030ELNS1_3gpuE2ELNS1_3repE0EEENS1_30default_config_static_selectorELNS0_4arch9wavefront6targetE0EEEvSP_
	.p2align	8
	.type	_ZN7rocprim17ROCPRIM_400000_NS6detail17trampoline_kernelINS0_14default_configENS1_27lower_bound_config_selectorItiEEZNS1_14transform_implILb0ES3_S5_N6thrust23THRUST_200600_302600_NS6detail15normal_iteratorINS8_10device_ptrItEEEENSA_INSB_IiEEEEZNS1_13binary_searchIS3_S5_SD_SD_SF_NS1_21lower_bound_search_opENS9_16wrapped_functionINS0_4lessIvEEbEEEE10hipError_tPvRmT1_T2_T3_mmT4_T5_P12ihipStream_tbEUlRKtE_EESM_SQ_SR_mSS_SV_bEUlT_E_NS1_11comp_targetILNS1_3genE8ELNS1_11target_archE1030ELNS1_3gpuE2ELNS1_3repE0EEENS1_30default_config_static_selectorELNS0_4arch9wavefront6targetE0EEEvSP_,@function
_ZN7rocprim17ROCPRIM_400000_NS6detail17trampoline_kernelINS0_14default_configENS1_27lower_bound_config_selectorItiEEZNS1_14transform_implILb0ES3_S5_N6thrust23THRUST_200600_302600_NS6detail15normal_iteratorINS8_10device_ptrItEEEENSA_INSB_IiEEEEZNS1_13binary_searchIS3_S5_SD_SD_SF_NS1_21lower_bound_search_opENS9_16wrapped_functionINS0_4lessIvEEbEEEE10hipError_tPvRmT1_T2_T3_mmT4_T5_P12ihipStream_tbEUlRKtE_EESM_SQ_SR_mSS_SV_bEUlT_E_NS1_11comp_targetILNS1_3genE8ELNS1_11target_archE1030ELNS1_3gpuE2ELNS1_3repE0EEENS1_30default_config_static_selectorELNS0_4arch9wavefront6targetE0EEEvSP_: ; @_ZN7rocprim17ROCPRIM_400000_NS6detail17trampoline_kernelINS0_14default_configENS1_27lower_bound_config_selectorItiEEZNS1_14transform_implILb0ES3_S5_N6thrust23THRUST_200600_302600_NS6detail15normal_iteratorINS8_10device_ptrItEEEENSA_INSB_IiEEEEZNS1_13binary_searchIS3_S5_SD_SD_SF_NS1_21lower_bound_search_opENS9_16wrapped_functionINS0_4lessIvEEbEEEE10hipError_tPvRmT1_T2_T3_mmT4_T5_P12ihipStream_tbEUlRKtE_EESM_SQ_SR_mSS_SV_bEUlT_E_NS1_11comp_targetILNS1_3genE8ELNS1_11target_archE1030ELNS1_3gpuE2ELNS1_3repE0EEENS1_30default_config_static_selectorELNS0_4arch9wavefront6targetE0EEEvSP_
; %bb.0:
	.section	.rodata,"a",@progbits
	.p2align	6, 0x0
	.amdhsa_kernel _ZN7rocprim17ROCPRIM_400000_NS6detail17trampoline_kernelINS0_14default_configENS1_27lower_bound_config_selectorItiEEZNS1_14transform_implILb0ES3_S5_N6thrust23THRUST_200600_302600_NS6detail15normal_iteratorINS8_10device_ptrItEEEENSA_INSB_IiEEEEZNS1_13binary_searchIS3_S5_SD_SD_SF_NS1_21lower_bound_search_opENS9_16wrapped_functionINS0_4lessIvEEbEEEE10hipError_tPvRmT1_T2_T3_mmT4_T5_P12ihipStream_tbEUlRKtE_EESM_SQ_SR_mSS_SV_bEUlT_E_NS1_11comp_targetILNS1_3genE8ELNS1_11target_archE1030ELNS1_3gpuE2ELNS1_3repE0EEENS1_30default_config_static_selectorELNS0_4arch9wavefront6targetE0EEEvSP_
		.amdhsa_group_segment_fixed_size 0
		.amdhsa_private_segment_fixed_size 0
		.amdhsa_kernarg_size 56
		.amdhsa_user_sgpr_count 15
		.amdhsa_user_sgpr_dispatch_ptr 0
		.amdhsa_user_sgpr_queue_ptr 0
		.amdhsa_user_sgpr_kernarg_segment_ptr 1
		.amdhsa_user_sgpr_dispatch_id 0
		.amdhsa_user_sgpr_private_segment_size 0
		.amdhsa_wavefront_size32 1
		.amdhsa_uses_dynamic_stack 0
		.amdhsa_enable_private_segment 0
		.amdhsa_system_sgpr_workgroup_id_x 1
		.amdhsa_system_sgpr_workgroup_id_y 0
		.amdhsa_system_sgpr_workgroup_id_z 0
		.amdhsa_system_sgpr_workgroup_info 0
		.amdhsa_system_vgpr_workitem_id 0
		.amdhsa_next_free_vgpr 1
		.amdhsa_next_free_sgpr 1
		.amdhsa_reserve_vcc 0
		.amdhsa_float_round_mode_32 0
		.amdhsa_float_round_mode_16_64 0
		.amdhsa_float_denorm_mode_32 3
		.amdhsa_float_denorm_mode_16_64 3
		.amdhsa_dx10_clamp 1
		.amdhsa_ieee_mode 1
		.amdhsa_fp16_overflow 0
		.amdhsa_workgroup_processor_mode 1
		.amdhsa_memory_ordered 1
		.amdhsa_forward_progress 0
		.amdhsa_shared_vgpr_count 0
		.amdhsa_exception_fp_ieee_invalid_op 0
		.amdhsa_exception_fp_denorm_src 0
		.amdhsa_exception_fp_ieee_div_zero 0
		.amdhsa_exception_fp_ieee_overflow 0
		.amdhsa_exception_fp_ieee_underflow 0
		.amdhsa_exception_fp_ieee_inexact 0
		.amdhsa_exception_int_div_zero 0
	.end_amdhsa_kernel
	.section	.text._ZN7rocprim17ROCPRIM_400000_NS6detail17trampoline_kernelINS0_14default_configENS1_27lower_bound_config_selectorItiEEZNS1_14transform_implILb0ES3_S5_N6thrust23THRUST_200600_302600_NS6detail15normal_iteratorINS8_10device_ptrItEEEENSA_INSB_IiEEEEZNS1_13binary_searchIS3_S5_SD_SD_SF_NS1_21lower_bound_search_opENS9_16wrapped_functionINS0_4lessIvEEbEEEE10hipError_tPvRmT1_T2_T3_mmT4_T5_P12ihipStream_tbEUlRKtE_EESM_SQ_SR_mSS_SV_bEUlT_E_NS1_11comp_targetILNS1_3genE8ELNS1_11target_archE1030ELNS1_3gpuE2ELNS1_3repE0EEENS1_30default_config_static_selectorELNS0_4arch9wavefront6targetE0EEEvSP_,"axG",@progbits,_ZN7rocprim17ROCPRIM_400000_NS6detail17trampoline_kernelINS0_14default_configENS1_27lower_bound_config_selectorItiEEZNS1_14transform_implILb0ES3_S5_N6thrust23THRUST_200600_302600_NS6detail15normal_iteratorINS8_10device_ptrItEEEENSA_INSB_IiEEEEZNS1_13binary_searchIS3_S5_SD_SD_SF_NS1_21lower_bound_search_opENS9_16wrapped_functionINS0_4lessIvEEbEEEE10hipError_tPvRmT1_T2_T3_mmT4_T5_P12ihipStream_tbEUlRKtE_EESM_SQ_SR_mSS_SV_bEUlT_E_NS1_11comp_targetILNS1_3genE8ELNS1_11target_archE1030ELNS1_3gpuE2ELNS1_3repE0EEENS1_30default_config_static_selectorELNS0_4arch9wavefront6targetE0EEEvSP_,comdat
.Lfunc_end299:
	.size	_ZN7rocprim17ROCPRIM_400000_NS6detail17trampoline_kernelINS0_14default_configENS1_27lower_bound_config_selectorItiEEZNS1_14transform_implILb0ES3_S5_N6thrust23THRUST_200600_302600_NS6detail15normal_iteratorINS8_10device_ptrItEEEENSA_INSB_IiEEEEZNS1_13binary_searchIS3_S5_SD_SD_SF_NS1_21lower_bound_search_opENS9_16wrapped_functionINS0_4lessIvEEbEEEE10hipError_tPvRmT1_T2_T3_mmT4_T5_P12ihipStream_tbEUlRKtE_EESM_SQ_SR_mSS_SV_bEUlT_E_NS1_11comp_targetILNS1_3genE8ELNS1_11target_archE1030ELNS1_3gpuE2ELNS1_3repE0EEENS1_30default_config_static_selectorELNS0_4arch9wavefront6targetE0EEEvSP_, .Lfunc_end299-_ZN7rocprim17ROCPRIM_400000_NS6detail17trampoline_kernelINS0_14default_configENS1_27lower_bound_config_selectorItiEEZNS1_14transform_implILb0ES3_S5_N6thrust23THRUST_200600_302600_NS6detail15normal_iteratorINS8_10device_ptrItEEEENSA_INSB_IiEEEEZNS1_13binary_searchIS3_S5_SD_SD_SF_NS1_21lower_bound_search_opENS9_16wrapped_functionINS0_4lessIvEEbEEEE10hipError_tPvRmT1_T2_T3_mmT4_T5_P12ihipStream_tbEUlRKtE_EESM_SQ_SR_mSS_SV_bEUlT_E_NS1_11comp_targetILNS1_3genE8ELNS1_11target_archE1030ELNS1_3gpuE2ELNS1_3repE0EEENS1_30default_config_static_selectorELNS0_4arch9wavefront6targetE0EEEvSP_
                                        ; -- End function
	.section	.AMDGPU.csdata,"",@progbits
; Kernel info:
; codeLenInByte = 0
; NumSgprs: 0
; NumVgprs: 0
; ScratchSize: 0
; MemoryBound: 0
; FloatMode: 240
; IeeeMode: 1
; LDSByteSize: 0 bytes/workgroup (compile time only)
; SGPRBlocks: 0
; VGPRBlocks: 0
; NumSGPRsForWavesPerEU: 1
; NumVGPRsForWavesPerEU: 1
; Occupancy: 16
; WaveLimiterHint : 0
; COMPUTE_PGM_RSRC2:SCRATCH_EN: 0
; COMPUTE_PGM_RSRC2:USER_SGPR: 15
; COMPUTE_PGM_RSRC2:TRAP_HANDLER: 0
; COMPUTE_PGM_RSRC2:TGID_X_EN: 1
; COMPUTE_PGM_RSRC2:TGID_Y_EN: 0
; COMPUTE_PGM_RSRC2:TGID_Z_EN: 0
; COMPUTE_PGM_RSRC2:TIDIG_COMP_CNT: 0
	.section	.text._ZN6thrust23THRUST_200600_302600_NS11hip_rocprim14__parallel_for6kernelILj256ENS1_10__tabulate7functorINS0_6detail15normal_iteratorINS0_10device_ptrIxEEEENS0_6system6detail7generic6detail22compute_sequence_valueIxvEElEElLj1EEEvT0_T1_SJ_,"axG",@progbits,_ZN6thrust23THRUST_200600_302600_NS11hip_rocprim14__parallel_for6kernelILj256ENS1_10__tabulate7functorINS0_6detail15normal_iteratorINS0_10device_ptrIxEEEENS0_6system6detail7generic6detail22compute_sequence_valueIxvEElEElLj1EEEvT0_T1_SJ_,comdat
	.protected	_ZN6thrust23THRUST_200600_302600_NS11hip_rocprim14__parallel_for6kernelILj256ENS1_10__tabulate7functorINS0_6detail15normal_iteratorINS0_10device_ptrIxEEEENS0_6system6detail7generic6detail22compute_sequence_valueIxvEElEElLj1EEEvT0_T1_SJ_ ; -- Begin function _ZN6thrust23THRUST_200600_302600_NS11hip_rocprim14__parallel_for6kernelILj256ENS1_10__tabulate7functorINS0_6detail15normal_iteratorINS0_10device_ptrIxEEEENS0_6system6detail7generic6detail22compute_sequence_valueIxvEElEElLj1EEEvT0_T1_SJ_
	.globl	_ZN6thrust23THRUST_200600_302600_NS11hip_rocprim14__parallel_for6kernelILj256ENS1_10__tabulate7functorINS0_6detail15normal_iteratorINS0_10device_ptrIxEEEENS0_6system6detail7generic6detail22compute_sequence_valueIxvEElEElLj1EEEvT0_T1_SJ_
	.p2align	8
	.type	_ZN6thrust23THRUST_200600_302600_NS11hip_rocprim14__parallel_for6kernelILj256ENS1_10__tabulate7functorINS0_6detail15normal_iteratorINS0_10device_ptrIxEEEENS0_6system6detail7generic6detail22compute_sequence_valueIxvEElEElLj1EEEvT0_T1_SJ_,@function
_ZN6thrust23THRUST_200600_302600_NS11hip_rocprim14__parallel_for6kernelILj256ENS1_10__tabulate7functorINS0_6detail15normal_iteratorINS0_10device_ptrIxEEEENS0_6system6detail7generic6detail22compute_sequence_valueIxvEElEElLj1EEEvT0_T1_SJ_: ; @_ZN6thrust23THRUST_200600_302600_NS11hip_rocprim14__parallel_for6kernelILj256ENS1_10__tabulate7functorINS0_6detail15normal_iteratorINS0_10device_ptrIxEEEENS0_6system6detail7generic6detail22compute_sequence_valueIxvEElEElLj1EEEvT0_T1_SJ_
; %bb.0:
	s_load_b128 s[4:7], s[0:1], 0x18
	s_lshl_b32 s2, s15, 8
	s_waitcnt lgkmcnt(0)
	s_add_u32 s2, s2, s6
	s_addc_u32 s3, 0, s7
	s_sub_u32 s4, s4, s2
	s_subb_u32 s5, s5, s3
	s_delay_alu instid0(SALU_CYCLE_1) | instskip(NEXT) | instid1(VALU_DEP_1)
	v_cmp_gt_i64_e64 s5, 0x100, s[4:5]
	s_and_b32 s5, s5, exec_lo
	s_cselect_b32 s4, s4, 0x100
	s_delay_alu instid0(SALU_CYCLE_1) | instskip(SKIP_2) | instid1(SALU_CYCLE_1)
	v_cmp_gt_u32_e32 vcc_lo, s4, v0
	s_cmpk_eq_i32 s4, 0x100
	s_cselect_b32 s4, -1, 0
	s_or_b32 s4, s4, vcc_lo
	s_delay_alu instid0(SALU_CYCLE_1)
	s_and_saveexec_b32 s5, s4
	s_cbranch_execz .LBB300_2
; %bb.1:
	s_clause 0x1
	s_load_b128 s[4:7], s[0:1], 0x0
	s_load_b64 s[0:1], s[0:1], 0x10
	v_add_co_u32 v0, s2, s2, v0
	s_delay_alu instid0(VALU_DEP_1) | instskip(SKIP_1) | instid1(VALU_DEP_2)
	v_add_co_ci_u32_e64 v1, null, s3, 0, s2
	s_waitcnt lgkmcnt(0)
	v_mad_u64_u32 v[2:3], null, s0, v0, s[6:7]
	s_delay_alu instid0(VALU_DEP_2) | instskip(SKIP_2) | instid1(VALU_DEP_1)
	v_mul_lo_u32 v4, s0, v1
	v_mul_lo_u32 v5, s1, v0
	v_lshlrev_b64 v[0:1], 3, v[0:1]
	v_add_co_u32 v0, vcc_lo, s4, v0
	s_delay_alu instid0(VALU_DEP_3) | instskip(NEXT) | instid1(VALU_DEP_3)
	v_add3_u32 v3, v5, v3, v4
	v_add_co_ci_u32_e32 v1, vcc_lo, s5, v1, vcc_lo
	flat_store_b64 v[0:1], v[2:3]
.LBB300_2:
	s_endpgm
	.section	.rodata,"a",@progbits
	.p2align	6, 0x0
	.amdhsa_kernel _ZN6thrust23THRUST_200600_302600_NS11hip_rocprim14__parallel_for6kernelILj256ENS1_10__tabulate7functorINS0_6detail15normal_iteratorINS0_10device_ptrIxEEEENS0_6system6detail7generic6detail22compute_sequence_valueIxvEElEElLj1EEEvT0_T1_SJ_
		.amdhsa_group_segment_fixed_size 0
		.amdhsa_private_segment_fixed_size 0
		.amdhsa_kernarg_size 40
		.amdhsa_user_sgpr_count 15
		.amdhsa_user_sgpr_dispatch_ptr 0
		.amdhsa_user_sgpr_queue_ptr 0
		.amdhsa_user_sgpr_kernarg_segment_ptr 1
		.amdhsa_user_sgpr_dispatch_id 0
		.amdhsa_user_sgpr_private_segment_size 0
		.amdhsa_wavefront_size32 1
		.amdhsa_uses_dynamic_stack 0
		.amdhsa_enable_private_segment 0
		.amdhsa_system_sgpr_workgroup_id_x 1
		.amdhsa_system_sgpr_workgroup_id_y 0
		.amdhsa_system_sgpr_workgroup_id_z 0
		.amdhsa_system_sgpr_workgroup_info 0
		.amdhsa_system_vgpr_workitem_id 0
		.amdhsa_next_free_vgpr 6
		.amdhsa_next_free_sgpr 16
		.amdhsa_reserve_vcc 1
		.amdhsa_float_round_mode_32 0
		.amdhsa_float_round_mode_16_64 0
		.amdhsa_float_denorm_mode_32 3
		.amdhsa_float_denorm_mode_16_64 3
		.amdhsa_dx10_clamp 1
		.amdhsa_ieee_mode 1
		.amdhsa_fp16_overflow 0
		.amdhsa_workgroup_processor_mode 1
		.amdhsa_memory_ordered 1
		.amdhsa_forward_progress 0
		.amdhsa_shared_vgpr_count 0
		.amdhsa_exception_fp_ieee_invalid_op 0
		.amdhsa_exception_fp_denorm_src 0
		.amdhsa_exception_fp_ieee_div_zero 0
		.amdhsa_exception_fp_ieee_overflow 0
		.amdhsa_exception_fp_ieee_underflow 0
		.amdhsa_exception_fp_ieee_inexact 0
		.amdhsa_exception_int_div_zero 0
	.end_amdhsa_kernel
	.section	.text._ZN6thrust23THRUST_200600_302600_NS11hip_rocprim14__parallel_for6kernelILj256ENS1_10__tabulate7functorINS0_6detail15normal_iteratorINS0_10device_ptrIxEEEENS0_6system6detail7generic6detail22compute_sequence_valueIxvEElEElLj1EEEvT0_T1_SJ_,"axG",@progbits,_ZN6thrust23THRUST_200600_302600_NS11hip_rocprim14__parallel_for6kernelILj256ENS1_10__tabulate7functorINS0_6detail15normal_iteratorINS0_10device_ptrIxEEEENS0_6system6detail7generic6detail22compute_sequence_valueIxvEElEElLj1EEEvT0_T1_SJ_,comdat
.Lfunc_end300:
	.size	_ZN6thrust23THRUST_200600_302600_NS11hip_rocprim14__parallel_for6kernelILj256ENS1_10__tabulate7functorINS0_6detail15normal_iteratorINS0_10device_ptrIxEEEENS0_6system6detail7generic6detail22compute_sequence_valueIxvEElEElLj1EEEvT0_T1_SJ_, .Lfunc_end300-_ZN6thrust23THRUST_200600_302600_NS11hip_rocprim14__parallel_for6kernelILj256ENS1_10__tabulate7functorINS0_6detail15normal_iteratorINS0_10device_ptrIxEEEENS0_6system6detail7generic6detail22compute_sequence_valueIxvEElEElLj1EEEvT0_T1_SJ_
                                        ; -- End function
	.section	.AMDGPU.csdata,"",@progbits
; Kernel info:
; codeLenInByte = 208
; NumSgprs: 18
; NumVgprs: 6
; ScratchSize: 0
; MemoryBound: 0
; FloatMode: 240
; IeeeMode: 1
; LDSByteSize: 0 bytes/workgroup (compile time only)
; SGPRBlocks: 2
; VGPRBlocks: 0
; NumSGPRsForWavesPerEU: 18
; NumVGPRsForWavesPerEU: 6
; Occupancy: 16
; WaveLimiterHint : 0
; COMPUTE_PGM_RSRC2:SCRATCH_EN: 0
; COMPUTE_PGM_RSRC2:USER_SGPR: 15
; COMPUTE_PGM_RSRC2:TRAP_HANDLER: 0
; COMPUTE_PGM_RSRC2:TGID_X_EN: 1
; COMPUTE_PGM_RSRC2:TGID_Y_EN: 0
; COMPUTE_PGM_RSRC2:TGID_Z_EN: 0
; COMPUTE_PGM_RSRC2:TIDIG_COMP_CNT: 0
	.section	.text._ZN7rocprim17ROCPRIM_400000_NS6detail17trampoline_kernelINS0_14default_configENS1_27lower_bound_config_selectorIxiEEZNS1_14transform_implILb0ES3_S5_N6thrust23THRUST_200600_302600_NS6detail15normal_iteratorINS8_10device_ptrIxEEEENSA_INSB_IiEEEEZNS1_13binary_searchIS3_S5_SD_SD_SF_NS1_21lower_bound_search_opENS9_16wrapped_functionINS0_4lessIvEEbEEEE10hipError_tPvRmT1_T2_T3_mmT4_T5_P12ihipStream_tbEUlRKxE_EESM_SQ_SR_mSS_SV_bEUlT_E_NS1_11comp_targetILNS1_3genE0ELNS1_11target_archE4294967295ELNS1_3gpuE0ELNS1_3repE0EEENS1_30default_config_static_selectorELNS0_4arch9wavefront6targetE0EEEvSP_,"axG",@progbits,_ZN7rocprim17ROCPRIM_400000_NS6detail17trampoline_kernelINS0_14default_configENS1_27lower_bound_config_selectorIxiEEZNS1_14transform_implILb0ES3_S5_N6thrust23THRUST_200600_302600_NS6detail15normal_iteratorINS8_10device_ptrIxEEEENSA_INSB_IiEEEEZNS1_13binary_searchIS3_S5_SD_SD_SF_NS1_21lower_bound_search_opENS9_16wrapped_functionINS0_4lessIvEEbEEEE10hipError_tPvRmT1_T2_T3_mmT4_T5_P12ihipStream_tbEUlRKxE_EESM_SQ_SR_mSS_SV_bEUlT_E_NS1_11comp_targetILNS1_3genE0ELNS1_11target_archE4294967295ELNS1_3gpuE0ELNS1_3repE0EEENS1_30default_config_static_selectorELNS0_4arch9wavefront6targetE0EEEvSP_,comdat
	.protected	_ZN7rocprim17ROCPRIM_400000_NS6detail17trampoline_kernelINS0_14default_configENS1_27lower_bound_config_selectorIxiEEZNS1_14transform_implILb0ES3_S5_N6thrust23THRUST_200600_302600_NS6detail15normal_iteratorINS8_10device_ptrIxEEEENSA_INSB_IiEEEEZNS1_13binary_searchIS3_S5_SD_SD_SF_NS1_21lower_bound_search_opENS9_16wrapped_functionINS0_4lessIvEEbEEEE10hipError_tPvRmT1_T2_T3_mmT4_T5_P12ihipStream_tbEUlRKxE_EESM_SQ_SR_mSS_SV_bEUlT_E_NS1_11comp_targetILNS1_3genE0ELNS1_11target_archE4294967295ELNS1_3gpuE0ELNS1_3repE0EEENS1_30default_config_static_selectorELNS0_4arch9wavefront6targetE0EEEvSP_ ; -- Begin function _ZN7rocprim17ROCPRIM_400000_NS6detail17trampoline_kernelINS0_14default_configENS1_27lower_bound_config_selectorIxiEEZNS1_14transform_implILb0ES3_S5_N6thrust23THRUST_200600_302600_NS6detail15normal_iteratorINS8_10device_ptrIxEEEENSA_INSB_IiEEEEZNS1_13binary_searchIS3_S5_SD_SD_SF_NS1_21lower_bound_search_opENS9_16wrapped_functionINS0_4lessIvEEbEEEE10hipError_tPvRmT1_T2_T3_mmT4_T5_P12ihipStream_tbEUlRKxE_EESM_SQ_SR_mSS_SV_bEUlT_E_NS1_11comp_targetILNS1_3genE0ELNS1_11target_archE4294967295ELNS1_3gpuE0ELNS1_3repE0EEENS1_30default_config_static_selectorELNS0_4arch9wavefront6targetE0EEEvSP_
	.globl	_ZN7rocprim17ROCPRIM_400000_NS6detail17trampoline_kernelINS0_14default_configENS1_27lower_bound_config_selectorIxiEEZNS1_14transform_implILb0ES3_S5_N6thrust23THRUST_200600_302600_NS6detail15normal_iteratorINS8_10device_ptrIxEEEENSA_INSB_IiEEEEZNS1_13binary_searchIS3_S5_SD_SD_SF_NS1_21lower_bound_search_opENS9_16wrapped_functionINS0_4lessIvEEbEEEE10hipError_tPvRmT1_T2_T3_mmT4_T5_P12ihipStream_tbEUlRKxE_EESM_SQ_SR_mSS_SV_bEUlT_E_NS1_11comp_targetILNS1_3genE0ELNS1_11target_archE4294967295ELNS1_3gpuE0ELNS1_3repE0EEENS1_30default_config_static_selectorELNS0_4arch9wavefront6targetE0EEEvSP_
	.p2align	8
	.type	_ZN7rocprim17ROCPRIM_400000_NS6detail17trampoline_kernelINS0_14default_configENS1_27lower_bound_config_selectorIxiEEZNS1_14transform_implILb0ES3_S5_N6thrust23THRUST_200600_302600_NS6detail15normal_iteratorINS8_10device_ptrIxEEEENSA_INSB_IiEEEEZNS1_13binary_searchIS3_S5_SD_SD_SF_NS1_21lower_bound_search_opENS9_16wrapped_functionINS0_4lessIvEEbEEEE10hipError_tPvRmT1_T2_T3_mmT4_T5_P12ihipStream_tbEUlRKxE_EESM_SQ_SR_mSS_SV_bEUlT_E_NS1_11comp_targetILNS1_3genE0ELNS1_11target_archE4294967295ELNS1_3gpuE0ELNS1_3repE0EEENS1_30default_config_static_selectorELNS0_4arch9wavefront6targetE0EEEvSP_,@function
_ZN7rocprim17ROCPRIM_400000_NS6detail17trampoline_kernelINS0_14default_configENS1_27lower_bound_config_selectorIxiEEZNS1_14transform_implILb0ES3_S5_N6thrust23THRUST_200600_302600_NS6detail15normal_iteratorINS8_10device_ptrIxEEEENSA_INSB_IiEEEEZNS1_13binary_searchIS3_S5_SD_SD_SF_NS1_21lower_bound_search_opENS9_16wrapped_functionINS0_4lessIvEEbEEEE10hipError_tPvRmT1_T2_T3_mmT4_T5_P12ihipStream_tbEUlRKxE_EESM_SQ_SR_mSS_SV_bEUlT_E_NS1_11comp_targetILNS1_3genE0ELNS1_11target_archE4294967295ELNS1_3gpuE0ELNS1_3repE0EEENS1_30default_config_static_selectorELNS0_4arch9wavefront6targetE0EEEvSP_: ; @_ZN7rocprim17ROCPRIM_400000_NS6detail17trampoline_kernelINS0_14default_configENS1_27lower_bound_config_selectorIxiEEZNS1_14transform_implILb0ES3_S5_N6thrust23THRUST_200600_302600_NS6detail15normal_iteratorINS8_10device_ptrIxEEEENSA_INSB_IiEEEEZNS1_13binary_searchIS3_S5_SD_SD_SF_NS1_21lower_bound_search_opENS9_16wrapped_functionINS0_4lessIvEEbEEEE10hipError_tPvRmT1_T2_T3_mmT4_T5_P12ihipStream_tbEUlRKxE_EESM_SQ_SR_mSS_SV_bEUlT_E_NS1_11comp_targetILNS1_3genE0ELNS1_11target_archE4294967295ELNS1_3gpuE0ELNS1_3repE0EEENS1_30default_config_static_selectorELNS0_4arch9wavefront6targetE0EEEvSP_
; %bb.0:
	.section	.rodata,"a",@progbits
	.p2align	6, 0x0
	.amdhsa_kernel _ZN7rocprim17ROCPRIM_400000_NS6detail17trampoline_kernelINS0_14default_configENS1_27lower_bound_config_selectorIxiEEZNS1_14transform_implILb0ES3_S5_N6thrust23THRUST_200600_302600_NS6detail15normal_iteratorINS8_10device_ptrIxEEEENSA_INSB_IiEEEEZNS1_13binary_searchIS3_S5_SD_SD_SF_NS1_21lower_bound_search_opENS9_16wrapped_functionINS0_4lessIvEEbEEEE10hipError_tPvRmT1_T2_T3_mmT4_T5_P12ihipStream_tbEUlRKxE_EESM_SQ_SR_mSS_SV_bEUlT_E_NS1_11comp_targetILNS1_3genE0ELNS1_11target_archE4294967295ELNS1_3gpuE0ELNS1_3repE0EEENS1_30default_config_static_selectorELNS0_4arch9wavefront6targetE0EEEvSP_
		.amdhsa_group_segment_fixed_size 0
		.amdhsa_private_segment_fixed_size 0
		.amdhsa_kernarg_size 56
		.amdhsa_user_sgpr_count 15
		.amdhsa_user_sgpr_dispatch_ptr 0
		.amdhsa_user_sgpr_queue_ptr 0
		.amdhsa_user_sgpr_kernarg_segment_ptr 1
		.amdhsa_user_sgpr_dispatch_id 0
		.amdhsa_user_sgpr_private_segment_size 0
		.amdhsa_wavefront_size32 1
		.amdhsa_uses_dynamic_stack 0
		.amdhsa_enable_private_segment 0
		.amdhsa_system_sgpr_workgroup_id_x 1
		.amdhsa_system_sgpr_workgroup_id_y 0
		.amdhsa_system_sgpr_workgroup_id_z 0
		.amdhsa_system_sgpr_workgroup_info 0
		.amdhsa_system_vgpr_workitem_id 0
		.amdhsa_next_free_vgpr 1
		.amdhsa_next_free_sgpr 1
		.amdhsa_reserve_vcc 0
		.amdhsa_float_round_mode_32 0
		.amdhsa_float_round_mode_16_64 0
		.amdhsa_float_denorm_mode_32 3
		.amdhsa_float_denorm_mode_16_64 3
		.amdhsa_dx10_clamp 1
		.amdhsa_ieee_mode 1
		.amdhsa_fp16_overflow 0
		.amdhsa_workgroup_processor_mode 1
		.amdhsa_memory_ordered 1
		.amdhsa_forward_progress 0
		.amdhsa_shared_vgpr_count 0
		.amdhsa_exception_fp_ieee_invalid_op 0
		.amdhsa_exception_fp_denorm_src 0
		.amdhsa_exception_fp_ieee_div_zero 0
		.amdhsa_exception_fp_ieee_overflow 0
		.amdhsa_exception_fp_ieee_underflow 0
		.amdhsa_exception_fp_ieee_inexact 0
		.amdhsa_exception_int_div_zero 0
	.end_amdhsa_kernel
	.section	.text._ZN7rocprim17ROCPRIM_400000_NS6detail17trampoline_kernelINS0_14default_configENS1_27lower_bound_config_selectorIxiEEZNS1_14transform_implILb0ES3_S5_N6thrust23THRUST_200600_302600_NS6detail15normal_iteratorINS8_10device_ptrIxEEEENSA_INSB_IiEEEEZNS1_13binary_searchIS3_S5_SD_SD_SF_NS1_21lower_bound_search_opENS9_16wrapped_functionINS0_4lessIvEEbEEEE10hipError_tPvRmT1_T2_T3_mmT4_T5_P12ihipStream_tbEUlRKxE_EESM_SQ_SR_mSS_SV_bEUlT_E_NS1_11comp_targetILNS1_3genE0ELNS1_11target_archE4294967295ELNS1_3gpuE0ELNS1_3repE0EEENS1_30default_config_static_selectorELNS0_4arch9wavefront6targetE0EEEvSP_,"axG",@progbits,_ZN7rocprim17ROCPRIM_400000_NS6detail17trampoline_kernelINS0_14default_configENS1_27lower_bound_config_selectorIxiEEZNS1_14transform_implILb0ES3_S5_N6thrust23THRUST_200600_302600_NS6detail15normal_iteratorINS8_10device_ptrIxEEEENSA_INSB_IiEEEEZNS1_13binary_searchIS3_S5_SD_SD_SF_NS1_21lower_bound_search_opENS9_16wrapped_functionINS0_4lessIvEEbEEEE10hipError_tPvRmT1_T2_T3_mmT4_T5_P12ihipStream_tbEUlRKxE_EESM_SQ_SR_mSS_SV_bEUlT_E_NS1_11comp_targetILNS1_3genE0ELNS1_11target_archE4294967295ELNS1_3gpuE0ELNS1_3repE0EEENS1_30default_config_static_selectorELNS0_4arch9wavefront6targetE0EEEvSP_,comdat
.Lfunc_end301:
	.size	_ZN7rocprim17ROCPRIM_400000_NS6detail17trampoline_kernelINS0_14default_configENS1_27lower_bound_config_selectorIxiEEZNS1_14transform_implILb0ES3_S5_N6thrust23THRUST_200600_302600_NS6detail15normal_iteratorINS8_10device_ptrIxEEEENSA_INSB_IiEEEEZNS1_13binary_searchIS3_S5_SD_SD_SF_NS1_21lower_bound_search_opENS9_16wrapped_functionINS0_4lessIvEEbEEEE10hipError_tPvRmT1_T2_T3_mmT4_T5_P12ihipStream_tbEUlRKxE_EESM_SQ_SR_mSS_SV_bEUlT_E_NS1_11comp_targetILNS1_3genE0ELNS1_11target_archE4294967295ELNS1_3gpuE0ELNS1_3repE0EEENS1_30default_config_static_selectorELNS0_4arch9wavefront6targetE0EEEvSP_, .Lfunc_end301-_ZN7rocprim17ROCPRIM_400000_NS6detail17trampoline_kernelINS0_14default_configENS1_27lower_bound_config_selectorIxiEEZNS1_14transform_implILb0ES3_S5_N6thrust23THRUST_200600_302600_NS6detail15normal_iteratorINS8_10device_ptrIxEEEENSA_INSB_IiEEEEZNS1_13binary_searchIS3_S5_SD_SD_SF_NS1_21lower_bound_search_opENS9_16wrapped_functionINS0_4lessIvEEbEEEE10hipError_tPvRmT1_T2_T3_mmT4_T5_P12ihipStream_tbEUlRKxE_EESM_SQ_SR_mSS_SV_bEUlT_E_NS1_11comp_targetILNS1_3genE0ELNS1_11target_archE4294967295ELNS1_3gpuE0ELNS1_3repE0EEENS1_30default_config_static_selectorELNS0_4arch9wavefront6targetE0EEEvSP_
                                        ; -- End function
	.section	.AMDGPU.csdata,"",@progbits
; Kernel info:
; codeLenInByte = 0
; NumSgprs: 0
; NumVgprs: 0
; ScratchSize: 0
; MemoryBound: 0
; FloatMode: 240
; IeeeMode: 1
; LDSByteSize: 0 bytes/workgroup (compile time only)
; SGPRBlocks: 0
; VGPRBlocks: 0
; NumSGPRsForWavesPerEU: 1
; NumVGPRsForWavesPerEU: 1
; Occupancy: 16
; WaveLimiterHint : 0
; COMPUTE_PGM_RSRC2:SCRATCH_EN: 0
; COMPUTE_PGM_RSRC2:USER_SGPR: 15
; COMPUTE_PGM_RSRC2:TRAP_HANDLER: 0
; COMPUTE_PGM_RSRC2:TGID_X_EN: 1
; COMPUTE_PGM_RSRC2:TGID_Y_EN: 0
; COMPUTE_PGM_RSRC2:TGID_Z_EN: 0
; COMPUTE_PGM_RSRC2:TIDIG_COMP_CNT: 0
	.section	.text._ZN7rocprim17ROCPRIM_400000_NS6detail17trampoline_kernelINS0_14default_configENS1_27lower_bound_config_selectorIxiEEZNS1_14transform_implILb0ES3_S5_N6thrust23THRUST_200600_302600_NS6detail15normal_iteratorINS8_10device_ptrIxEEEENSA_INSB_IiEEEEZNS1_13binary_searchIS3_S5_SD_SD_SF_NS1_21lower_bound_search_opENS9_16wrapped_functionINS0_4lessIvEEbEEEE10hipError_tPvRmT1_T2_T3_mmT4_T5_P12ihipStream_tbEUlRKxE_EESM_SQ_SR_mSS_SV_bEUlT_E_NS1_11comp_targetILNS1_3genE5ELNS1_11target_archE942ELNS1_3gpuE9ELNS1_3repE0EEENS1_30default_config_static_selectorELNS0_4arch9wavefront6targetE0EEEvSP_,"axG",@progbits,_ZN7rocprim17ROCPRIM_400000_NS6detail17trampoline_kernelINS0_14default_configENS1_27lower_bound_config_selectorIxiEEZNS1_14transform_implILb0ES3_S5_N6thrust23THRUST_200600_302600_NS6detail15normal_iteratorINS8_10device_ptrIxEEEENSA_INSB_IiEEEEZNS1_13binary_searchIS3_S5_SD_SD_SF_NS1_21lower_bound_search_opENS9_16wrapped_functionINS0_4lessIvEEbEEEE10hipError_tPvRmT1_T2_T3_mmT4_T5_P12ihipStream_tbEUlRKxE_EESM_SQ_SR_mSS_SV_bEUlT_E_NS1_11comp_targetILNS1_3genE5ELNS1_11target_archE942ELNS1_3gpuE9ELNS1_3repE0EEENS1_30default_config_static_selectorELNS0_4arch9wavefront6targetE0EEEvSP_,comdat
	.protected	_ZN7rocprim17ROCPRIM_400000_NS6detail17trampoline_kernelINS0_14default_configENS1_27lower_bound_config_selectorIxiEEZNS1_14transform_implILb0ES3_S5_N6thrust23THRUST_200600_302600_NS6detail15normal_iteratorINS8_10device_ptrIxEEEENSA_INSB_IiEEEEZNS1_13binary_searchIS3_S5_SD_SD_SF_NS1_21lower_bound_search_opENS9_16wrapped_functionINS0_4lessIvEEbEEEE10hipError_tPvRmT1_T2_T3_mmT4_T5_P12ihipStream_tbEUlRKxE_EESM_SQ_SR_mSS_SV_bEUlT_E_NS1_11comp_targetILNS1_3genE5ELNS1_11target_archE942ELNS1_3gpuE9ELNS1_3repE0EEENS1_30default_config_static_selectorELNS0_4arch9wavefront6targetE0EEEvSP_ ; -- Begin function _ZN7rocprim17ROCPRIM_400000_NS6detail17trampoline_kernelINS0_14default_configENS1_27lower_bound_config_selectorIxiEEZNS1_14transform_implILb0ES3_S5_N6thrust23THRUST_200600_302600_NS6detail15normal_iteratorINS8_10device_ptrIxEEEENSA_INSB_IiEEEEZNS1_13binary_searchIS3_S5_SD_SD_SF_NS1_21lower_bound_search_opENS9_16wrapped_functionINS0_4lessIvEEbEEEE10hipError_tPvRmT1_T2_T3_mmT4_T5_P12ihipStream_tbEUlRKxE_EESM_SQ_SR_mSS_SV_bEUlT_E_NS1_11comp_targetILNS1_3genE5ELNS1_11target_archE942ELNS1_3gpuE9ELNS1_3repE0EEENS1_30default_config_static_selectorELNS0_4arch9wavefront6targetE0EEEvSP_
	.globl	_ZN7rocprim17ROCPRIM_400000_NS6detail17trampoline_kernelINS0_14default_configENS1_27lower_bound_config_selectorIxiEEZNS1_14transform_implILb0ES3_S5_N6thrust23THRUST_200600_302600_NS6detail15normal_iteratorINS8_10device_ptrIxEEEENSA_INSB_IiEEEEZNS1_13binary_searchIS3_S5_SD_SD_SF_NS1_21lower_bound_search_opENS9_16wrapped_functionINS0_4lessIvEEbEEEE10hipError_tPvRmT1_T2_T3_mmT4_T5_P12ihipStream_tbEUlRKxE_EESM_SQ_SR_mSS_SV_bEUlT_E_NS1_11comp_targetILNS1_3genE5ELNS1_11target_archE942ELNS1_3gpuE9ELNS1_3repE0EEENS1_30default_config_static_selectorELNS0_4arch9wavefront6targetE0EEEvSP_
	.p2align	8
	.type	_ZN7rocprim17ROCPRIM_400000_NS6detail17trampoline_kernelINS0_14default_configENS1_27lower_bound_config_selectorIxiEEZNS1_14transform_implILb0ES3_S5_N6thrust23THRUST_200600_302600_NS6detail15normal_iteratorINS8_10device_ptrIxEEEENSA_INSB_IiEEEEZNS1_13binary_searchIS3_S5_SD_SD_SF_NS1_21lower_bound_search_opENS9_16wrapped_functionINS0_4lessIvEEbEEEE10hipError_tPvRmT1_T2_T3_mmT4_T5_P12ihipStream_tbEUlRKxE_EESM_SQ_SR_mSS_SV_bEUlT_E_NS1_11comp_targetILNS1_3genE5ELNS1_11target_archE942ELNS1_3gpuE9ELNS1_3repE0EEENS1_30default_config_static_selectorELNS0_4arch9wavefront6targetE0EEEvSP_,@function
_ZN7rocprim17ROCPRIM_400000_NS6detail17trampoline_kernelINS0_14default_configENS1_27lower_bound_config_selectorIxiEEZNS1_14transform_implILb0ES3_S5_N6thrust23THRUST_200600_302600_NS6detail15normal_iteratorINS8_10device_ptrIxEEEENSA_INSB_IiEEEEZNS1_13binary_searchIS3_S5_SD_SD_SF_NS1_21lower_bound_search_opENS9_16wrapped_functionINS0_4lessIvEEbEEEE10hipError_tPvRmT1_T2_T3_mmT4_T5_P12ihipStream_tbEUlRKxE_EESM_SQ_SR_mSS_SV_bEUlT_E_NS1_11comp_targetILNS1_3genE5ELNS1_11target_archE942ELNS1_3gpuE9ELNS1_3repE0EEENS1_30default_config_static_selectorELNS0_4arch9wavefront6targetE0EEEvSP_: ; @_ZN7rocprim17ROCPRIM_400000_NS6detail17trampoline_kernelINS0_14default_configENS1_27lower_bound_config_selectorIxiEEZNS1_14transform_implILb0ES3_S5_N6thrust23THRUST_200600_302600_NS6detail15normal_iteratorINS8_10device_ptrIxEEEENSA_INSB_IiEEEEZNS1_13binary_searchIS3_S5_SD_SD_SF_NS1_21lower_bound_search_opENS9_16wrapped_functionINS0_4lessIvEEbEEEE10hipError_tPvRmT1_T2_T3_mmT4_T5_P12ihipStream_tbEUlRKxE_EESM_SQ_SR_mSS_SV_bEUlT_E_NS1_11comp_targetILNS1_3genE5ELNS1_11target_archE942ELNS1_3gpuE9ELNS1_3repE0EEENS1_30default_config_static_selectorELNS0_4arch9wavefront6targetE0EEEvSP_
; %bb.0:
	.section	.rodata,"a",@progbits
	.p2align	6, 0x0
	.amdhsa_kernel _ZN7rocprim17ROCPRIM_400000_NS6detail17trampoline_kernelINS0_14default_configENS1_27lower_bound_config_selectorIxiEEZNS1_14transform_implILb0ES3_S5_N6thrust23THRUST_200600_302600_NS6detail15normal_iteratorINS8_10device_ptrIxEEEENSA_INSB_IiEEEEZNS1_13binary_searchIS3_S5_SD_SD_SF_NS1_21lower_bound_search_opENS9_16wrapped_functionINS0_4lessIvEEbEEEE10hipError_tPvRmT1_T2_T3_mmT4_T5_P12ihipStream_tbEUlRKxE_EESM_SQ_SR_mSS_SV_bEUlT_E_NS1_11comp_targetILNS1_3genE5ELNS1_11target_archE942ELNS1_3gpuE9ELNS1_3repE0EEENS1_30default_config_static_selectorELNS0_4arch9wavefront6targetE0EEEvSP_
		.amdhsa_group_segment_fixed_size 0
		.amdhsa_private_segment_fixed_size 0
		.amdhsa_kernarg_size 56
		.amdhsa_user_sgpr_count 15
		.amdhsa_user_sgpr_dispatch_ptr 0
		.amdhsa_user_sgpr_queue_ptr 0
		.amdhsa_user_sgpr_kernarg_segment_ptr 1
		.amdhsa_user_sgpr_dispatch_id 0
		.amdhsa_user_sgpr_private_segment_size 0
		.amdhsa_wavefront_size32 1
		.amdhsa_uses_dynamic_stack 0
		.amdhsa_enable_private_segment 0
		.amdhsa_system_sgpr_workgroup_id_x 1
		.amdhsa_system_sgpr_workgroup_id_y 0
		.amdhsa_system_sgpr_workgroup_id_z 0
		.amdhsa_system_sgpr_workgroup_info 0
		.amdhsa_system_vgpr_workitem_id 0
		.amdhsa_next_free_vgpr 1
		.amdhsa_next_free_sgpr 1
		.amdhsa_reserve_vcc 0
		.amdhsa_float_round_mode_32 0
		.amdhsa_float_round_mode_16_64 0
		.amdhsa_float_denorm_mode_32 3
		.amdhsa_float_denorm_mode_16_64 3
		.amdhsa_dx10_clamp 1
		.amdhsa_ieee_mode 1
		.amdhsa_fp16_overflow 0
		.amdhsa_workgroup_processor_mode 1
		.amdhsa_memory_ordered 1
		.amdhsa_forward_progress 0
		.amdhsa_shared_vgpr_count 0
		.amdhsa_exception_fp_ieee_invalid_op 0
		.amdhsa_exception_fp_denorm_src 0
		.amdhsa_exception_fp_ieee_div_zero 0
		.amdhsa_exception_fp_ieee_overflow 0
		.amdhsa_exception_fp_ieee_underflow 0
		.amdhsa_exception_fp_ieee_inexact 0
		.amdhsa_exception_int_div_zero 0
	.end_amdhsa_kernel
	.section	.text._ZN7rocprim17ROCPRIM_400000_NS6detail17trampoline_kernelINS0_14default_configENS1_27lower_bound_config_selectorIxiEEZNS1_14transform_implILb0ES3_S5_N6thrust23THRUST_200600_302600_NS6detail15normal_iteratorINS8_10device_ptrIxEEEENSA_INSB_IiEEEEZNS1_13binary_searchIS3_S5_SD_SD_SF_NS1_21lower_bound_search_opENS9_16wrapped_functionINS0_4lessIvEEbEEEE10hipError_tPvRmT1_T2_T3_mmT4_T5_P12ihipStream_tbEUlRKxE_EESM_SQ_SR_mSS_SV_bEUlT_E_NS1_11comp_targetILNS1_3genE5ELNS1_11target_archE942ELNS1_3gpuE9ELNS1_3repE0EEENS1_30default_config_static_selectorELNS0_4arch9wavefront6targetE0EEEvSP_,"axG",@progbits,_ZN7rocprim17ROCPRIM_400000_NS6detail17trampoline_kernelINS0_14default_configENS1_27lower_bound_config_selectorIxiEEZNS1_14transform_implILb0ES3_S5_N6thrust23THRUST_200600_302600_NS6detail15normal_iteratorINS8_10device_ptrIxEEEENSA_INSB_IiEEEEZNS1_13binary_searchIS3_S5_SD_SD_SF_NS1_21lower_bound_search_opENS9_16wrapped_functionINS0_4lessIvEEbEEEE10hipError_tPvRmT1_T2_T3_mmT4_T5_P12ihipStream_tbEUlRKxE_EESM_SQ_SR_mSS_SV_bEUlT_E_NS1_11comp_targetILNS1_3genE5ELNS1_11target_archE942ELNS1_3gpuE9ELNS1_3repE0EEENS1_30default_config_static_selectorELNS0_4arch9wavefront6targetE0EEEvSP_,comdat
.Lfunc_end302:
	.size	_ZN7rocprim17ROCPRIM_400000_NS6detail17trampoline_kernelINS0_14default_configENS1_27lower_bound_config_selectorIxiEEZNS1_14transform_implILb0ES3_S5_N6thrust23THRUST_200600_302600_NS6detail15normal_iteratorINS8_10device_ptrIxEEEENSA_INSB_IiEEEEZNS1_13binary_searchIS3_S5_SD_SD_SF_NS1_21lower_bound_search_opENS9_16wrapped_functionINS0_4lessIvEEbEEEE10hipError_tPvRmT1_T2_T3_mmT4_T5_P12ihipStream_tbEUlRKxE_EESM_SQ_SR_mSS_SV_bEUlT_E_NS1_11comp_targetILNS1_3genE5ELNS1_11target_archE942ELNS1_3gpuE9ELNS1_3repE0EEENS1_30default_config_static_selectorELNS0_4arch9wavefront6targetE0EEEvSP_, .Lfunc_end302-_ZN7rocprim17ROCPRIM_400000_NS6detail17trampoline_kernelINS0_14default_configENS1_27lower_bound_config_selectorIxiEEZNS1_14transform_implILb0ES3_S5_N6thrust23THRUST_200600_302600_NS6detail15normal_iteratorINS8_10device_ptrIxEEEENSA_INSB_IiEEEEZNS1_13binary_searchIS3_S5_SD_SD_SF_NS1_21lower_bound_search_opENS9_16wrapped_functionINS0_4lessIvEEbEEEE10hipError_tPvRmT1_T2_T3_mmT4_T5_P12ihipStream_tbEUlRKxE_EESM_SQ_SR_mSS_SV_bEUlT_E_NS1_11comp_targetILNS1_3genE5ELNS1_11target_archE942ELNS1_3gpuE9ELNS1_3repE0EEENS1_30default_config_static_selectorELNS0_4arch9wavefront6targetE0EEEvSP_
                                        ; -- End function
	.section	.AMDGPU.csdata,"",@progbits
; Kernel info:
; codeLenInByte = 0
; NumSgprs: 0
; NumVgprs: 0
; ScratchSize: 0
; MemoryBound: 0
; FloatMode: 240
; IeeeMode: 1
; LDSByteSize: 0 bytes/workgroup (compile time only)
; SGPRBlocks: 0
; VGPRBlocks: 0
; NumSGPRsForWavesPerEU: 1
; NumVGPRsForWavesPerEU: 1
; Occupancy: 16
; WaveLimiterHint : 0
; COMPUTE_PGM_RSRC2:SCRATCH_EN: 0
; COMPUTE_PGM_RSRC2:USER_SGPR: 15
; COMPUTE_PGM_RSRC2:TRAP_HANDLER: 0
; COMPUTE_PGM_RSRC2:TGID_X_EN: 1
; COMPUTE_PGM_RSRC2:TGID_Y_EN: 0
; COMPUTE_PGM_RSRC2:TGID_Z_EN: 0
; COMPUTE_PGM_RSRC2:TIDIG_COMP_CNT: 0
	.section	.text._ZN7rocprim17ROCPRIM_400000_NS6detail17trampoline_kernelINS0_14default_configENS1_27lower_bound_config_selectorIxiEEZNS1_14transform_implILb0ES3_S5_N6thrust23THRUST_200600_302600_NS6detail15normal_iteratorINS8_10device_ptrIxEEEENSA_INSB_IiEEEEZNS1_13binary_searchIS3_S5_SD_SD_SF_NS1_21lower_bound_search_opENS9_16wrapped_functionINS0_4lessIvEEbEEEE10hipError_tPvRmT1_T2_T3_mmT4_T5_P12ihipStream_tbEUlRKxE_EESM_SQ_SR_mSS_SV_bEUlT_E_NS1_11comp_targetILNS1_3genE4ELNS1_11target_archE910ELNS1_3gpuE8ELNS1_3repE0EEENS1_30default_config_static_selectorELNS0_4arch9wavefront6targetE0EEEvSP_,"axG",@progbits,_ZN7rocprim17ROCPRIM_400000_NS6detail17trampoline_kernelINS0_14default_configENS1_27lower_bound_config_selectorIxiEEZNS1_14transform_implILb0ES3_S5_N6thrust23THRUST_200600_302600_NS6detail15normal_iteratorINS8_10device_ptrIxEEEENSA_INSB_IiEEEEZNS1_13binary_searchIS3_S5_SD_SD_SF_NS1_21lower_bound_search_opENS9_16wrapped_functionINS0_4lessIvEEbEEEE10hipError_tPvRmT1_T2_T3_mmT4_T5_P12ihipStream_tbEUlRKxE_EESM_SQ_SR_mSS_SV_bEUlT_E_NS1_11comp_targetILNS1_3genE4ELNS1_11target_archE910ELNS1_3gpuE8ELNS1_3repE0EEENS1_30default_config_static_selectorELNS0_4arch9wavefront6targetE0EEEvSP_,comdat
	.protected	_ZN7rocprim17ROCPRIM_400000_NS6detail17trampoline_kernelINS0_14default_configENS1_27lower_bound_config_selectorIxiEEZNS1_14transform_implILb0ES3_S5_N6thrust23THRUST_200600_302600_NS6detail15normal_iteratorINS8_10device_ptrIxEEEENSA_INSB_IiEEEEZNS1_13binary_searchIS3_S5_SD_SD_SF_NS1_21lower_bound_search_opENS9_16wrapped_functionINS0_4lessIvEEbEEEE10hipError_tPvRmT1_T2_T3_mmT4_T5_P12ihipStream_tbEUlRKxE_EESM_SQ_SR_mSS_SV_bEUlT_E_NS1_11comp_targetILNS1_3genE4ELNS1_11target_archE910ELNS1_3gpuE8ELNS1_3repE0EEENS1_30default_config_static_selectorELNS0_4arch9wavefront6targetE0EEEvSP_ ; -- Begin function _ZN7rocprim17ROCPRIM_400000_NS6detail17trampoline_kernelINS0_14default_configENS1_27lower_bound_config_selectorIxiEEZNS1_14transform_implILb0ES3_S5_N6thrust23THRUST_200600_302600_NS6detail15normal_iteratorINS8_10device_ptrIxEEEENSA_INSB_IiEEEEZNS1_13binary_searchIS3_S5_SD_SD_SF_NS1_21lower_bound_search_opENS9_16wrapped_functionINS0_4lessIvEEbEEEE10hipError_tPvRmT1_T2_T3_mmT4_T5_P12ihipStream_tbEUlRKxE_EESM_SQ_SR_mSS_SV_bEUlT_E_NS1_11comp_targetILNS1_3genE4ELNS1_11target_archE910ELNS1_3gpuE8ELNS1_3repE0EEENS1_30default_config_static_selectorELNS0_4arch9wavefront6targetE0EEEvSP_
	.globl	_ZN7rocprim17ROCPRIM_400000_NS6detail17trampoline_kernelINS0_14default_configENS1_27lower_bound_config_selectorIxiEEZNS1_14transform_implILb0ES3_S5_N6thrust23THRUST_200600_302600_NS6detail15normal_iteratorINS8_10device_ptrIxEEEENSA_INSB_IiEEEEZNS1_13binary_searchIS3_S5_SD_SD_SF_NS1_21lower_bound_search_opENS9_16wrapped_functionINS0_4lessIvEEbEEEE10hipError_tPvRmT1_T2_T3_mmT4_T5_P12ihipStream_tbEUlRKxE_EESM_SQ_SR_mSS_SV_bEUlT_E_NS1_11comp_targetILNS1_3genE4ELNS1_11target_archE910ELNS1_3gpuE8ELNS1_3repE0EEENS1_30default_config_static_selectorELNS0_4arch9wavefront6targetE0EEEvSP_
	.p2align	8
	.type	_ZN7rocprim17ROCPRIM_400000_NS6detail17trampoline_kernelINS0_14default_configENS1_27lower_bound_config_selectorIxiEEZNS1_14transform_implILb0ES3_S5_N6thrust23THRUST_200600_302600_NS6detail15normal_iteratorINS8_10device_ptrIxEEEENSA_INSB_IiEEEEZNS1_13binary_searchIS3_S5_SD_SD_SF_NS1_21lower_bound_search_opENS9_16wrapped_functionINS0_4lessIvEEbEEEE10hipError_tPvRmT1_T2_T3_mmT4_T5_P12ihipStream_tbEUlRKxE_EESM_SQ_SR_mSS_SV_bEUlT_E_NS1_11comp_targetILNS1_3genE4ELNS1_11target_archE910ELNS1_3gpuE8ELNS1_3repE0EEENS1_30default_config_static_selectorELNS0_4arch9wavefront6targetE0EEEvSP_,@function
_ZN7rocprim17ROCPRIM_400000_NS6detail17trampoline_kernelINS0_14default_configENS1_27lower_bound_config_selectorIxiEEZNS1_14transform_implILb0ES3_S5_N6thrust23THRUST_200600_302600_NS6detail15normal_iteratorINS8_10device_ptrIxEEEENSA_INSB_IiEEEEZNS1_13binary_searchIS3_S5_SD_SD_SF_NS1_21lower_bound_search_opENS9_16wrapped_functionINS0_4lessIvEEbEEEE10hipError_tPvRmT1_T2_T3_mmT4_T5_P12ihipStream_tbEUlRKxE_EESM_SQ_SR_mSS_SV_bEUlT_E_NS1_11comp_targetILNS1_3genE4ELNS1_11target_archE910ELNS1_3gpuE8ELNS1_3repE0EEENS1_30default_config_static_selectorELNS0_4arch9wavefront6targetE0EEEvSP_: ; @_ZN7rocprim17ROCPRIM_400000_NS6detail17trampoline_kernelINS0_14default_configENS1_27lower_bound_config_selectorIxiEEZNS1_14transform_implILb0ES3_S5_N6thrust23THRUST_200600_302600_NS6detail15normal_iteratorINS8_10device_ptrIxEEEENSA_INSB_IiEEEEZNS1_13binary_searchIS3_S5_SD_SD_SF_NS1_21lower_bound_search_opENS9_16wrapped_functionINS0_4lessIvEEbEEEE10hipError_tPvRmT1_T2_T3_mmT4_T5_P12ihipStream_tbEUlRKxE_EESM_SQ_SR_mSS_SV_bEUlT_E_NS1_11comp_targetILNS1_3genE4ELNS1_11target_archE910ELNS1_3gpuE8ELNS1_3repE0EEENS1_30default_config_static_selectorELNS0_4arch9wavefront6targetE0EEEvSP_
; %bb.0:
	.section	.rodata,"a",@progbits
	.p2align	6, 0x0
	.amdhsa_kernel _ZN7rocprim17ROCPRIM_400000_NS6detail17trampoline_kernelINS0_14default_configENS1_27lower_bound_config_selectorIxiEEZNS1_14transform_implILb0ES3_S5_N6thrust23THRUST_200600_302600_NS6detail15normal_iteratorINS8_10device_ptrIxEEEENSA_INSB_IiEEEEZNS1_13binary_searchIS3_S5_SD_SD_SF_NS1_21lower_bound_search_opENS9_16wrapped_functionINS0_4lessIvEEbEEEE10hipError_tPvRmT1_T2_T3_mmT4_T5_P12ihipStream_tbEUlRKxE_EESM_SQ_SR_mSS_SV_bEUlT_E_NS1_11comp_targetILNS1_3genE4ELNS1_11target_archE910ELNS1_3gpuE8ELNS1_3repE0EEENS1_30default_config_static_selectorELNS0_4arch9wavefront6targetE0EEEvSP_
		.amdhsa_group_segment_fixed_size 0
		.amdhsa_private_segment_fixed_size 0
		.amdhsa_kernarg_size 56
		.amdhsa_user_sgpr_count 15
		.amdhsa_user_sgpr_dispatch_ptr 0
		.amdhsa_user_sgpr_queue_ptr 0
		.amdhsa_user_sgpr_kernarg_segment_ptr 1
		.amdhsa_user_sgpr_dispatch_id 0
		.amdhsa_user_sgpr_private_segment_size 0
		.amdhsa_wavefront_size32 1
		.amdhsa_uses_dynamic_stack 0
		.amdhsa_enable_private_segment 0
		.amdhsa_system_sgpr_workgroup_id_x 1
		.amdhsa_system_sgpr_workgroup_id_y 0
		.amdhsa_system_sgpr_workgroup_id_z 0
		.amdhsa_system_sgpr_workgroup_info 0
		.amdhsa_system_vgpr_workitem_id 0
		.amdhsa_next_free_vgpr 1
		.amdhsa_next_free_sgpr 1
		.amdhsa_reserve_vcc 0
		.amdhsa_float_round_mode_32 0
		.amdhsa_float_round_mode_16_64 0
		.amdhsa_float_denorm_mode_32 3
		.amdhsa_float_denorm_mode_16_64 3
		.amdhsa_dx10_clamp 1
		.amdhsa_ieee_mode 1
		.amdhsa_fp16_overflow 0
		.amdhsa_workgroup_processor_mode 1
		.amdhsa_memory_ordered 1
		.amdhsa_forward_progress 0
		.amdhsa_shared_vgpr_count 0
		.amdhsa_exception_fp_ieee_invalid_op 0
		.amdhsa_exception_fp_denorm_src 0
		.amdhsa_exception_fp_ieee_div_zero 0
		.amdhsa_exception_fp_ieee_overflow 0
		.amdhsa_exception_fp_ieee_underflow 0
		.amdhsa_exception_fp_ieee_inexact 0
		.amdhsa_exception_int_div_zero 0
	.end_amdhsa_kernel
	.section	.text._ZN7rocprim17ROCPRIM_400000_NS6detail17trampoline_kernelINS0_14default_configENS1_27lower_bound_config_selectorIxiEEZNS1_14transform_implILb0ES3_S5_N6thrust23THRUST_200600_302600_NS6detail15normal_iteratorINS8_10device_ptrIxEEEENSA_INSB_IiEEEEZNS1_13binary_searchIS3_S5_SD_SD_SF_NS1_21lower_bound_search_opENS9_16wrapped_functionINS0_4lessIvEEbEEEE10hipError_tPvRmT1_T2_T3_mmT4_T5_P12ihipStream_tbEUlRKxE_EESM_SQ_SR_mSS_SV_bEUlT_E_NS1_11comp_targetILNS1_3genE4ELNS1_11target_archE910ELNS1_3gpuE8ELNS1_3repE0EEENS1_30default_config_static_selectorELNS0_4arch9wavefront6targetE0EEEvSP_,"axG",@progbits,_ZN7rocprim17ROCPRIM_400000_NS6detail17trampoline_kernelINS0_14default_configENS1_27lower_bound_config_selectorIxiEEZNS1_14transform_implILb0ES3_S5_N6thrust23THRUST_200600_302600_NS6detail15normal_iteratorINS8_10device_ptrIxEEEENSA_INSB_IiEEEEZNS1_13binary_searchIS3_S5_SD_SD_SF_NS1_21lower_bound_search_opENS9_16wrapped_functionINS0_4lessIvEEbEEEE10hipError_tPvRmT1_T2_T3_mmT4_T5_P12ihipStream_tbEUlRKxE_EESM_SQ_SR_mSS_SV_bEUlT_E_NS1_11comp_targetILNS1_3genE4ELNS1_11target_archE910ELNS1_3gpuE8ELNS1_3repE0EEENS1_30default_config_static_selectorELNS0_4arch9wavefront6targetE0EEEvSP_,comdat
.Lfunc_end303:
	.size	_ZN7rocprim17ROCPRIM_400000_NS6detail17trampoline_kernelINS0_14default_configENS1_27lower_bound_config_selectorIxiEEZNS1_14transform_implILb0ES3_S5_N6thrust23THRUST_200600_302600_NS6detail15normal_iteratorINS8_10device_ptrIxEEEENSA_INSB_IiEEEEZNS1_13binary_searchIS3_S5_SD_SD_SF_NS1_21lower_bound_search_opENS9_16wrapped_functionINS0_4lessIvEEbEEEE10hipError_tPvRmT1_T2_T3_mmT4_T5_P12ihipStream_tbEUlRKxE_EESM_SQ_SR_mSS_SV_bEUlT_E_NS1_11comp_targetILNS1_3genE4ELNS1_11target_archE910ELNS1_3gpuE8ELNS1_3repE0EEENS1_30default_config_static_selectorELNS0_4arch9wavefront6targetE0EEEvSP_, .Lfunc_end303-_ZN7rocprim17ROCPRIM_400000_NS6detail17trampoline_kernelINS0_14default_configENS1_27lower_bound_config_selectorIxiEEZNS1_14transform_implILb0ES3_S5_N6thrust23THRUST_200600_302600_NS6detail15normal_iteratorINS8_10device_ptrIxEEEENSA_INSB_IiEEEEZNS1_13binary_searchIS3_S5_SD_SD_SF_NS1_21lower_bound_search_opENS9_16wrapped_functionINS0_4lessIvEEbEEEE10hipError_tPvRmT1_T2_T3_mmT4_T5_P12ihipStream_tbEUlRKxE_EESM_SQ_SR_mSS_SV_bEUlT_E_NS1_11comp_targetILNS1_3genE4ELNS1_11target_archE910ELNS1_3gpuE8ELNS1_3repE0EEENS1_30default_config_static_selectorELNS0_4arch9wavefront6targetE0EEEvSP_
                                        ; -- End function
	.section	.AMDGPU.csdata,"",@progbits
; Kernel info:
; codeLenInByte = 0
; NumSgprs: 0
; NumVgprs: 0
; ScratchSize: 0
; MemoryBound: 0
; FloatMode: 240
; IeeeMode: 1
; LDSByteSize: 0 bytes/workgroup (compile time only)
; SGPRBlocks: 0
; VGPRBlocks: 0
; NumSGPRsForWavesPerEU: 1
; NumVGPRsForWavesPerEU: 1
; Occupancy: 16
; WaveLimiterHint : 0
; COMPUTE_PGM_RSRC2:SCRATCH_EN: 0
; COMPUTE_PGM_RSRC2:USER_SGPR: 15
; COMPUTE_PGM_RSRC2:TRAP_HANDLER: 0
; COMPUTE_PGM_RSRC2:TGID_X_EN: 1
; COMPUTE_PGM_RSRC2:TGID_Y_EN: 0
; COMPUTE_PGM_RSRC2:TGID_Z_EN: 0
; COMPUTE_PGM_RSRC2:TIDIG_COMP_CNT: 0
	.section	.text._ZN7rocprim17ROCPRIM_400000_NS6detail17trampoline_kernelINS0_14default_configENS1_27lower_bound_config_selectorIxiEEZNS1_14transform_implILb0ES3_S5_N6thrust23THRUST_200600_302600_NS6detail15normal_iteratorINS8_10device_ptrIxEEEENSA_INSB_IiEEEEZNS1_13binary_searchIS3_S5_SD_SD_SF_NS1_21lower_bound_search_opENS9_16wrapped_functionINS0_4lessIvEEbEEEE10hipError_tPvRmT1_T2_T3_mmT4_T5_P12ihipStream_tbEUlRKxE_EESM_SQ_SR_mSS_SV_bEUlT_E_NS1_11comp_targetILNS1_3genE3ELNS1_11target_archE908ELNS1_3gpuE7ELNS1_3repE0EEENS1_30default_config_static_selectorELNS0_4arch9wavefront6targetE0EEEvSP_,"axG",@progbits,_ZN7rocprim17ROCPRIM_400000_NS6detail17trampoline_kernelINS0_14default_configENS1_27lower_bound_config_selectorIxiEEZNS1_14transform_implILb0ES3_S5_N6thrust23THRUST_200600_302600_NS6detail15normal_iteratorINS8_10device_ptrIxEEEENSA_INSB_IiEEEEZNS1_13binary_searchIS3_S5_SD_SD_SF_NS1_21lower_bound_search_opENS9_16wrapped_functionINS0_4lessIvEEbEEEE10hipError_tPvRmT1_T2_T3_mmT4_T5_P12ihipStream_tbEUlRKxE_EESM_SQ_SR_mSS_SV_bEUlT_E_NS1_11comp_targetILNS1_3genE3ELNS1_11target_archE908ELNS1_3gpuE7ELNS1_3repE0EEENS1_30default_config_static_selectorELNS0_4arch9wavefront6targetE0EEEvSP_,comdat
	.protected	_ZN7rocprim17ROCPRIM_400000_NS6detail17trampoline_kernelINS0_14default_configENS1_27lower_bound_config_selectorIxiEEZNS1_14transform_implILb0ES3_S5_N6thrust23THRUST_200600_302600_NS6detail15normal_iteratorINS8_10device_ptrIxEEEENSA_INSB_IiEEEEZNS1_13binary_searchIS3_S5_SD_SD_SF_NS1_21lower_bound_search_opENS9_16wrapped_functionINS0_4lessIvEEbEEEE10hipError_tPvRmT1_T2_T3_mmT4_T5_P12ihipStream_tbEUlRKxE_EESM_SQ_SR_mSS_SV_bEUlT_E_NS1_11comp_targetILNS1_3genE3ELNS1_11target_archE908ELNS1_3gpuE7ELNS1_3repE0EEENS1_30default_config_static_selectorELNS0_4arch9wavefront6targetE0EEEvSP_ ; -- Begin function _ZN7rocprim17ROCPRIM_400000_NS6detail17trampoline_kernelINS0_14default_configENS1_27lower_bound_config_selectorIxiEEZNS1_14transform_implILb0ES3_S5_N6thrust23THRUST_200600_302600_NS6detail15normal_iteratorINS8_10device_ptrIxEEEENSA_INSB_IiEEEEZNS1_13binary_searchIS3_S5_SD_SD_SF_NS1_21lower_bound_search_opENS9_16wrapped_functionINS0_4lessIvEEbEEEE10hipError_tPvRmT1_T2_T3_mmT4_T5_P12ihipStream_tbEUlRKxE_EESM_SQ_SR_mSS_SV_bEUlT_E_NS1_11comp_targetILNS1_3genE3ELNS1_11target_archE908ELNS1_3gpuE7ELNS1_3repE0EEENS1_30default_config_static_selectorELNS0_4arch9wavefront6targetE0EEEvSP_
	.globl	_ZN7rocprim17ROCPRIM_400000_NS6detail17trampoline_kernelINS0_14default_configENS1_27lower_bound_config_selectorIxiEEZNS1_14transform_implILb0ES3_S5_N6thrust23THRUST_200600_302600_NS6detail15normal_iteratorINS8_10device_ptrIxEEEENSA_INSB_IiEEEEZNS1_13binary_searchIS3_S5_SD_SD_SF_NS1_21lower_bound_search_opENS9_16wrapped_functionINS0_4lessIvEEbEEEE10hipError_tPvRmT1_T2_T3_mmT4_T5_P12ihipStream_tbEUlRKxE_EESM_SQ_SR_mSS_SV_bEUlT_E_NS1_11comp_targetILNS1_3genE3ELNS1_11target_archE908ELNS1_3gpuE7ELNS1_3repE0EEENS1_30default_config_static_selectorELNS0_4arch9wavefront6targetE0EEEvSP_
	.p2align	8
	.type	_ZN7rocprim17ROCPRIM_400000_NS6detail17trampoline_kernelINS0_14default_configENS1_27lower_bound_config_selectorIxiEEZNS1_14transform_implILb0ES3_S5_N6thrust23THRUST_200600_302600_NS6detail15normal_iteratorINS8_10device_ptrIxEEEENSA_INSB_IiEEEEZNS1_13binary_searchIS3_S5_SD_SD_SF_NS1_21lower_bound_search_opENS9_16wrapped_functionINS0_4lessIvEEbEEEE10hipError_tPvRmT1_T2_T3_mmT4_T5_P12ihipStream_tbEUlRKxE_EESM_SQ_SR_mSS_SV_bEUlT_E_NS1_11comp_targetILNS1_3genE3ELNS1_11target_archE908ELNS1_3gpuE7ELNS1_3repE0EEENS1_30default_config_static_selectorELNS0_4arch9wavefront6targetE0EEEvSP_,@function
_ZN7rocprim17ROCPRIM_400000_NS6detail17trampoline_kernelINS0_14default_configENS1_27lower_bound_config_selectorIxiEEZNS1_14transform_implILb0ES3_S5_N6thrust23THRUST_200600_302600_NS6detail15normal_iteratorINS8_10device_ptrIxEEEENSA_INSB_IiEEEEZNS1_13binary_searchIS3_S5_SD_SD_SF_NS1_21lower_bound_search_opENS9_16wrapped_functionINS0_4lessIvEEbEEEE10hipError_tPvRmT1_T2_T3_mmT4_T5_P12ihipStream_tbEUlRKxE_EESM_SQ_SR_mSS_SV_bEUlT_E_NS1_11comp_targetILNS1_3genE3ELNS1_11target_archE908ELNS1_3gpuE7ELNS1_3repE0EEENS1_30default_config_static_selectorELNS0_4arch9wavefront6targetE0EEEvSP_: ; @_ZN7rocprim17ROCPRIM_400000_NS6detail17trampoline_kernelINS0_14default_configENS1_27lower_bound_config_selectorIxiEEZNS1_14transform_implILb0ES3_S5_N6thrust23THRUST_200600_302600_NS6detail15normal_iteratorINS8_10device_ptrIxEEEENSA_INSB_IiEEEEZNS1_13binary_searchIS3_S5_SD_SD_SF_NS1_21lower_bound_search_opENS9_16wrapped_functionINS0_4lessIvEEbEEEE10hipError_tPvRmT1_T2_T3_mmT4_T5_P12ihipStream_tbEUlRKxE_EESM_SQ_SR_mSS_SV_bEUlT_E_NS1_11comp_targetILNS1_3genE3ELNS1_11target_archE908ELNS1_3gpuE7ELNS1_3repE0EEENS1_30default_config_static_selectorELNS0_4arch9wavefront6targetE0EEEvSP_
; %bb.0:
	.section	.rodata,"a",@progbits
	.p2align	6, 0x0
	.amdhsa_kernel _ZN7rocprim17ROCPRIM_400000_NS6detail17trampoline_kernelINS0_14default_configENS1_27lower_bound_config_selectorIxiEEZNS1_14transform_implILb0ES3_S5_N6thrust23THRUST_200600_302600_NS6detail15normal_iteratorINS8_10device_ptrIxEEEENSA_INSB_IiEEEEZNS1_13binary_searchIS3_S5_SD_SD_SF_NS1_21lower_bound_search_opENS9_16wrapped_functionINS0_4lessIvEEbEEEE10hipError_tPvRmT1_T2_T3_mmT4_T5_P12ihipStream_tbEUlRKxE_EESM_SQ_SR_mSS_SV_bEUlT_E_NS1_11comp_targetILNS1_3genE3ELNS1_11target_archE908ELNS1_3gpuE7ELNS1_3repE0EEENS1_30default_config_static_selectorELNS0_4arch9wavefront6targetE0EEEvSP_
		.amdhsa_group_segment_fixed_size 0
		.amdhsa_private_segment_fixed_size 0
		.amdhsa_kernarg_size 56
		.amdhsa_user_sgpr_count 15
		.amdhsa_user_sgpr_dispatch_ptr 0
		.amdhsa_user_sgpr_queue_ptr 0
		.amdhsa_user_sgpr_kernarg_segment_ptr 1
		.amdhsa_user_sgpr_dispatch_id 0
		.amdhsa_user_sgpr_private_segment_size 0
		.amdhsa_wavefront_size32 1
		.amdhsa_uses_dynamic_stack 0
		.amdhsa_enable_private_segment 0
		.amdhsa_system_sgpr_workgroup_id_x 1
		.amdhsa_system_sgpr_workgroup_id_y 0
		.amdhsa_system_sgpr_workgroup_id_z 0
		.amdhsa_system_sgpr_workgroup_info 0
		.amdhsa_system_vgpr_workitem_id 0
		.amdhsa_next_free_vgpr 1
		.amdhsa_next_free_sgpr 1
		.amdhsa_reserve_vcc 0
		.amdhsa_float_round_mode_32 0
		.amdhsa_float_round_mode_16_64 0
		.amdhsa_float_denorm_mode_32 3
		.amdhsa_float_denorm_mode_16_64 3
		.amdhsa_dx10_clamp 1
		.amdhsa_ieee_mode 1
		.amdhsa_fp16_overflow 0
		.amdhsa_workgroup_processor_mode 1
		.amdhsa_memory_ordered 1
		.amdhsa_forward_progress 0
		.amdhsa_shared_vgpr_count 0
		.amdhsa_exception_fp_ieee_invalid_op 0
		.amdhsa_exception_fp_denorm_src 0
		.amdhsa_exception_fp_ieee_div_zero 0
		.amdhsa_exception_fp_ieee_overflow 0
		.amdhsa_exception_fp_ieee_underflow 0
		.amdhsa_exception_fp_ieee_inexact 0
		.amdhsa_exception_int_div_zero 0
	.end_amdhsa_kernel
	.section	.text._ZN7rocprim17ROCPRIM_400000_NS6detail17trampoline_kernelINS0_14default_configENS1_27lower_bound_config_selectorIxiEEZNS1_14transform_implILb0ES3_S5_N6thrust23THRUST_200600_302600_NS6detail15normal_iteratorINS8_10device_ptrIxEEEENSA_INSB_IiEEEEZNS1_13binary_searchIS3_S5_SD_SD_SF_NS1_21lower_bound_search_opENS9_16wrapped_functionINS0_4lessIvEEbEEEE10hipError_tPvRmT1_T2_T3_mmT4_T5_P12ihipStream_tbEUlRKxE_EESM_SQ_SR_mSS_SV_bEUlT_E_NS1_11comp_targetILNS1_3genE3ELNS1_11target_archE908ELNS1_3gpuE7ELNS1_3repE0EEENS1_30default_config_static_selectorELNS0_4arch9wavefront6targetE0EEEvSP_,"axG",@progbits,_ZN7rocprim17ROCPRIM_400000_NS6detail17trampoline_kernelINS0_14default_configENS1_27lower_bound_config_selectorIxiEEZNS1_14transform_implILb0ES3_S5_N6thrust23THRUST_200600_302600_NS6detail15normal_iteratorINS8_10device_ptrIxEEEENSA_INSB_IiEEEEZNS1_13binary_searchIS3_S5_SD_SD_SF_NS1_21lower_bound_search_opENS9_16wrapped_functionINS0_4lessIvEEbEEEE10hipError_tPvRmT1_T2_T3_mmT4_T5_P12ihipStream_tbEUlRKxE_EESM_SQ_SR_mSS_SV_bEUlT_E_NS1_11comp_targetILNS1_3genE3ELNS1_11target_archE908ELNS1_3gpuE7ELNS1_3repE0EEENS1_30default_config_static_selectorELNS0_4arch9wavefront6targetE0EEEvSP_,comdat
.Lfunc_end304:
	.size	_ZN7rocprim17ROCPRIM_400000_NS6detail17trampoline_kernelINS0_14default_configENS1_27lower_bound_config_selectorIxiEEZNS1_14transform_implILb0ES3_S5_N6thrust23THRUST_200600_302600_NS6detail15normal_iteratorINS8_10device_ptrIxEEEENSA_INSB_IiEEEEZNS1_13binary_searchIS3_S5_SD_SD_SF_NS1_21lower_bound_search_opENS9_16wrapped_functionINS0_4lessIvEEbEEEE10hipError_tPvRmT1_T2_T3_mmT4_T5_P12ihipStream_tbEUlRKxE_EESM_SQ_SR_mSS_SV_bEUlT_E_NS1_11comp_targetILNS1_3genE3ELNS1_11target_archE908ELNS1_3gpuE7ELNS1_3repE0EEENS1_30default_config_static_selectorELNS0_4arch9wavefront6targetE0EEEvSP_, .Lfunc_end304-_ZN7rocprim17ROCPRIM_400000_NS6detail17trampoline_kernelINS0_14default_configENS1_27lower_bound_config_selectorIxiEEZNS1_14transform_implILb0ES3_S5_N6thrust23THRUST_200600_302600_NS6detail15normal_iteratorINS8_10device_ptrIxEEEENSA_INSB_IiEEEEZNS1_13binary_searchIS3_S5_SD_SD_SF_NS1_21lower_bound_search_opENS9_16wrapped_functionINS0_4lessIvEEbEEEE10hipError_tPvRmT1_T2_T3_mmT4_T5_P12ihipStream_tbEUlRKxE_EESM_SQ_SR_mSS_SV_bEUlT_E_NS1_11comp_targetILNS1_3genE3ELNS1_11target_archE908ELNS1_3gpuE7ELNS1_3repE0EEENS1_30default_config_static_selectorELNS0_4arch9wavefront6targetE0EEEvSP_
                                        ; -- End function
	.section	.AMDGPU.csdata,"",@progbits
; Kernel info:
; codeLenInByte = 0
; NumSgprs: 0
; NumVgprs: 0
; ScratchSize: 0
; MemoryBound: 0
; FloatMode: 240
; IeeeMode: 1
; LDSByteSize: 0 bytes/workgroup (compile time only)
; SGPRBlocks: 0
; VGPRBlocks: 0
; NumSGPRsForWavesPerEU: 1
; NumVGPRsForWavesPerEU: 1
; Occupancy: 16
; WaveLimiterHint : 0
; COMPUTE_PGM_RSRC2:SCRATCH_EN: 0
; COMPUTE_PGM_RSRC2:USER_SGPR: 15
; COMPUTE_PGM_RSRC2:TRAP_HANDLER: 0
; COMPUTE_PGM_RSRC2:TGID_X_EN: 1
; COMPUTE_PGM_RSRC2:TGID_Y_EN: 0
; COMPUTE_PGM_RSRC2:TGID_Z_EN: 0
; COMPUTE_PGM_RSRC2:TIDIG_COMP_CNT: 0
	.section	.text._ZN7rocprim17ROCPRIM_400000_NS6detail17trampoline_kernelINS0_14default_configENS1_27lower_bound_config_selectorIxiEEZNS1_14transform_implILb0ES3_S5_N6thrust23THRUST_200600_302600_NS6detail15normal_iteratorINS8_10device_ptrIxEEEENSA_INSB_IiEEEEZNS1_13binary_searchIS3_S5_SD_SD_SF_NS1_21lower_bound_search_opENS9_16wrapped_functionINS0_4lessIvEEbEEEE10hipError_tPvRmT1_T2_T3_mmT4_T5_P12ihipStream_tbEUlRKxE_EESM_SQ_SR_mSS_SV_bEUlT_E_NS1_11comp_targetILNS1_3genE2ELNS1_11target_archE906ELNS1_3gpuE6ELNS1_3repE0EEENS1_30default_config_static_selectorELNS0_4arch9wavefront6targetE0EEEvSP_,"axG",@progbits,_ZN7rocprim17ROCPRIM_400000_NS6detail17trampoline_kernelINS0_14default_configENS1_27lower_bound_config_selectorIxiEEZNS1_14transform_implILb0ES3_S5_N6thrust23THRUST_200600_302600_NS6detail15normal_iteratorINS8_10device_ptrIxEEEENSA_INSB_IiEEEEZNS1_13binary_searchIS3_S5_SD_SD_SF_NS1_21lower_bound_search_opENS9_16wrapped_functionINS0_4lessIvEEbEEEE10hipError_tPvRmT1_T2_T3_mmT4_T5_P12ihipStream_tbEUlRKxE_EESM_SQ_SR_mSS_SV_bEUlT_E_NS1_11comp_targetILNS1_3genE2ELNS1_11target_archE906ELNS1_3gpuE6ELNS1_3repE0EEENS1_30default_config_static_selectorELNS0_4arch9wavefront6targetE0EEEvSP_,comdat
	.protected	_ZN7rocprim17ROCPRIM_400000_NS6detail17trampoline_kernelINS0_14default_configENS1_27lower_bound_config_selectorIxiEEZNS1_14transform_implILb0ES3_S5_N6thrust23THRUST_200600_302600_NS6detail15normal_iteratorINS8_10device_ptrIxEEEENSA_INSB_IiEEEEZNS1_13binary_searchIS3_S5_SD_SD_SF_NS1_21lower_bound_search_opENS9_16wrapped_functionINS0_4lessIvEEbEEEE10hipError_tPvRmT1_T2_T3_mmT4_T5_P12ihipStream_tbEUlRKxE_EESM_SQ_SR_mSS_SV_bEUlT_E_NS1_11comp_targetILNS1_3genE2ELNS1_11target_archE906ELNS1_3gpuE6ELNS1_3repE0EEENS1_30default_config_static_selectorELNS0_4arch9wavefront6targetE0EEEvSP_ ; -- Begin function _ZN7rocprim17ROCPRIM_400000_NS6detail17trampoline_kernelINS0_14default_configENS1_27lower_bound_config_selectorIxiEEZNS1_14transform_implILb0ES3_S5_N6thrust23THRUST_200600_302600_NS6detail15normal_iteratorINS8_10device_ptrIxEEEENSA_INSB_IiEEEEZNS1_13binary_searchIS3_S5_SD_SD_SF_NS1_21lower_bound_search_opENS9_16wrapped_functionINS0_4lessIvEEbEEEE10hipError_tPvRmT1_T2_T3_mmT4_T5_P12ihipStream_tbEUlRKxE_EESM_SQ_SR_mSS_SV_bEUlT_E_NS1_11comp_targetILNS1_3genE2ELNS1_11target_archE906ELNS1_3gpuE6ELNS1_3repE0EEENS1_30default_config_static_selectorELNS0_4arch9wavefront6targetE0EEEvSP_
	.globl	_ZN7rocprim17ROCPRIM_400000_NS6detail17trampoline_kernelINS0_14default_configENS1_27lower_bound_config_selectorIxiEEZNS1_14transform_implILb0ES3_S5_N6thrust23THRUST_200600_302600_NS6detail15normal_iteratorINS8_10device_ptrIxEEEENSA_INSB_IiEEEEZNS1_13binary_searchIS3_S5_SD_SD_SF_NS1_21lower_bound_search_opENS9_16wrapped_functionINS0_4lessIvEEbEEEE10hipError_tPvRmT1_T2_T3_mmT4_T5_P12ihipStream_tbEUlRKxE_EESM_SQ_SR_mSS_SV_bEUlT_E_NS1_11comp_targetILNS1_3genE2ELNS1_11target_archE906ELNS1_3gpuE6ELNS1_3repE0EEENS1_30default_config_static_selectorELNS0_4arch9wavefront6targetE0EEEvSP_
	.p2align	8
	.type	_ZN7rocprim17ROCPRIM_400000_NS6detail17trampoline_kernelINS0_14default_configENS1_27lower_bound_config_selectorIxiEEZNS1_14transform_implILb0ES3_S5_N6thrust23THRUST_200600_302600_NS6detail15normal_iteratorINS8_10device_ptrIxEEEENSA_INSB_IiEEEEZNS1_13binary_searchIS3_S5_SD_SD_SF_NS1_21lower_bound_search_opENS9_16wrapped_functionINS0_4lessIvEEbEEEE10hipError_tPvRmT1_T2_T3_mmT4_T5_P12ihipStream_tbEUlRKxE_EESM_SQ_SR_mSS_SV_bEUlT_E_NS1_11comp_targetILNS1_3genE2ELNS1_11target_archE906ELNS1_3gpuE6ELNS1_3repE0EEENS1_30default_config_static_selectorELNS0_4arch9wavefront6targetE0EEEvSP_,@function
_ZN7rocprim17ROCPRIM_400000_NS6detail17trampoline_kernelINS0_14default_configENS1_27lower_bound_config_selectorIxiEEZNS1_14transform_implILb0ES3_S5_N6thrust23THRUST_200600_302600_NS6detail15normal_iteratorINS8_10device_ptrIxEEEENSA_INSB_IiEEEEZNS1_13binary_searchIS3_S5_SD_SD_SF_NS1_21lower_bound_search_opENS9_16wrapped_functionINS0_4lessIvEEbEEEE10hipError_tPvRmT1_T2_T3_mmT4_T5_P12ihipStream_tbEUlRKxE_EESM_SQ_SR_mSS_SV_bEUlT_E_NS1_11comp_targetILNS1_3genE2ELNS1_11target_archE906ELNS1_3gpuE6ELNS1_3repE0EEENS1_30default_config_static_selectorELNS0_4arch9wavefront6targetE0EEEvSP_: ; @_ZN7rocprim17ROCPRIM_400000_NS6detail17trampoline_kernelINS0_14default_configENS1_27lower_bound_config_selectorIxiEEZNS1_14transform_implILb0ES3_S5_N6thrust23THRUST_200600_302600_NS6detail15normal_iteratorINS8_10device_ptrIxEEEENSA_INSB_IiEEEEZNS1_13binary_searchIS3_S5_SD_SD_SF_NS1_21lower_bound_search_opENS9_16wrapped_functionINS0_4lessIvEEbEEEE10hipError_tPvRmT1_T2_T3_mmT4_T5_P12ihipStream_tbEUlRKxE_EESM_SQ_SR_mSS_SV_bEUlT_E_NS1_11comp_targetILNS1_3genE2ELNS1_11target_archE906ELNS1_3gpuE6ELNS1_3repE0EEENS1_30default_config_static_selectorELNS0_4arch9wavefront6targetE0EEEvSP_
; %bb.0:
	.section	.rodata,"a",@progbits
	.p2align	6, 0x0
	.amdhsa_kernel _ZN7rocprim17ROCPRIM_400000_NS6detail17trampoline_kernelINS0_14default_configENS1_27lower_bound_config_selectorIxiEEZNS1_14transform_implILb0ES3_S5_N6thrust23THRUST_200600_302600_NS6detail15normal_iteratorINS8_10device_ptrIxEEEENSA_INSB_IiEEEEZNS1_13binary_searchIS3_S5_SD_SD_SF_NS1_21lower_bound_search_opENS9_16wrapped_functionINS0_4lessIvEEbEEEE10hipError_tPvRmT1_T2_T3_mmT4_T5_P12ihipStream_tbEUlRKxE_EESM_SQ_SR_mSS_SV_bEUlT_E_NS1_11comp_targetILNS1_3genE2ELNS1_11target_archE906ELNS1_3gpuE6ELNS1_3repE0EEENS1_30default_config_static_selectorELNS0_4arch9wavefront6targetE0EEEvSP_
		.amdhsa_group_segment_fixed_size 0
		.amdhsa_private_segment_fixed_size 0
		.amdhsa_kernarg_size 56
		.amdhsa_user_sgpr_count 15
		.amdhsa_user_sgpr_dispatch_ptr 0
		.amdhsa_user_sgpr_queue_ptr 0
		.amdhsa_user_sgpr_kernarg_segment_ptr 1
		.amdhsa_user_sgpr_dispatch_id 0
		.amdhsa_user_sgpr_private_segment_size 0
		.amdhsa_wavefront_size32 1
		.amdhsa_uses_dynamic_stack 0
		.amdhsa_enable_private_segment 0
		.amdhsa_system_sgpr_workgroup_id_x 1
		.amdhsa_system_sgpr_workgroup_id_y 0
		.amdhsa_system_sgpr_workgroup_id_z 0
		.amdhsa_system_sgpr_workgroup_info 0
		.amdhsa_system_vgpr_workitem_id 0
		.amdhsa_next_free_vgpr 1
		.amdhsa_next_free_sgpr 1
		.amdhsa_reserve_vcc 0
		.amdhsa_float_round_mode_32 0
		.amdhsa_float_round_mode_16_64 0
		.amdhsa_float_denorm_mode_32 3
		.amdhsa_float_denorm_mode_16_64 3
		.amdhsa_dx10_clamp 1
		.amdhsa_ieee_mode 1
		.amdhsa_fp16_overflow 0
		.amdhsa_workgroup_processor_mode 1
		.amdhsa_memory_ordered 1
		.amdhsa_forward_progress 0
		.amdhsa_shared_vgpr_count 0
		.amdhsa_exception_fp_ieee_invalid_op 0
		.amdhsa_exception_fp_denorm_src 0
		.amdhsa_exception_fp_ieee_div_zero 0
		.amdhsa_exception_fp_ieee_overflow 0
		.amdhsa_exception_fp_ieee_underflow 0
		.amdhsa_exception_fp_ieee_inexact 0
		.amdhsa_exception_int_div_zero 0
	.end_amdhsa_kernel
	.section	.text._ZN7rocprim17ROCPRIM_400000_NS6detail17trampoline_kernelINS0_14default_configENS1_27lower_bound_config_selectorIxiEEZNS1_14transform_implILb0ES3_S5_N6thrust23THRUST_200600_302600_NS6detail15normal_iteratorINS8_10device_ptrIxEEEENSA_INSB_IiEEEEZNS1_13binary_searchIS3_S5_SD_SD_SF_NS1_21lower_bound_search_opENS9_16wrapped_functionINS0_4lessIvEEbEEEE10hipError_tPvRmT1_T2_T3_mmT4_T5_P12ihipStream_tbEUlRKxE_EESM_SQ_SR_mSS_SV_bEUlT_E_NS1_11comp_targetILNS1_3genE2ELNS1_11target_archE906ELNS1_3gpuE6ELNS1_3repE0EEENS1_30default_config_static_selectorELNS0_4arch9wavefront6targetE0EEEvSP_,"axG",@progbits,_ZN7rocprim17ROCPRIM_400000_NS6detail17trampoline_kernelINS0_14default_configENS1_27lower_bound_config_selectorIxiEEZNS1_14transform_implILb0ES3_S5_N6thrust23THRUST_200600_302600_NS6detail15normal_iteratorINS8_10device_ptrIxEEEENSA_INSB_IiEEEEZNS1_13binary_searchIS3_S5_SD_SD_SF_NS1_21lower_bound_search_opENS9_16wrapped_functionINS0_4lessIvEEbEEEE10hipError_tPvRmT1_T2_T3_mmT4_T5_P12ihipStream_tbEUlRKxE_EESM_SQ_SR_mSS_SV_bEUlT_E_NS1_11comp_targetILNS1_3genE2ELNS1_11target_archE906ELNS1_3gpuE6ELNS1_3repE0EEENS1_30default_config_static_selectorELNS0_4arch9wavefront6targetE0EEEvSP_,comdat
.Lfunc_end305:
	.size	_ZN7rocprim17ROCPRIM_400000_NS6detail17trampoline_kernelINS0_14default_configENS1_27lower_bound_config_selectorIxiEEZNS1_14transform_implILb0ES3_S5_N6thrust23THRUST_200600_302600_NS6detail15normal_iteratorINS8_10device_ptrIxEEEENSA_INSB_IiEEEEZNS1_13binary_searchIS3_S5_SD_SD_SF_NS1_21lower_bound_search_opENS9_16wrapped_functionINS0_4lessIvEEbEEEE10hipError_tPvRmT1_T2_T3_mmT4_T5_P12ihipStream_tbEUlRKxE_EESM_SQ_SR_mSS_SV_bEUlT_E_NS1_11comp_targetILNS1_3genE2ELNS1_11target_archE906ELNS1_3gpuE6ELNS1_3repE0EEENS1_30default_config_static_selectorELNS0_4arch9wavefront6targetE0EEEvSP_, .Lfunc_end305-_ZN7rocprim17ROCPRIM_400000_NS6detail17trampoline_kernelINS0_14default_configENS1_27lower_bound_config_selectorIxiEEZNS1_14transform_implILb0ES3_S5_N6thrust23THRUST_200600_302600_NS6detail15normal_iteratorINS8_10device_ptrIxEEEENSA_INSB_IiEEEEZNS1_13binary_searchIS3_S5_SD_SD_SF_NS1_21lower_bound_search_opENS9_16wrapped_functionINS0_4lessIvEEbEEEE10hipError_tPvRmT1_T2_T3_mmT4_T5_P12ihipStream_tbEUlRKxE_EESM_SQ_SR_mSS_SV_bEUlT_E_NS1_11comp_targetILNS1_3genE2ELNS1_11target_archE906ELNS1_3gpuE6ELNS1_3repE0EEENS1_30default_config_static_selectorELNS0_4arch9wavefront6targetE0EEEvSP_
                                        ; -- End function
	.section	.AMDGPU.csdata,"",@progbits
; Kernel info:
; codeLenInByte = 0
; NumSgprs: 0
; NumVgprs: 0
; ScratchSize: 0
; MemoryBound: 0
; FloatMode: 240
; IeeeMode: 1
; LDSByteSize: 0 bytes/workgroup (compile time only)
; SGPRBlocks: 0
; VGPRBlocks: 0
; NumSGPRsForWavesPerEU: 1
; NumVGPRsForWavesPerEU: 1
; Occupancy: 16
; WaveLimiterHint : 0
; COMPUTE_PGM_RSRC2:SCRATCH_EN: 0
; COMPUTE_PGM_RSRC2:USER_SGPR: 15
; COMPUTE_PGM_RSRC2:TRAP_HANDLER: 0
; COMPUTE_PGM_RSRC2:TGID_X_EN: 1
; COMPUTE_PGM_RSRC2:TGID_Y_EN: 0
; COMPUTE_PGM_RSRC2:TGID_Z_EN: 0
; COMPUTE_PGM_RSRC2:TIDIG_COMP_CNT: 0
	.section	.text._ZN7rocprim17ROCPRIM_400000_NS6detail17trampoline_kernelINS0_14default_configENS1_27lower_bound_config_selectorIxiEEZNS1_14transform_implILb0ES3_S5_N6thrust23THRUST_200600_302600_NS6detail15normal_iteratorINS8_10device_ptrIxEEEENSA_INSB_IiEEEEZNS1_13binary_searchIS3_S5_SD_SD_SF_NS1_21lower_bound_search_opENS9_16wrapped_functionINS0_4lessIvEEbEEEE10hipError_tPvRmT1_T2_T3_mmT4_T5_P12ihipStream_tbEUlRKxE_EESM_SQ_SR_mSS_SV_bEUlT_E_NS1_11comp_targetILNS1_3genE10ELNS1_11target_archE1201ELNS1_3gpuE5ELNS1_3repE0EEENS1_30default_config_static_selectorELNS0_4arch9wavefront6targetE0EEEvSP_,"axG",@progbits,_ZN7rocprim17ROCPRIM_400000_NS6detail17trampoline_kernelINS0_14default_configENS1_27lower_bound_config_selectorIxiEEZNS1_14transform_implILb0ES3_S5_N6thrust23THRUST_200600_302600_NS6detail15normal_iteratorINS8_10device_ptrIxEEEENSA_INSB_IiEEEEZNS1_13binary_searchIS3_S5_SD_SD_SF_NS1_21lower_bound_search_opENS9_16wrapped_functionINS0_4lessIvEEbEEEE10hipError_tPvRmT1_T2_T3_mmT4_T5_P12ihipStream_tbEUlRKxE_EESM_SQ_SR_mSS_SV_bEUlT_E_NS1_11comp_targetILNS1_3genE10ELNS1_11target_archE1201ELNS1_3gpuE5ELNS1_3repE0EEENS1_30default_config_static_selectorELNS0_4arch9wavefront6targetE0EEEvSP_,comdat
	.protected	_ZN7rocprim17ROCPRIM_400000_NS6detail17trampoline_kernelINS0_14default_configENS1_27lower_bound_config_selectorIxiEEZNS1_14transform_implILb0ES3_S5_N6thrust23THRUST_200600_302600_NS6detail15normal_iteratorINS8_10device_ptrIxEEEENSA_INSB_IiEEEEZNS1_13binary_searchIS3_S5_SD_SD_SF_NS1_21lower_bound_search_opENS9_16wrapped_functionINS0_4lessIvEEbEEEE10hipError_tPvRmT1_T2_T3_mmT4_T5_P12ihipStream_tbEUlRKxE_EESM_SQ_SR_mSS_SV_bEUlT_E_NS1_11comp_targetILNS1_3genE10ELNS1_11target_archE1201ELNS1_3gpuE5ELNS1_3repE0EEENS1_30default_config_static_selectorELNS0_4arch9wavefront6targetE0EEEvSP_ ; -- Begin function _ZN7rocprim17ROCPRIM_400000_NS6detail17trampoline_kernelINS0_14default_configENS1_27lower_bound_config_selectorIxiEEZNS1_14transform_implILb0ES3_S5_N6thrust23THRUST_200600_302600_NS6detail15normal_iteratorINS8_10device_ptrIxEEEENSA_INSB_IiEEEEZNS1_13binary_searchIS3_S5_SD_SD_SF_NS1_21lower_bound_search_opENS9_16wrapped_functionINS0_4lessIvEEbEEEE10hipError_tPvRmT1_T2_T3_mmT4_T5_P12ihipStream_tbEUlRKxE_EESM_SQ_SR_mSS_SV_bEUlT_E_NS1_11comp_targetILNS1_3genE10ELNS1_11target_archE1201ELNS1_3gpuE5ELNS1_3repE0EEENS1_30default_config_static_selectorELNS0_4arch9wavefront6targetE0EEEvSP_
	.globl	_ZN7rocprim17ROCPRIM_400000_NS6detail17trampoline_kernelINS0_14default_configENS1_27lower_bound_config_selectorIxiEEZNS1_14transform_implILb0ES3_S5_N6thrust23THRUST_200600_302600_NS6detail15normal_iteratorINS8_10device_ptrIxEEEENSA_INSB_IiEEEEZNS1_13binary_searchIS3_S5_SD_SD_SF_NS1_21lower_bound_search_opENS9_16wrapped_functionINS0_4lessIvEEbEEEE10hipError_tPvRmT1_T2_T3_mmT4_T5_P12ihipStream_tbEUlRKxE_EESM_SQ_SR_mSS_SV_bEUlT_E_NS1_11comp_targetILNS1_3genE10ELNS1_11target_archE1201ELNS1_3gpuE5ELNS1_3repE0EEENS1_30default_config_static_selectorELNS0_4arch9wavefront6targetE0EEEvSP_
	.p2align	8
	.type	_ZN7rocprim17ROCPRIM_400000_NS6detail17trampoline_kernelINS0_14default_configENS1_27lower_bound_config_selectorIxiEEZNS1_14transform_implILb0ES3_S5_N6thrust23THRUST_200600_302600_NS6detail15normal_iteratorINS8_10device_ptrIxEEEENSA_INSB_IiEEEEZNS1_13binary_searchIS3_S5_SD_SD_SF_NS1_21lower_bound_search_opENS9_16wrapped_functionINS0_4lessIvEEbEEEE10hipError_tPvRmT1_T2_T3_mmT4_T5_P12ihipStream_tbEUlRKxE_EESM_SQ_SR_mSS_SV_bEUlT_E_NS1_11comp_targetILNS1_3genE10ELNS1_11target_archE1201ELNS1_3gpuE5ELNS1_3repE0EEENS1_30default_config_static_selectorELNS0_4arch9wavefront6targetE0EEEvSP_,@function
_ZN7rocprim17ROCPRIM_400000_NS6detail17trampoline_kernelINS0_14default_configENS1_27lower_bound_config_selectorIxiEEZNS1_14transform_implILb0ES3_S5_N6thrust23THRUST_200600_302600_NS6detail15normal_iteratorINS8_10device_ptrIxEEEENSA_INSB_IiEEEEZNS1_13binary_searchIS3_S5_SD_SD_SF_NS1_21lower_bound_search_opENS9_16wrapped_functionINS0_4lessIvEEbEEEE10hipError_tPvRmT1_T2_T3_mmT4_T5_P12ihipStream_tbEUlRKxE_EESM_SQ_SR_mSS_SV_bEUlT_E_NS1_11comp_targetILNS1_3genE10ELNS1_11target_archE1201ELNS1_3gpuE5ELNS1_3repE0EEENS1_30default_config_static_selectorELNS0_4arch9wavefront6targetE0EEEvSP_: ; @_ZN7rocprim17ROCPRIM_400000_NS6detail17trampoline_kernelINS0_14default_configENS1_27lower_bound_config_selectorIxiEEZNS1_14transform_implILb0ES3_S5_N6thrust23THRUST_200600_302600_NS6detail15normal_iteratorINS8_10device_ptrIxEEEENSA_INSB_IiEEEEZNS1_13binary_searchIS3_S5_SD_SD_SF_NS1_21lower_bound_search_opENS9_16wrapped_functionINS0_4lessIvEEbEEEE10hipError_tPvRmT1_T2_T3_mmT4_T5_P12ihipStream_tbEUlRKxE_EESM_SQ_SR_mSS_SV_bEUlT_E_NS1_11comp_targetILNS1_3genE10ELNS1_11target_archE1201ELNS1_3gpuE5ELNS1_3repE0EEENS1_30default_config_static_selectorELNS0_4arch9wavefront6targetE0EEEvSP_
; %bb.0:
	.section	.rodata,"a",@progbits
	.p2align	6, 0x0
	.amdhsa_kernel _ZN7rocprim17ROCPRIM_400000_NS6detail17trampoline_kernelINS0_14default_configENS1_27lower_bound_config_selectorIxiEEZNS1_14transform_implILb0ES3_S5_N6thrust23THRUST_200600_302600_NS6detail15normal_iteratorINS8_10device_ptrIxEEEENSA_INSB_IiEEEEZNS1_13binary_searchIS3_S5_SD_SD_SF_NS1_21lower_bound_search_opENS9_16wrapped_functionINS0_4lessIvEEbEEEE10hipError_tPvRmT1_T2_T3_mmT4_T5_P12ihipStream_tbEUlRKxE_EESM_SQ_SR_mSS_SV_bEUlT_E_NS1_11comp_targetILNS1_3genE10ELNS1_11target_archE1201ELNS1_3gpuE5ELNS1_3repE0EEENS1_30default_config_static_selectorELNS0_4arch9wavefront6targetE0EEEvSP_
		.amdhsa_group_segment_fixed_size 0
		.amdhsa_private_segment_fixed_size 0
		.amdhsa_kernarg_size 56
		.amdhsa_user_sgpr_count 15
		.amdhsa_user_sgpr_dispatch_ptr 0
		.amdhsa_user_sgpr_queue_ptr 0
		.amdhsa_user_sgpr_kernarg_segment_ptr 1
		.amdhsa_user_sgpr_dispatch_id 0
		.amdhsa_user_sgpr_private_segment_size 0
		.amdhsa_wavefront_size32 1
		.amdhsa_uses_dynamic_stack 0
		.amdhsa_enable_private_segment 0
		.amdhsa_system_sgpr_workgroup_id_x 1
		.amdhsa_system_sgpr_workgroup_id_y 0
		.amdhsa_system_sgpr_workgroup_id_z 0
		.amdhsa_system_sgpr_workgroup_info 0
		.amdhsa_system_vgpr_workitem_id 0
		.amdhsa_next_free_vgpr 1
		.amdhsa_next_free_sgpr 1
		.amdhsa_reserve_vcc 0
		.amdhsa_float_round_mode_32 0
		.amdhsa_float_round_mode_16_64 0
		.amdhsa_float_denorm_mode_32 3
		.amdhsa_float_denorm_mode_16_64 3
		.amdhsa_dx10_clamp 1
		.amdhsa_ieee_mode 1
		.amdhsa_fp16_overflow 0
		.amdhsa_workgroup_processor_mode 1
		.amdhsa_memory_ordered 1
		.amdhsa_forward_progress 0
		.amdhsa_shared_vgpr_count 0
		.amdhsa_exception_fp_ieee_invalid_op 0
		.amdhsa_exception_fp_denorm_src 0
		.amdhsa_exception_fp_ieee_div_zero 0
		.amdhsa_exception_fp_ieee_overflow 0
		.amdhsa_exception_fp_ieee_underflow 0
		.amdhsa_exception_fp_ieee_inexact 0
		.amdhsa_exception_int_div_zero 0
	.end_amdhsa_kernel
	.section	.text._ZN7rocprim17ROCPRIM_400000_NS6detail17trampoline_kernelINS0_14default_configENS1_27lower_bound_config_selectorIxiEEZNS1_14transform_implILb0ES3_S5_N6thrust23THRUST_200600_302600_NS6detail15normal_iteratorINS8_10device_ptrIxEEEENSA_INSB_IiEEEEZNS1_13binary_searchIS3_S5_SD_SD_SF_NS1_21lower_bound_search_opENS9_16wrapped_functionINS0_4lessIvEEbEEEE10hipError_tPvRmT1_T2_T3_mmT4_T5_P12ihipStream_tbEUlRKxE_EESM_SQ_SR_mSS_SV_bEUlT_E_NS1_11comp_targetILNS1_3genE10ELNS1_11target_archE1201ELNS1_3gpuE5ELNS1_3repE0EEENS1_30default_config_static_selectorELNS0_4arch9wavefront6targetE0EEEvSP_,"axG",@progbits,_ZN7rocprim17ROCPRIM_400000_NS6detail17trampoline_kernelINS0_14default_configENS1_27lower_bound_config_selectorIxiEEZNS1_14transform_implILb0ES3_S5_N6thrust23THRUST_200600_302600_NS6detail15normal_iteratorINS8_10device_ptrIxEEEENSA_INSB_IiEEEEZNS1_13binary_searchIS3_S5_SD_SD_SF_NS1_21lower_bound_search_opENS9_16wrapped_functionINS0_4lessIvEEbEEEE10hipError_tPvRmT1_T2_T3_mmT4_T5_P12ihipStream_tbEUlRKxE_EESM_SQ_SR_mSS_SV_bEUlT_E_NS1_11comp_targetILNS1_3genE10ELNS1_11target_archE1201ELNS1_3gpuE5ELNS1_3repE0EEENS1_30default_config_static_selectorELNS0_4arch9wavefront6targetE0EEEvSP_,comdat
.Lfunc_end306:
	.size	_ZN7rocprim17ROCPRIM_400000_NS6detail17trampoline_kernelINS0_14default_configENS1_27lower_bound_config_selectorIxiEEZNS1_14transform_implILb0ES3_S5_N6thrust23THRUST_200600_302600_NS6detail15normal_iteratorINS8_10device_ptrIxEEEENSA_INSB_IiEEEEZNS1_13binary_searchIS3_S5_SD_SD_SF_NS1_21lower_bound_search_opENS9_16wrapped_functionINS0_4lessIvEEbEEEE10hipError_tPvRmT1_T2_T3_mmT4_T5_P12ihipStream_tbEUlRKxE_EESM_SQ_SR_mSS_SV_bEUlT_E_NS1_11comp_targetILNS1_3genE10ELNS1_11target_archE1201ELNS1_3gpuE5ELNS1_3repE0EEENS1_30default_config_static_selectorELNS0_4arch9wavefront6targetE0EEEvSP_, .Lfunc_end306-_ZN7rocprim17ROCPRIM_400000_NS6detail17trampoline_kernelINS0_14default_configENS1_27lower_bound_config_selectorIxiEEZNS1_14transform_implILb0ES3_S5_N6thrust23THRUST_200600_302600_NS6detail15normal_iteratorINS8_10device_ptrIxEEEENSA_INSB_IiEEEEZNS1_13binary_searchIS3_S5_SD_SD_SF_NS1_21lower_bound_search_opENS9_16wrapped_functionINS0_4lessIvEEbEEEE10hipError_tPvRmT1_T2_T3_mmT4_T5_P12ihipStream_tbEUlRKxE_EESM_SQ_SR_mSS_SV_bEUlT_E_NS1_11comp_targetILNS1_3genE10ELNS1_11target_archE1201ELNS1_3gpuE5ELNS1_3repE0EEENS1_30default_config_static_selectorELNS0_4arch9wavefront6targetE0EEEvSP_
                                        ; -- End function
	.section	.AMDGPU.csdata,"",@progbits
; Kernel info:
; codeLenInByte = 0
; NumSgprs: 0
; NumVgprs: 0
; ScratchSize: 0
; MemoryBound: 0
; FloatMode: 240
; IeeeMode: 1
; LDSByteSize: 0 bytes/workgroup (compile time only)
; SGPRBlocks: 0
; VGPRBlocks: 0
; NumSGPRsForWavesPerEU: 1
; NumVGPRsForWavesPerEU: 1
; Occupancy: 16
; WaveLimiterHint : 0
; COMPUTE_PGM_RSRC2:SCRATCH_EN: 0
; COMPUTE_PGM_RSRC2:USER_SGPR: 15
; COMPUTE_PGM_RSRC2:TRAP_HANDLER: 0
; COMPUTE_PGM_RSRC2:TGID_X_EN: 1
; COMPUTE_PGM_RSRC2:TGID_Y_EN: 0
; COMPUTE_PGM_RSRC2:TGID_Z_EN: 0
; COMPUTE_PGM_RSRC2:TIDIG_COMP_CNT: 0
	.section	.text._ZN7rocprim17ROCPRIM_400000_NS6detail17trampoline_kernelINS0_14default_configENS1_27lower_bound_config_selectorIxiEEZNS1_14transform_implILb0ES3_S5_N6thrust23THRUST_200600_302600_NS6detail15normal_iteratorINS8_10device_ptrIxEEEENSA_INSB_IiEEEEZNS1_13binary_searchIS3_S5_SD_SD_SF_NS1_21lower_bound_search_opENS9_16wrapped_functionINS0_4lessIvEEbEEEE10hipError_tPvRmT1_T2_T3_mmT4_T5_P12ihipStream_tbEUlRKxE_EESM_SQ_SR_mSS_SV_bEUlT_E_NS1_11comp_targetILNS1_3genE10ELNS1_11target_archE1200ELNS1_3gpuE4ELNS1_3repE0EEENS1_30default_config_static_selectorELNS0_4arch9wavefront6targetE0EEEvSP_,"axG",@progbits,_ZN7rocprim17ROCPRIM_400000_NS6detail17trampoline_kernelINS0_14default_configENS1_27lower_bound_config_selectorIxiEEZNS1_14transform_implILb0ES3_S5_N6thrust23THRUST_200600_302600_NS6detail15normal_iteratorINS8_10device_ptrIxEEEENSA_INSB_IiEEEEZNS1_13binary_searchIS3_S5_SD_SD_SF_NS1_21lower_bound_search_opENS9_16wrapped_functionINS0_4lessIvEEbEEEE10hipError_tPvRmT1_T2_T3_mmT4_T5_P12ihipStream_tbEUlRKxE_EESM_SQ_SR_mSS_SV_bEUlT_E_NS1_11comp_targetILNS1_3genE10ELNS1_11target_archE1200ELNS1_3gpuE4ELNS1_3repE0EEENS1_30default_config_static_selectorELNS0_4arch9wavefront6targetE0EEEvSP_,comdat
	.protected	_ZN7rocprim17ROCPRIM_400000_NS6detail17trampoline_kernelINS0_14default_configENS1_27lower_bound_config_selectorIxiEEZNS1_14transform_implILb0ES3_S5_N6thrust23THRUST_200600_302600_NS6detail15normal_iteratorINS8_10device_ptrIxEEEENSA_INSB_IiEEEEZNS1_13binary_searchIS3_S5_SD_SD_SF_NS1_21lower_bound_search_opENS9_16wrapped_functionINS0_4lessIvEEbEEEE10hipError_tPvRmT1_T2_T3_mmT4_T5_P12ihipStream_tbEUlRKxE_EESM_SQ_SR_mSS_SV_bEUlT_E_NS1_11comp_targetILNS1_3genE10ELNS1_11target_archE1200ELNS1_3gpuE4ELNS1_3repE0EEENS1_30default_config_static_selectorELNS0_4arch9wavefront6targetE0EEEvSP_ ; -- Begin function _ZN7rocprim17ROCPRIM_400000_NS6detail17trampoline_kernelINS0_14default_configENS1_27lower_bound_config_selectorIxiEEZNS1_14transform_implILb0ES3_S5_N6thrust23THRUST_200600_302600_NS6detail15normal_iteratorINS8_10device_ptrIxEEEENSA_INSB_IiEEEEZNS1_13binary_searchIS3_S5_SD_SD_SF_NS1_21lower_bound_search_opENS9_16wrapped_functionINS0_4lessIvEEbEEEE10hipError_tPvRmT1_T2_T3_mmT4_T5_P12ihipStream_tbEUlRKxE_EESM_SQ_SR_mSS_SV_bEUlT_E_NS1_11comp_targetILNS1_3genE10ELNS1_11target_archE1200ELNS1_3gpuE4ELNS1_3repE0EEENS1_30default_config_static_selectorELNS0_4arch9wavefront6targetE0EEEvSP_
	.globl	_ZN7rocprim17ROCPRIM_400000_NS6detail17trampoline_kernelINS0_14default_configENS1_27lower_bound_config_selectorIxiEEZNS1_14transform_implILb0ES3_S5_N6thrust23THRUST_200600_302600_NS6detail15normal_iteratorINS8_10device_ptrIxEEEENSA_INSB_IiEEEEZNS1_13binary_searchIS3_S5_SD_SD_SF_NS1_21lower_bound_search_opENS9_16wrapped_functionINS0_4lessIvEEbEEEE10hipError_tPvRmT1_T2_T3_mmT4_T5_P12ihipStream_tbEUlRKxE_EESM_SQ_SR_mSS_SV_bEUlT_E_NS1_11comp_targetILNS1_3genE10ELNS1_11target_archE1200ELNS1_3gpuE4ELNS1_3repE0EEENS1_30default_config_static_selectorELNS0_4arch9wavefront6targetE0EEEvSP_
	.p2align	8
	.type	_ZN7rocprim17ROCPRIM_400000_NS6detail17trampoline_kernelINS0_14default_configENS1_27lower_bound_config_selectorIxiEEZNS1_14transform_implILb0ES3_S5_N6thrust23THRUST_200600_302600_NS6detail15normal_iteratorINS8_10device_ptrIxEEEENSA_INSB_IiEEEEZNS1_13binary_searchIS3_S5_SD_SD_SF_NS1_21lower_bound_search_opENS9_16wrapped_functionINS0_4lessIvEEbEEEE10hipError_tPvRmT1_T2_T3_mmT4_T5_P12ihipStream_tbEUlRKxE_EESM_SQ_SR_mSS_SV_bEUlT_E_NS1_11comp_targetILNS1_3genE10ELNS1_11target_archE1200ELNS1_3gpuE4ELNS1_3repE0EEENS1_30default_config_static_selectorELNS0_4arch9wavefront6targetE0EEEvSP_,@function
_ZN7rocprim17ROCPRIM_400000_NS6detail17trampoline_kernelINS0_14default_configENS1_27lower_bound_config_selectorIxiEEZNS1_14transform_implILb0ES3_S5_N6thrust23THRUST_200600_302600_NS6detail15normal_iteratorINS8_10device_ptrIxEEEENSA_INSB_IiEEEEZNS1_13binary_searchIS3_S5_SD_SD_SF_NS1_21lower_bound_search_opENS9_16wrapped_functionINS0_4lessIvEEbEEEE10hipError_tPvRmT1_T2_T3_mmT4_T5_P12ihipStream_tbEUlRKxE_EESM_SQ_SR_mSS_SV_bEUlT_E_NS1_11comp_targetILNS1_3genE10ELNS1_11target_archE1200ELNS1_3gpuE4ELNS1_3repE0EEENS1_30default_config_static_selectorELNS0_4arch9wavefront6targetE0EEEvSP_: ; @_ZN7rocprim17ROCPRIM_400000_NS6detail17trampoline_kernelINS0_14default_configENS1_27lower_bound_config_selectorIxiEEZNS1_14transform_implILb0ES3_S5_N6thrust23THRUST_200600_302600_NS6detail15normal_iteratorINS8_10device_ptrIxEEEENSA_INSB_IiEEEEZNS1_13binary_searchIS3_S5_SD_SD_SF_NS1_21lower_bound_search_opENS9_16wrapped_functionINS0_4lessIvEEbEEEE10hipError_tPvRmT1_T2_T3_mmT4_T5_P12ihipStream_tbEUlRKxE_EESM_SQ_SR_mSS_SV_bEUlT_E_NS1_11comp_targetILNS1_3genE10ELNS1_11target_archE1200ELNS1_3gpuE4ELNS1_3repE0EEENS1_30default_config_static_selectorELNS0_4arch9wavefront6targetE0EEEvSP_
; %bb.0:
	.section	.rodata,"a",@progbits
	.p2align	6, 0x0
	.amdhsa_kernel _ZN7rocprim17ROCPRIM_400000_NS6detail17trampoline_kernelINS0_14default_configENS1_27lower_bound_config_selectorIxiEEZNS1_14transform_implILb0ES3_S5_N6thrust23THRUST_200600_302600_NS6detail15normal_iteratorINS8_10device_ptrIxEEEENSA_INSB_IiEEEEZNS1_13binary_searchIS3_S5_SD_SD_SF_NS1_21lower_bound_search_opENS9_16wrapped_functionINS0_4lessIvEEbEEEE10hipError_tPvRmT1_T2_T3_mmT4_T5_P12ihipStream_tbEUlRKxE_EESM_SQ_SR_mSS_SV_bEUlT_E_NS1_11comp_targetILNS1_3genE10ELNS1_11target_archE1200ELNS1_3gpuE4ELNS1_3repE0EEENS1_30default_config_static_selectorELNS0_4arch9wavefront6targetE0EEEvSP_
		.amdhsa_group_segment_fixed_size 0
		.amdhsa_private_segment_fixed_size 0
		.amdhsa_kernarg_size 56
		.amdhsa_user_sgpr_count 15
		.amdhsa_user_sgpr_dispatch_ptr 0
		.amdhsa_user_sgpr_queue_ptr 0
		.amdhsa_user_sgpr_kernarg_segment_ptr 1
		.amdhsa_user_sgpr_dispatch_id 0
		.amdhsa_user_sgpr_private_segment_size 0
		.amdhsa_wavefront_size32 1
		.amdhsa_uses_dynamic_stack 0
		.amdhsa_enable_private_segment 0
		.amdhsa_system_sgpr_workgroup_id_x 1
		.amdhsa_system_sgpr_workgroup_id_y 0
		.amdhsa_system_sgpr_workgroup_id_z 0
		.amdhsa_system_sgpr_workgroup_info 0
		.amdhsa_system_vgpr_workitem_id 0
		.amdhsa_next_free_vgpr 1
		.amdhsa_next_free_sgpr 1
		.amdhsa_reserve_vcc 0
		.amdhsa_float_round_mode_32 0
		.amdhsa_float_round_mode_16_64 0
		.amdhsa_float_denorm_mode_32 3
		.amdhsa_float_denorm_mode_16_64 3
		.amdhsa_dx10_clamp 1
		.amdhsa_ieee_mode 1
		.amdhsa_fp16_overflow 0
		.amdhsa_workgroup_processor_mode 1
		.amdhsa_memory_ordered 1
		.amdhsa_forward_progress 0
		.amdhsa_shared_vgpr_count 0
		.amdhsa_exception_fp_ieee_invalid_op 0
		.amdhsa_exception_fp_denorm_src 0
		.amdhsa_exception_fp_ieee_div_zero 0
		.amdhsa_exception_fp_ieee_overflow 0
		.amdhsa_exception_fp_ieee_underflow 0
		.amdhsa_exception_fp_ieee_inexact 0
		.amdhsa_exception_int_div_zero 0
	.end_amdhsa_kernel
	.section	.text._ZN7rocprim17ROCPRIM_400000_NS6detail17trampoline_kernelINS0_14default_configENS1_27lower_bound_config_selectorIxiEEZNS1_14transform_implILb0ES3_S5_N6thrust23THRUST_200600_302600_NS6detail15normal_iteratorINS8_10device_ptrIxEEEENSA_INSB_IiEEEEZNS1_13binary_searchIS3_S5_SD_SD_SF_NS1_21lower_bound_search_opENS9_16wrapped_functionINS0_4lessIvEEbEEEE10hipError_tPvRmT1_T2_T3_mmT4_T5_P12ihipStream_tbEUlRKxE_EESM_SQ_SR_mSS_SV_bEUlT_E_NS1_11comp_targetILNS1_3genE10ELNS1_11target_archE1200ELNS1_3gpuE4ELNS1_3repE0EEENS1_30default_config_static_selectorELNS0_4arch9wavefront6targetE0EEEvSP_,"axG",@progbits,_ZN7rocprim17ROCPRIM_400000_NS6detail17trampoline_kernelINS0_14default_configENS1_27lower_bound_config_selectorIxiEEZNS1_14transform_implILb0ES3_S5_N6thrust23THRUST_200600_302600_NS6detail15normal_iteratorINS8_10device_ptrIxEEEENSA_INSB_IiEEEEZNS1_13binary_searchIS3_S5_SD_SD_SF_NS1_21lower_bound_search_opENS9_16wrapped_functionINS0_4lessIvEEbEEEE10hipError_tPvRmT1_T2_T3_mmT4_T5_P12ihipStream_tbEUlRKxE_EESM_SQ_SR_mSS_SV_bEUlT_E_NS1_11comp_targetILNS1_3genE10ELNS1_11target_archE1200ELNS1_3gpuE4ELNS1_3repE0EEENS1_30default_config_static_selectorELNS0_4arch9wavefront6targetE0EEEvSP_,comdat
.Lfunc_end307:
	.size	_ZN7rocprim17ROCPRIM_400000_NS6detail17trampoline_kernelINS0_14default_configENS1_27lower_bound_config_selectorIxiEEZNS1_14transform_implILb0ES3_S5_N6thrust23THRUST_200600_302600_NS6detail15normal_iteratorINS8_10device_ptrIxEEEENSA_INSB_IiEEEEZNS1_13binary_searchIS3_S5_SD_SD_SF_NS1_21lower_bound_search_opENS9_16wrapped_functionINS0_4lessIvEEbEEEE10hipError_tPvRmT1_T2_T3_mmT4_T5_P12ihipStream_tbEUlRKxE_EESM_SQ_SR_mSS_SV_bEUlT_E_NS1_11comp_targetILNS1_3genE10ELNS1_11target_archE1200ELNS1_3gpuE4ELNS1_3repE0EEENS1_30default_config_static_selectorELNS0_4arch9wavefront6targetE0EEEvSP_, .Lfunc_end307-_ZN7rocprim17ROCPRIM_400000_NS6detail17trampoline_kernelINS0_14default_configENS1_27lower_bound_config_selectorIxiEEZNS1_14transform_implILb0ES3_S5_N6thrust23THRUST_200600_302600_NS6detail15normal_iteratorINS8_10device_ptrIxEEEENSA_INSB_IiEEEEZNS1_13binary_searchIS3_S5_SD_SD_SF_NS1_21lower_bound_search_opENS9_16wrapped_functionINS0_4lessIvEEbEEEE10hipError_tPvRmT1_T2_T3_mmT4_T5_P12ihipStream_tbEUlRKxE_EESM_SQ_SR_mSS_SV_bEUlT_E_NS1_11comp_targetILNS1_3genE10ELNS1_11target_archE1200ELNS1_3gpuE4ELNS1_3repE0EEENS1_30default_config_static_selectorELNS0_4arch9wavefront6targetE0EEEvSP_
                                        ; -- End function
	.section	.AMDGPU.csdata,"",@progbits
; Kernel info:
; codeLenInByte = 0
; NumSgprs: 0
; NumVgprs: 0
; ScratchSize: 0
; MemoryBound: 0
; FloatMode: 240
; IeeeMode: 1
; LDSByteSize: 0 bytes/workgroup (compile time only)
; SGPRBlocks: 0
; VGPRBlocks: 0
; NumSGPRsForWavesPerEU: 1
; NumVGPRsForWavesPerEU: 1
; Occupancy: 16
; WaveLimiterHint : 0
; COMPUTE_PGM_RSRC2:SCRATCH_EN: 0
; COMPUTE_PGM_RSRC2:USER_SGPR: 15
; COMPUTE_PGM_RSRC2:TRAP_HANDLER: 0
; COMPUTE_PGM_RSRC2:TGID_X_EN: 1
; COMPUTE_PGM_RSRC2:TGID_Y_EN: 0
; COMPUTE_PGM_RSRC2:TGID_Z_EN: 0
; COMPUTE_PGM_RSRC2:TIDIG_COMP_CNT: 0
	.section	.text._ZN7rocprim17ROCPRIM_400000_NS6detail17trampoline_kernelINS0_14default_configENS1_27lower_bound_config_selectorIxiEEZNS1_14transform_implILb0ES3_S5_N6thrust23THRUST_200600_302600_NS6detail15normal_iteratorINS8_10device_ptrIxEEEENSA_INSB_IiEEEEZNS1_13binary_searchIS3_S5_SD_SD_SF_NS1_21lower_bound_search_opENS9_16wrapped_functionINS0_4lessIvEEbEEEE10hipError_tPvRmT1_T2_T3_mmT4_T5_P12ihipStream_tbEUlRKxE_EESM_SQ_SR_mSS_SV_bEUlT_E_NS1_11comp_targetILNS1_3genE9ELNS1_11target_archE1100ELNS1_3gpuE3ELNS1_3repE0EEENS1_30default_config_static_selectorELNS0_4arch9wavefront6targetE0EEEvSP_,"axG",@progbits,_ZN7rocprim17ROCPRIM_400000_NS6detail17trampoline_kernelINS0_14default_configENS1_27lower_bound_config_selectorIxiEEZNS1_14transform_implILb0ES3_S5_N6thrust23THRUST_200600_302600_NS6detail15normal_iteratorINS8_10device_ptrIxEEEENSA_INSB_IiEEEEZNS1_13binary_searchIS3_S5_SD_SD_SF_NS1_21lower_bound_search_opENS9_16wrapped_functionINS0_4lessIvEEbEEEE10hipError_tPvRmT1_T2_T3_mmT4_T5_P12ihipStream_tbEUlRKxE_EESM_SQ_SR_mSS_SV_bEUlT_E_NS1_11comp_targetILNS1_3genE9ELNS1_11target_archE1100ELNS1_3gpuE3ELNS1_3repE0EEENS1_30default_config_static_selectorELNS0_4arch9wavefront6targetE0EEEvSP_,comdat
	.protected	_ZN7rocprim17ROCPRIM_400000_NS6detail17trampoline_kernelINS0_14default_configENS1_27lower_bound_config_selectorIxiEEZNS1_14transform_implILb0ES3_S5_N6thrust23THRUST_200600_302600_NS6detail15normal_iteratorINS8_10device_ptrIxEEEENSA_INSB_IiEEEEZNS1_13binary_searchIS3_S5_SD_SD_SF_NS1_21lower_bound_search_opENS9_16wrapped_functionINS0_4lessIvEEbEEEE10hipError_tPvRmT1_T2_T3_mmT4_T5_P12ihipStream_tbEUlRKxE_EESM_SQ_SR_mSS_SV_bEUlT_E_NS1_11comp_targetILNS1_3genE9ELNS1_11target_archE1100ELNS1_3gpuE3ELNS1_3repE0EEENS1_30default_config_static_selectorELNS0_4arch9wavefront6targetE0EEEvSP_ ; -- Begin function _ZN7rocprim17ROCPRIM_400000_NS6detail17trampoline_kernelINS0_14default_configENS1_27lower_bound_config_selectorIxiEEZNS1_14transform_implILb0ES3_S5_N6thrust23THRUST_200600_302600_NS6detail15normal_iteratorINS8_10device_ptrIxEEEENSA_INSB_IiEEEEZNS1_13binary_searchIS3_S5_SD_SD_SF_NS1_21lower_bound_search_opENS9_16wrapped_functionINS0_4lessIvEEbEEEE10hipError_tPvRmT1_T2_T3_mmT4_T5_P12ihipStream_tbEUlRKxE_EESM_SQ_SR_mSS_SV_bEUlT_E_NS1_11comp_targetILNS1_3genE9ELNS1_11target_archE1100ELNS1_3gpuE3ELNS1_3repE0EEENS1_30default_config_static_selectorELNS0_4arch9wavefront6targetE0EEEvSP_
	.globl	_ZN7rocprim17ROCPRIM_400000_NS6detail17trampoline_kernelINS0_14default_configENS1_27lower_bound_config_selectorIxiEEZNS1_14transform_implILb0ES3_S5_N6thrust23THRUST_200600_302600_NS6detail15normal_iteratorINS8_10device_ptrIxEEEENSA_INSB_IiEEEEZNS1_13binary_searchIS3_S5_SD_SD_SF_NS1_21lower_bound_search_opENS9_16wrapped_functionINS0_4lessIvEEbEEEE10hipError_tPvRmT1_T2_T3_mmT4_T5_P12ihipStream_tbEUlRKxE_EESM_SQ_SR_mSS_SV_bEUlT_E_NS1_11comp_targetILNS1_3genE9ELNS1_11target_archE1100ELNS1_3gpuE3ELNS1_3repE0EEENS1_30default_config_static_selectorELNS0_4arch9wavefront6targetE0EEEvSP_
	.p2align	8
	.type	_ZN7rocprim17ROCPRIM_400000_NS6detail17trampoline_kernelINS0_14default_configENS1_27lower_bound_config_selectorIxiEEZNS1_14transform_implILb0ES3_S5_N6thrust23THRUST_200600_302600_NS6detail15normal_iteratorINS8_10device_ptrIxEEEENSA_INSB_IiEEEEZNS1_13binary_searchIS3_S5_SD_SD_SF_NS1_21lower_bound_search_opENS9_16wrapped_functionINS0_4lessIvEEbEEEE10hipError_tPvRmT1_T2_T3_mmT4_T5_P12ihipStream_tbEUlRKxE_EESM_SQ_SR_mSS_SV_bEUlT_E_NS1_11comp_targetILNS1_3genE9ELNS1_11target_archE1100ELNS1_3gpuE3ELNS1_3repE0EEENS1_30default_config_static_selectorELNS0_4arch9wavefront6targetE0EEEvSP_,@function
_ZN7rocprim17ROCPRIM_400000_NS6detail17trampoline_kernelINS0_14default_configENS1_27lower_bound_config_selectorIxiEEZNS1_14transform_implILb0ES3_S5_N6thrust23THRUST_200600_302600_NS6detail15normal_iteratorINS8_10device_ptrIxEEEENSA_INSB_IiEEEEZNS1_13binary_searchIS3_S5_SD_SD_SF_NS1_21lower_bound_search_opENS9_16wrapped_functionINS0_4lessIvEEbEEEE10hipError_tPvRmT1_T2_T3_mmT4_T5_P12ihipStream_tbEUlRKxE_EESM_SQ_SR_mSS_SV_bEUlT_E_NS1_11comp_targetILNS1_3genE9ELNS1_11target_archE1100ELNS1_3gpuE3ELNS1_3repE0EEENS1_30default_config_static_selectorELNS0_4arch9wavefront6targetE0EEEvSP_: ; @_ZN7rocprim17ROCPRIM_400000_NS6detail17trampoline_kernelINS0_14default_configENS1_27lower_bound_config_selectorIxiEEZNS1_14transform_implILb0ES3_S5_N6thrust23THRUST_200600_302600_NS6detail15normal_iteratorINS8_10device_ptrIxEEEENSA_INSB_IiEEEEZNS1_13binary_searchIS3_S5_SD_SD_SF_NS1_21lower_bound_search_opENS9_16wrapped_functionINS0_4lessIvEEbEEEE10hipError_tPvRmT1_T2_T3_mmT4_T5_P12ihipStream_tbEUlRKxE_EESM_SQ_SR_mSS_SV_bEUlT_E_NS1_11comp_targetILNS1_3genE9ELNS1_11target_archE1100ELNS1_3gpuE3ELNS1_3repE0EEENS1_30default_config_static_selectorELNS0_4arch9wavefront6targetE0EEEvSP_
; %bb.0:
	s_clause 0x2
	s_load_b256 s[4:11], s[0:1], 0x0
	s_load_b32 s2, s[0:1], 0x38
	s_load_b128 s[16:19], s[0:1], 0x20
	s_mov_b32 s21, 0
	s_waitcnt lgkmcnt(0)
	s_lshl_b64 s[0:1], s[6:7], 3
	s_delay_alu instid0(SALU_CYCLE_1) | instskip(SKIP_2) | instid1(SALU_CYCLE_1)
	s_add_u32 s3, s4, s0
	s_addc_u32 s4, s5, s1
	s_lshl_b64 s[0:1], s[6:7], 2
	s_add_u32 s22, s10, s0
	s_addc_u32 s23, s11, s1
	s_lshl_b32 s20, s15, 10
	s_add_i32 s2, s2, -1
	s_lshl_b64 s[0:1], s[20:21], 3
	s_delay_alu instid0(SALU_CYCLE_1)
	s_add_u32 s25, s3, s0
	s_addc_u32 s26, s4, s1
	s_cmp_lg_u32 s15, s2
	s_mov_b32 s0, -1
	s_cbranch_scc0 .LBB308_58
; %bb.1:
	v_lshlrev_b32_e32 v1, 3, v0
	s_cmp_lg_u64 s[18:19], 0
	s_mov_b32 s2, 0
	s_cselect_b32 s1, -1, 0
	s_cmp_eq_u64 s[18:19], 0
	v_add_co_u32 v5, s0, s25, v1
	s_delay_alu instid0(VALU_DEP_1) | instskip(NEXT) | instid1(VALU_DEP_2)
	v_add_co_ci_u32_e64 v6, null, s26, 0, s0
	v_add_co_u32 v1, vcc_lo, 0x1000, v5
	s_delay_alu instid0(VALU_DEP_2)
	v_add_co_ci_u32_e32 v2, vcc_lo, 0, v6, vcc_lo
	s_clause 0xe
	flat_load_b64 v[9:10], v[5:6] offset:512
	flat_load_b64 v[13:14], v[5:6] offset:1024
	;; [unrolled: 1-line block ×7, first 2 shown]
	flat_load_b64 v[31:32], v[1:2]
	flat_load_b64 v[27:28], v[1:2] offset:512
	flat_load_b64 v[23:24], v[1:2] offset:1024
	;; [unrolled: 1-line block ×7, first 2 shown]
	v_mov_b32_e32 v1, 0
	v_mov_b32_e32 v2, 0
	s_cbranch_scc1 .LBB308_5
; %bb.2:
	flat_load_b64 v[5:6], v[5:6]
	v_dual_mov_b32 v1, 0 :: v_dual_mov_b32 v36, s19
	v_dual_mov_b32 v2, 0 :: v_dual_mov_b32 v35, s18
	s_set_inst_prefetch_distance 0x1
	.p2align	6
.LBB308_3:                              ; =>This Inner Loop Header: Depth=1
	s_delay_alu instid0(VALU_DEP_1) | instskip(NEXT) | instid1(VALU_DEP_2)
	v_sub_co_u32 v37, vcc_lo, v35, v1
	v_sub_co_ci_u32_e32 v38, vcc_lo, v36, v2, vcc_lo
	s_delay_alu instid0(VALU_DEP_1) | instskip(SKIP_1) | instid1(VALU_DEP_2)
	v_lshrrev_b64 v[39:40], 1, v[37:38]
	v_lshrrev_b64 v[37:38], 6, v[37:38]
	v_add_co_u32 v39, vcc_lo, v39, v1
	s_delay_alu instid0(VALU_DEP_3) | instskip(NEXT) | instid1(VALU_DEP_2)
	v_add_co_ci_u32_e32 v40, vcc_lo, v40, v2, vcc_lo
	v_add_co_u32 v37, vcc_lo, v39, v37
	s_delay_alu instid0(VALU_DEP_2) | instskip(NEXT) | instid1(VALU_DEP_1)
	v_add_co_ci_u32_e32 v38, vcc_lo, v40, v38, vcc_lo
	v_lshlrev_b64 v[39:40], 3, v[37:38]
	s_delay_alu instid0(VALU_DEP_1) | instskip(NEXT) | instid1(VALU_DEP_2)
	v_add_co_u32 v39, vcc_lo, s16, v39
	v_add_co_ci_u32_e32 v40, vcc_lo, s17, v40, vcc_lo
	v_add_co_u32 v41, vcc_lo, v37, 1
	global_load_b64 v[39:40], v[39:40], off
	s_waitcnt vmcnt(0) lgkmcnt(0)
	v_cmp_lt_i64_e64 s0, v[39:40], v[5:6]
	v_add_co_ci_u32_e32 v39, vcc_lo, 0, v38, vcc_lo
	s_delay_alu instid0(VALU_DEP_2) | instskip(SKIP_1) | instid1(VALU_DEP_3)
	v_cndmask_b32_e64 v36, v38, v36, s0
	v_cndmask_b32_e64 v35, v37, v35, s0
	;; [unrolled: 1-line block ×4, first 2 shown]
	s_delay_alu instid0(VALU_DEP_1) | instskip(SKIP_1) | instid1(SALU_CYCLE_1)
	v_cmp_ge_u64_e32 vcc_lo, v[1:2], v[35:36]
	s_or_b32 s2, vcc_lo, s2
	s_and_not1_b32 exec_lo, exec_lo, s2
	s_cbranch_execnz .LBB308_3
; %bb.4:
	s_set_inst_prefetch_distance 0x2
	s_or_b32 exec_lo, exec_lo, s2
.LBB308_5:
	v_mov_b32_e32 v5, 0
	v_cndmask_b32_e64 v2, 0, 1, s1
	v_mov_b32_e32 v6, 0
	s_and_not1_b32 vcc_lo, exec_lo, s1
	s_cbranch_vccnz .LBB308_9
; %bb.6:
	v_dual_mov_b32 v36, s19 :: v_dual_mov_b32 v35, s18
	s_mov_b32 s1, 0
	s_set_inst_prefetch_distance 0x1
	.p2align	6
.LBB308_7:                              ; =>This Inner Loop Header: Depth=1
	s_delay_alu instid0(VALU_DEP_1) | instskip(NEXT) | instid1(VALU_DEP_2)
	v_sub_co_u32 v37, vcc_lo, v35, v5
	v_sub_co_ci_u32_e32 v38, vcc_lo, v36, v6, vcc_lo
	s_delay_alu instid0(VALU_DEP_1) | instskip(SKIP_1) | instid1(VALU_DEP_2)
	v_lshrrev_b64 v[39:40], 1, v[37:38]
	v_lshrrev_b64 v[37:38], 6, v[37:38]
	v_add_co_u32 v39, vcc_lo, v39, v5
	s_delay_alu instid0(VALU_DEP_3) | instskip(NEXT) | instid1(VALU_DEP_2)
	v_add_co_ci_u32_e32 v40, vcc_lo, v40, v6, vcc_lo
	v_add_co_u32 v37, vcc_lo, v39, v37
	s_delay_alu instid0(VALU_DEP_2) | instskip(NEXT) | instid1(VALU_DEP_1)
	v_add_co_ci_u32_e32 v38, vcc_lo, v40, v38, vcc_lo
	v_lshlrev_b64 v[39:40], 3, v[37:38]
	s_delay_alu instid0(VALU_DEP_1) | instskip(NEXT) | instid1(VALU_DEP_2)
	v_add_co_u32 v39, vcc_lo, s16, v39
	v_add_co_ci_u32_e32 v40, vcc_lo, s17, v40, vcc_lo
	v_add_co_u32 v41, vcc_lo, v37, 1
	global_load_b64 v[39:40], v[39:40], off
	s_waitcnt vmcnt(0) lgkmcnt(14)
	v_cmp_lt_i64_e64 s0, v[39:40], v[9:10]
	v_add_co_ci_u32_e32 v39, vcc_lo, 0, v38, vcc_lo
	s_delay_alu instid0(VALU_DEP_2) | instskip(SKIP_1) | instid1(VALU_DEP_3)
	v_cndmask_b32_e64 v36, v38, v36, s0
	v_cndmask_b32_e64 v35, v37, v35, s0
	;; [unrolled: 1-line block ×4, first 2 shown]
	s_delay_alu instid0(VALU_DEP_1) | instskip(SKIP_1) | instid1(SALU_CYCLE_1)
	v_cmp_ge_u64_e32 vcc_lo, v[5:6], v[35:36]
	s_or_b32 s1, vcc_lo, s1
	s_and_not1_b32 exec_lo, exec_lo, s1
	s_cbranch_execnz .LBB308_7
; %bb.8:
	s_set_inst_prefetch_distance 0x2
	s_or_b32 exec_lo, exec_lo, s1
.LBB308_9:
	s_delay_alu instid0(VALU_DEP_2)
	v_cmp_ne_u32_e32 vcc_lo, 1, v2
	s_waitcnt vmcnt(14) lgkmcnt(14)
	v_mov_b32_e32 v9, 0
	v_mov_b32_e32 v10, 0
	s_cbranch_vccnz .LBB308_13
; %bb.10:
	v_dual_mov_b32 v36, s19 :: v_dual_mov_b32 v35, s18
	s_mov_b32 s1, 0
	s_set_inst_prefetch_distance 0x1
	.p2align	6
.LBB308_11:                             ; =>This Inner Loop Header: Depth=1
	s_delay_alu instid0(VALU_DEP_1) | instskip(NEXT) | instid1(VALU_DEP_2)
	v_sub_co_u32 v37, vcc_lo, v35, v9
	v_sub_co_ci_u32_e32 v38, vcc_lo, v36, v10, vcc_lo
	s_delay_alu instid0(VALU_DEP_1) | instskip(SKIP_1) | instid1(VALU_DEP_2)
	v_lshrrev_b64 v[39:40], 1, v[37:38]
	v_lshrrev_b64 v[37:38], 6, v[37:38]
	v_add_co_u32 v6, vcc_lo, v39, v9
	s_delay_alu instid0(VALU_DEP_3) | instskip(NEXT) | instid1(VALU_DEP_2)
	v_add_co_ci_u32_e32 v39, vcc_lo, v40, v10, vcc_lo
	v_add_co_u32 v37, vcc_lo, v6, v37
	s_delay_alu instid0(VALU_DEP_2) | instskip(NEXT) | instid1(VALU_DEP_1)
	v_add_co_ci_u32_e32 v38, vcc_lo, v39, v38, vcc_lo
	v_lshlrev_b64 v[39:40], 3, v[37:38]
	s_delay_alu instid0(VALU_DEP_1) | instskip(NEXT) | instid1(VALU_DEP_2)
	v_add_co_u32 v39, vcc_lo, s16, v39
	v_add_co_ci_u32_e32 v40, vcc_lo, s17, v40, vcc_lo
	v_add_co_u32 v6, vcc_lo, v37, 1
	global_load_b64 v[39:40], v[39:40], off
	s_waitcnt vmcnt(0) lgkmcnt(13)
	v_cmp_lt_i64_e64 s0, v[39:40], v[13:14]
	v_add_co_ci_u32_e32 v39, vcc_lo, 0, v38, vcc_lo
	s_delay_alu instid0(VALU_DEP_2) | instskip(SKIP_1) | instid1(VALU_DEP_3)
	v_cndmask_b32_e64 v36, v38, v36, s0
	v_cndmask_b32_e64 v35, v37, v35, s0
	;; [unrolled: 1-line block ×4, first 2 shown]
	s_delay_alu instid0(VALU_DEP_1) | instskip(SKIP_1) | instid1(SALU_CYCLE_1)
	v_cmp_ge_u64_e32 vcc_lo, v[9:10], v[35:36]
	s_or_b32 s1, vcc_lo, s1
	s_and_not1_b32 exec_lo, exec_lo, s1
	s_cbranch_execnz .LBB308_11
; %bb.12:
	s_set_inst_prefetch_distance 0x2
	s_or_b32 exec_lo, exec_lo, s1
.LBB308_13:
	v_cmp_ne_u32_e32 vcc_lo, 1, v2
	s_waitcnt vmcnt(13) lgkmcnt(13)
	v_mov_b32_e32 v13, 0
	v_mov_b32_e32 v14, 0
	s_cbranch_vccnz .LBB308_17
; %bb.14:
	v_dual_mov_b32 v36, s19 :: v_dual_mov_b32 v35, s18
	s_mov_b32 s1, 0
	s_set_inst_prefetch_distance 0x1
	.p2align	6
.LBB308_15:                             ; =>This Inner Loop Header: Depth=1
	s_delay_alu instid0(VALU_DEP_1) | instskip(NEXT) | instid1(VALU_DEP_2)
	v_sub_co_u32 v37, vcc_lo, v35, v13
	v_sub_co_ci_u32_e32 v38, vcc_lo, v36, v14, vcc_lo
	s_delay_alu instid0(VALU_DEP_1) | instskip(SKIP_1) | instid1(VALU_DEP_2)
	v_lshrrev_b64 v[39:40], 1, v[37:38]
	v_lshrrev_b64 v[37:38], 6, v[37:38]
	v_add_co_u32 v6, vcc_lo, v39, v13
	s_delay_alu instid0(VALU_DEP_3) | instskip(NEXT) | instid1(VALU_DEP_2)
	v_add_co_ci_u32_e32 v10, vcc_lo, v40, v14, vcc_lo
	v_add_co_u32 v37, vcc_lo, v6, v37
	s_delay_alu instid0(VALU_DEP_2) | instskip(NEXT) | instid1(VALU_DEP_1)
	v_add_co_ci_u32_e32 v38, vcc_lo, v10, v38, vcc_lo
	v_lshlrev_b64 v[39:40], 3, v[37:38]
	s_delay_alu instid0(VALU_DEP_1) | instskip(NEXT) | instid1(VALU_DEP_2)
	v_add_co_u32 v39, vcc_lo, s16, v39
	v_add_co_ci_u32_e32 v40, vcc_lo, s17, v40, vcc_lo
	v_add_co_u32 v6, vcc_lo, v37, 1
	v_add_co_ci_u32_e32 v10, vcc_lo, 0, v38, vcc_lo
	global_load_b64 v[39:40], v[39:40], off
	s_waitcnt vmcnt(0) lgkmcnt(12)
	v_cmp_lt_i64_e64 s0, v[39:40], v[17:18]
	s_delay_alu instid0(VALU_DEP_1) | instskip(SKIP_3) | instid1(VALU_DEP_1)
	v_cndmask_b32_e64 v36, v38, v36, s0
	v_cndmask_b32_e64 v35, v37, v35, s0
	v_cndmask_b32_e64 v14, v14, v10, s0
	v_cndmask_b32_e64 v13, v13, v6, s0
	v_cmp_ge_u64_e32 vcc_lo, v[13:14], v[35:36]
	s_or_b32 s1, vcc_lo, s1
	s_delay_alu instid0(SALU_CYCLE_1)
	s_and_not1_b32 exec_lo, exec_lo, s1
	s_cbranch_execnz .LBB308_15
; %bb.16:
	s_set_inst_prefetch_distance 0x2
	s_or_b32 exec_lo, exec_lo, s1
.LBB308_17:
	v_cmp_ne_u32_e32 vcc_lo, 1, v2
	s_waitcnt vmcnt(12) lgkmcnt(12)
	v_mov_b32_e32 v17, 0
	v_mov_b32_e32 v18, 0
	s_cbranch_vccnz .LBB308_21
; %bb.18:
	v_dual_mov_b32 v36, s19 :: v_dual_mov_b32 v35, s18
	s_mov_b32 s1, 0
	s_set_inst_prefetch_distance 0x1
	.p2align	6
.LBB308_19:                             ; =>This Inner Loop Header: Depth=1
	s_delay_alu instid0(VALU_DEP_1) | instskip(NEXT) | instid1(VALU_DEP_2)
	v_sub_co_u32 v37, vcc_lo, v35, v17
	v_sub_co_ci_u32_e32 v38, vcc_lo, v36, v18, vcc_lo
	s_delay_alu instid0(VALU_DEP_1) | instskip(SKIP_1) | instid1(VALU_DEP_2)
	v_lshrrev_b64 v[39:40], 1, v[37:38]
	v_lshrrev_b64 v[37:38], 6, v[37:38]
	v_add_co_u32 v6, vcc_lo, v39, v17
	s_delay_alu instid0(VALU_DEP_3) | instskip(NEXT) | instid1(VALU_DEP_2)
	v_add_co_ci_u32_e32 v10, vcc_lo, v40, v18, vcc_lo
	v_add_co_u32 v37, vcc_lo, v6, v37
	s_delay_alu instid0(VALU_DEP_2) | instskip(NEXT) | instid1(VALU_DEP_1)
	v_add_co_ci_u32_e32 v38, vcc_lo, v10, v38, vcc_lo
	v_lshlrev_b64 v[39:40], 3, v[37:38]
	s_delay_alu instid0(VALU_DEP_1) | instskip(NEXT) | instid1(VALU_DEP_2)
	v_add_co_u32 v39, vcc_lo, s16, v39
	v_add_co_ci_u32_e32 v40, vcc_lo, s17, v40, vcc_lo
	v_add_co_u32 v6, vcc_lo, v37, 1
	v_add_co_ci_u32_e32 v10, vcc_lo, 0, v38, vcc_lo
	global_load_b64 v[39:40], v[39:40], off
	s_waitcnt vmcnt(0) lgkmcnt(11)
	v_cmp_lt_i64_e64 s0, v[39:40], v[21:22]
	s_delay_alu instid0(VALU_DEP_1) | instskip(SKIP_3) | instid1(VALU_DEP_1)
	v_cndmask_b32_e64 v36, v38, v36, s0
	v_cndmask_b32_e64 v35, v37, v35, s0
	;; [unrolled: 1-line block ×4, first 2 shown]
	v_cmp_ge_u64_e32 vcc_lo, v[17:18], v[35:36]
	s_or_b32 s1, vcc_lo, s1
	s_delay_alu instid0(SALU_CYCLE_1)
	s_and_not1_b32 exec_lo, exec_lo, s1
	s_cbranch_execnz .LBB308_19
; %bb.20:
	s_set_inst_prefetch_distance 0x2
	s_or_b32 exec_lo, exec_lo, s1
.LBB308_21:
	v_cmp_ne_u32_e32 vcc_lo, 1, v2
	s_waitcnt vmcnt(11) lgkmcnt(11)
	v_mov_b32_e32 v21, 0
	v_mov_b32_e32 v22, 0
	s_cbranch_vccnz .LBB308_25
; %bb.22:
	v_dual_mov_b32 v36, s19 :: v_dual_mov_b32 v35, s18
	s_mov_b32 s1, 0
	s_set_inst_prefetch_distance 0x1
	.p2align	6
.LBB308_23:                             ; =>This Inner Loop Header: Depth=1
	s_delay_alu instid0(VALU_DEP_1) | instskip(NEXT) | instid1(VALU_DEP_2)
	v_sub_co_u32 v37, vcc_lo, v35, v21
	v_sub_co_ci_u32_e32 v38, vcc_lo, v36, v22, vcc_lo
	s_delay_alu instid0(VALU_DEP_1) | instskip(SKIP_1) | instid1(VALU_DEP_2)
	v_lshrrev_b64 v[39:40], 1, v[37:38]
	v_lshrrev_b64 v[37:38], 6, v[37:38]
	v_add_co_u32 v6, vcc_lo, v39, v21
	s_delay_alu instid0(VALU_DEP_3) | instskip(NEXT) | instid1(VALU_DEP_2)
	v_add_co_ci_u32_e32 v10, vcc_lo, v40, v22, vcc_lo
	v_add_co_u32 v37, vcc_lo, v6, v37
	s_delay_alu instid0(VALU_DEP_2) | instskip(NEXT) | instid1(VALU_DEP_1)
	v_add_co_ci_u32_e32 v38, vcc_lo, v10, v38, vcc_lo
	v_lshlrev_b64 v[39:40], 3, v[37:38]
	s_delay_alu instid0(VALU_DEP_1) | instskip(NEXT) | instid1(VALU_DEP_2)
	v_add_co_u32 v39, vcc_lo, s16, v39
	v_add_co_ci_u32_e32 v40, vcc_lo, s17, v40, vcc_lo
	v_add_co_u32 v6, vcc_lo, v37, 1
	v_add_co_ci_u32_e32 v10, vcc_lo, 0, v38, vcc_lo
	global_load_b64 v[39:40], v[39:40], off
	s_waitcnt vmcnt(0) lgkmcnt(10)
	v_cmp_lt_i64_e64 s0, v[39:40], v[25:26]
	s_delay_alu instid0(VALU_DEP_1) | instskip(SKIP_3) | instid1(VALU_DEP_1)
	v_cndmask_b32_e64 v36, v38, v36, s0
	v_cndmask_b32_e64 v35, v37, v35, s0
	;; [unrolled: 1-line block ×4, first 2 shown]
	v_cmp_ge_u64_e32 vcc_lo, v[21:22], v[35:36]
	s_or_b32 s1, vcc_lo, s1
	s_delay_alu instid0(SALU_CYCLE_1)
	s_and_not1_b32 exec_lo, exec_lo, s1
	s_cbranch_execnz .LBB308_23
; %bb.24:
	s_set_inst_prefetch_distance 0x2
	s_or_b32 exec_lo, exec_lo, s1
.LBB308_25:
	v_cmp_ne_u32_e32 vcc_lo, 1, v2
	s_waitcnt vmcnt(10) lgkmcnt(10)
	v_mov_b32_e32 v25, 0
	v_mov_b32_e32 v26, 0
	s_cbranch_vccnz .LBB308_29
; %bb.26:
	v_dual_mov_b32 v36, s19 :: v_dual_mov_b32 v35, s18
	s_mov_b32 s1, 0
	s_set_inst_prefetch_distance 0x1
	.p2align	6
.LBB308_27:                             ; =>This Inner Loop Header: Depth=1
	s_delay_alu instid0(VALU_DEP_1) | instskip(NEXT) | instid1(VALU_DEP_2)
	v_sub_co_u32 v37, vcc_lo, v35, v25
	v_sub_co_ci_u32_e32 v38, vcc_lo, v36, v26, vcc_lo
	s_delay_alu instid0(VALU_DEP_1) | instskip(SKIP_1) | instid1(VALU_DEP_2)
	v_lshrrev_b64 v[39:40], 1, v[37:38]
	v_lshrrev_b64 v[37:38], 6, v[37:38]
	v_add_co_u32 v6, vcc_lo, v39, v25
	s_delay_alu instid0(VALU_DEP_3) | instskip(NEXT) | instid1(VALU_DEP_2)
	v_add_co_ci_u32_e32 v10, vcc_lo, v40, v26, vcc_lo
	v_add_co_u32 v37, vcc_lo, v6, v37
	s_delay_alu instid0(VALU_DEP_2) | instskip(NEXT) | instid1(VALU_DEP_1)
	v_add_co_ci_u32_e32 v38, vcc_lo, v10, v38, vcc_lo
	v_lshlrev_b64 v[39:40], 3, v[37:38]
	s_delay_alu instid0(VALU_DEP_1) | instskip(NEXT) | instid1(VALU_DEP_2)
	v_add_co_u32 v39, vcc_lo, s16, v39
	v_add_co_ci_u32_e32 v40, vcc_lo, s17, v40, vcc_lo
	v_add_co_u32 v6, vcc_lo, v37, 1
	v_add_co_ci_u32_e32 v10, vcc_lo, 0, v38, vcc_lo
	global_load_b64 v[39:40], v[39:40], off
	s_waitcnt vmcnt(0) lgkmcnt(9)
	v_cmp_lt_i64_e64 s0, v[39:40], v[29:30]
	s_delay_alu instid0(VALU_DEP_1) | instskip(SKIP_3) | instid1(VALU_DEP_1)
	v_cndmask_b32_e64 v36, v38, v36, s0
	v_cndmask_b32_e64 v35, v37, v35, s0
	v_cndmask_b32_e64 v26, v26, v10, s0
	v_cndmask_b32_e64 v25, v25, v6, s0
	v_cmp_ge_u64_e32 vcc_lo, v[25:26], v[35:36]
	s_or_b32 s1, vcc_lo, s1
	s_delay_alu instid0(SALU_CYCLE_1)
	s_and_not1_b32 exec_lo, exec_lo, s1
	s_cbranch_execnz .LBB308_27
; %bb.28:
	s_set_inst_prefetch_distance 0x2
	s_or_b32 exec_lo, exec_lo, s1
.LBB308_29:
	v_cmp_ne_u32_e32 vcc_lo, 1, v2
	s_waitcnt vmcnt(9) lgkmcnt(9)
	v_mov_b32_e32 v29, 0
	v_mov_b32_e32 v30, 0
	s_cbranch_vccnz .LBB308_33
; %bb.30:
	v_dual_mov_b32 v36, s19 :: v_dual_mov_b32 v35, s18
	s_mov_b32 s1, 0
	s_set_inst_prefetch_distance 0x1
	.p2align	6
.LBB308_31:                             ; =>This Inner Loop Header: Depth=1
	s_delay_alu instid0(VALU_DEP_1) | instskip(NEXT) | instid1(VALU_DEP_2)
	v_sub_co_u32 v37, vcc_lo, v35, v29
	v_sub_co_ci_u32_e32 v38, vcc_lo, v36, v30, vcc_lo
	s_delay_alu instid0(VALU_DEP_1) | instskip(SKIP_1) | instid1(VALU_DEP_2)
	v_lshrrev_b64 v[39:40], 1, v[37:38]
	v_lshrrev_b64 v[37:38], 6, v[37:38]
	v_add_co_u32 v6, vcc_lo, v39, v29
	s_delay_alu instid0(VALU_DEP_3) | instskip(NEXT) | instid1(VALU_DEP_2)
	v_add_co_ci_u32_e32 v10, vcc_lo, v40, v30, vcc_lo
	v_add_co_u32 v37, vcc_lo, v6, v37
	s_delay_alu instid0(VALU_DEP_2) | instskip(NEXT) | instid1(VALU_DEP_1)
	v_add_co_ci_u32_e32 v38, vcc_lo, v10, v38, vcc_lo
	v_lshlrev_b64 v[39:40], 3, v[37:38]
	s_delay_alu instid0(VALU_DEP_1) | instskip(NEXT) | instid1(VALU_DEP_2)
	v_add_co_u32 v39, vcc_lo, s16, v39
	v_add_co_ci_u32_e32 v40, vcc_lo, s17, v40, vcc_lo
	v_add_co_u32 v6, vcc_lo, v37, 1
	v_add_co_ci_u32_e32 v10, vcc_lo, 0, v38, vcc_lo
	global_load_b64 v[39:40], v[39:40], off
	s_waitcnt vmcnt(0) lgkmcnt(8)
	v_cmp_lt_i64_e64 s0, v[39:40], v[33:34]
	s_delay_alu instid0(VALU_DEP_1) | instskip(SKIP_3) | instid1(VALU_DEP_1)
	v_cndmask_b32_e64 v36, v38, v36, s0
	v_cndmask_b32_e64 v35, v37, v35, s0
	;; [unrolled: 1-line block ×4, first 2 shown]
	v_cmp_ge_u64_e32 vcc_lo, v[29:30], v[35:36]
	s_or_b32 s1, vcc_lo, s1
	s_delay_alu instid0(SALU_CYCLE_1)
	s_and_not1_b32 exec_lo, exec_lo, s1
	s_cbranch_execnz .LBB308_31
; %bb.32:
	s_set_inst_prefetch_distance 0x2
	s_or_b32 exec_lo, exec_lo, s1
.LBB308_33:
	v_cmp_ne_u32_e32 vcc_lo, 1, v2
	s_cbranch_vccnz .LBB308_59
; %bb.34:
	s_waitcnt vmcnt(8) lgkmcnt(8)
	v_dual_mov_b32 v33, 0 :: v_dual_mov_b32 v36, s19
	v_dual_mov_b32 v34, 0 :: v_dual_mov_b32 v35, s18
	s_mov_b32 s1, 0
	s_set_inst_prefetch_distance 0x1
	.p2align	6
.LBB308_35:                             ; =>This Inner Loop Header: Depth=1
	s_delay_alu instid0(VALU_DEP_1) | instskip(NEXT) | instid1(VALU_DEP_2)
	v_sub_co_u32 v37, vcc_lo, v35, v33
	v_sub_co_ci_u32_e32 v38, vcc_lo, v36, v34, vcc_lo
	s_delay_alu instid0(VALU_DEP_1) | instskip(SKIP_1) | instid1(VALU_DEP_2)
	v_lshrrev_b64 v[39:40], 1, v[37:38]
	v_lshrrev_b64 v[37:38], 6, v[37:38]
	v_add_co_u32 v6, vcc_lo, v39, v33
	s_delay_alu instid0(VALU_DEP_3) | instskip(NEXT) | instid1(VALU_DEP_2)
	v_add_co_ci_u32_e32 v10, vcc_lo, v40, v34, vcc_lo
	v_add_co_u32 v37, vcc_lo, v6, v37
	s_delay_alu instid0(VALU_DEP_2) | instskip(NEXT) | instid1(VALU_DEP_1)
	v_add_co_ci_u32_e32 v38, vcc_lo, v10, v38, vcc_lo
	v_lshlrev_b64 v[39:40], 3, v[37:38]
	s_delay_alu instid0(VALU_DEP_1) | instskip(NEXT) | instid1(VALU_DEP_2)
	v_add_co_u32 v39, vcc_lo, s16, v39
	v_add_co_ci_u32_e32 v40, vcc_lo, s17, v40, vcc_lo
	v_add_co_u32 v6, vcc_lo, v37, 1
	v_add_co_ci_u32_e32 v10, vcc_lo, 0, v38, vcc_lo
	global_load_b64 v[39:40], v[39:40], off
	s_waitcnt vmcnt(0) lgkmcnt(7)
	v_cmp_lt_i64_e64 s0, v[39:40], v[31:32]
	s_delay_alu instid0(VALU_DEP_1) | instskip(SKIP_3) | instid1(VALU_DEP_1)
	v_cndmask_b32_e64 v36, v38, v36, s0
	v_cndmask_b32_e64 v35, v37, v35, s0
	;; [unrolled: 1-line block ×4, first 2 shown]
	v_cmp_ge_u64_e32 vcc_lo, v[33:34], v[35:36]
	s_or_b32 s1, vcc_lo, s1
	s_delay_alu instid0(SALU_CYCLE_1)
	s_and_not1_b32 exec_lo, exec_lo, s1
	s_cbranch_execnz .LBB308_35
; %bb.36:
	s_set_inst_prefetch_distance 0x2
	s_or_b32 exec_lo, exec_lo, s1
	v_cmp_ne_u32_e32 vcc_lo, 1, v2
	s_cbranch_vccnz .LBB308_60
.LBB308_37:
	s_waitcnt vmcnt(7) lgkmcnt(7)
	v_dual_mov_b32 v30, 0 :: v_dual_mov_b32 v35, s19
	v_dual_mov_b32 v31, 0 :: v_dual_mov_b32 v34, s18
	s_mov_b32 s1, 0
	s_set_inst_prefetch_distance 0x1
	.p2align	6
.LBB308_38:                             ; =>This Inner Loop Header: Depth=1
	s_delay_alu instid0(VALU_DEP_1) | instskip(NEXT) | instid1(VALU_DEP_2)
	v_sub_co_u32 v36, vcc_lo, v34, v30
	v_sub_co_ci_u32_e32 v37, vcc_lo, v35, v31, vcc_lo
	s_delay_alu instid0(VALU_DEP_1) | instskip(SKIP_1) | instid1(VALU_DEP_2)
	v_lshrrev_b64 v[38:39], 1, v[36:37]
	v_lshrrev_b64 v[36:37], 6, v[36:37]
	v_add_co_u32 v6, vcc_lo, v38, v30
	s_delay_alu instid0(VALU_DEP_3) | instskip(NEXT) | instid1(VALU_DEP_2)
	v_add_co_ci_u32_e32 v10, vcc_lo, v39, v31, vcc_lo
	v_add_co_u32 v36, vcc_lo, v6, v36
	s_delay_alu instid0(VALU_DEP_2) | instskip(NEXT) | instid1(VALU_DEP_1)
	v_add_co_ci_u32_e32 v37, vcc_lo, v10, v37, vcc_lo
	v_lshlrev_b64 v[38:39], 3, v[36:37]
	s_delay_alu instid0(VALU_DEP_1) | instskip(NEXT) | instid1(VALU_DEP_2)
	v_add_co_u32 v38, vcc_lo, s16, v38
	v_add_co_ci_u32_e32 v39, vcc_lo, s17, v39, vcc_lo
	v_add_co_u32 v6, vcc_lo, v36, 1
	v_add_co_ci_u32_e32 v10, vcc_lo, 0, v37, vcc_lo
	global_load_b64 v[38:39], v[38:39], off
	s_waitcnt vmcnt(0) lgkmcnt(6)
	v_cmp_lt_i64_e64 s0, v[38:39], v[27:28]
	s_delay_alu instid0(VALU_DEP_1) | instskip(SKIP_3) | instid1(VALU_DEP_1)
	v_cndmask_b32_e64 v35, v37, v35, s0
	v_cndmask_b32_e64 v34, v36, v34, s0
	;; [unrolled: 1-line block ×4, first 2 shown]
	v_cmp_ge_u64_e32 vcc_lo, v[30:31], v[34:35]
	s_or_b32 s1, vcc_lo, s1
	s_delay_alu instid0(SALU_CYCLE_1)
	s_and_not1_b32 exec_lo, exec_lo, s1
	s_cbranch_execnz .LBB308_38
; %bb.39:
	s_set_inst_prefetch_distance 0x2
	s_or_b32 exec_lo, exec_lo, s1
	v_cmp_ne_u32_e32 vcc_lo, 1, v2
	s_cbranch_vccnz .LBB308_61
.LBB308_40:
	s_waitcnt vmcnt(6) lgkmcnt(6)
	v_mov_b32_e32 v26, 0
	v_dual_mov_b32 v27, 0 :: v_dual_mov_b32 v32, s19
	v_mov_b32_e32 v31, s18
	s_mov_b32 s1, 0
	s_set_inst_prefetch_distance 0x1
	.p2align	6
.LBB308_41:                             ; =>This Inner Loop Header: Depth=1
	s_delay_alu instid0(VALU_DEP_1) | instskip(SKIP_1) | instid1(VALU_DEP_1)
	v_sub_co_u32 v34, vcc_lo, v31, v26
	v_sub_co_ci_u32_e32 v35, vcc_lo, v32, v27, vcc_lo
	v_lshrrev_b64 v[36:37], 1, v[34:35]
	v_lshrrev_b64 v[34:35], 6, v[34:35]
	s_delay_alu instid0(VALU_DEP_2) | instskip(NEXT) | instid1(VALU_DEP_3)
	v_add_co_u32 v6, vcc_lo, v36, v26
	v_add_co_ci_u32_e32 v10, vcc_lo, v37, v27, vcc_lo
	s_delay_alu instid0(VALU_DEP_2) | instskip(NEXT) | instid1(VALU_DEP_2)
	v_add_co_u32 v34, vcc_lo, v6, v34
	v_add_co_ci_u32_e32 v35, vcc_lo, v10, v35, vcc_lo
	s_delay_alu instid0(VALU_DEP_1) | instskip(NEXT) | instid1(VALU_DEP_1)
	v_lshlrev_b64 v[36:37], 3, v[34:35]
	v_add_co_u32 v36, vcc_lo, s16, v36
	s_delay_alu instid0(VALU_DEP_2)
	v_add_co_ci_u32_e32 v37, vcc_lo, s17, v37, vcc_lo
	v_add_co_u32 v6, vcc_lo, v34, 1
	v_add_co_ci_u32_e32 v10, vcc_lo, 0, v35, vcc_lo
	global_load_b64 v[36:37], v[36:37], off
	s_waitcnt vmcnt(0) lgkmcnt(5)
	v_cmp_lt_i64_e64 s0, v[36:37], v[23:24]
	s_delay_alu instid0(VALU_DEP_1) | instskip(SKIP_3) | instid1(VALU_DEP_1)
	v_cndmask_b32_e64 v32, v35, v32, s0
	v_cndmask_b32_e64 v31, v34, v31, s0
	;; [unrolled: 1-line block ×4, first 2 shown]
	v_cmp_ge_u64_e32 vcc_lo, v[26:27], v[31:32]
	s_or_b32 s1, vcc_lo, s1
	s_delay_alu instid0(SALU_CYCLE_1)
	s_and_not1_b32 exec_lo, exec_lo, s1
	s_cbranch_execnz .LBB308_41
; %bb.42:
	s_set_inst_prefetch_distance 0x2
	s_or_b32 exec_lo, exec_lo, s1
	v_cmp_ne_u32_e32 vcc_lo, 1, v2
	s_cbranch_vccnz .LBB308_62
.LBB308_43:
	s_waitcnt vmcnt(5) lgkmcnt(5)
	v_mov_b32_e32 v22, 0
	v_dual_mov_b32 v23, 0 :: v_dual_mov_b32 v28, s19
	v_mov_b32_e32 v27, s18
	s_mov_b32 s1, 0
	s_set_inst_prefetch_distance 0x1
	.p2align	6
.LBB308_44:                             ; =>This Inner Loop Header: Depth=1
	s_delay_alu instid0(VALU_DEP_1) | instskip(SKIP_1) | instid1(VALU_DEP_1)
	v_sub_co_u32 v31, vcc_lo, v27, v22
	v_sub_co_ci_u32_e32 v32, vcc_lo, v28, v23, vcc_lo
	v_lshrrev_b64 v[34:35], 1, v[31:32]
	v_lshrrev_b64 v[31:32], 6, v[31:32]
	s_delay_alu instid0(VALU_DEP_2) | instskip(NEXT) | instid1(VALU_DEP_3)
	v_add_co_u32 v6, vcc_lo, v34, v22
	v_add_co_ci_u32_e32 v10, vcc_lo, v35, v23, vcc_lo
	s_delay_alu instid0(VALU_DEP_2) | instskip(NEXT) | instid1(VALU_DEP_2)
	v_add_co_u32 v31, vcc_lo, v6, v31
	v_add_co_ci_u32_e32 v32, vcc_lo, v10, v32, vcc_lo
	s_delay_alu instid0(VALU_DEP_1) | instskip(NEXT) | instid1(VALU_DEP_1)
	v_lshlrev_b64 v[34:35], 3, v[31:32]
	v_add_co_u32 v34, vcc_lo, s16, v34
	s_delay_alu instid0(VALU_DEP_2)
	v_add_co_ci_u32_e32 v35, vcc_lo, s17, v35, vcc_lo
	v_add_co_u32 v6, vcc_lo, v31, 1
	v_add_co_ci_u32_e32 v10, vcc_lo, 0, v32, vcc_lo
	global_load_b64 v[34:35], v[34:35], off
	s_waitcnt vmcnt(0) lgkmcnt(4)
	v_cmp_lt_i64_e64 s0, v[34:35], v[19:20]
	s_delay_alu instid0(VALU_DEP_1) | instskip(SKIP_3) | instid1(VALU_DEP_1)
	v_cndmask_b32_e64 v28, v32, v28, s0
	v_cndmask_b32_e64 v27, v31, v27, s0
	;; [unrolled: 1-line block ×4, first 2 shown]
	v_cmp_ge_u64_e32 vcc_lo, v[22:23], v[27:28]
	s_or_b32 s1, vcc_lo, s1
	s_delay_alu instid0(SALU_CYCLE_1)
	s_and_not1_b32 exec_lo, exec_lo, s1
	s_cbranch_execnz .LBB308_44
; %bb.45:
	s_set_inst_prefetch_distance 0x2
	s_or_b32 exec_lo, exec_lo, s1
	v_cmp_ne_u32_e32 vcc_lo, 1, v2
	s_cbranch_vccnz .LBB308_63
.LBB308_46:
	s_waitcnt vmcnt(4) lgkmcnt(4)
	v_mov_b32_e32 v18, 0
	v_dual_mov_b32 v19, 0 :: v_dual_mov_b32 v24, s19
	v_mov_b32_e32 v23, s18
	s_mov_b32 s1, 0
	s_set_inst_prefetch_distance 0x1
	.p2align	6
.LBB308_47:                             ; =>This Inner Loop Header: Depth=1
	s_delay_alu instid0(VALU_DEP_1) | instskip(SKIP_1) | instid1(VALU_DEP_1)
	v_sub_co_u32 v27, vcc_lo, v23, v18
	v_sub_co_ci_u32_e32 v28, vcc_lo, v24, v19, vcc_lo
	v_lshrrev_b64 v[31:32], 1, v[27:28]
	v_lshrrev_b64 v[27:28], 6, v[27:28]
	s_delay_alu instid0(VALU_DEP_2) | instskip(NEXT) | instid1(VALU_DEP_3)
	v_add_co_u32 v6, vcc_lo, v31, v18
	v_add_co_ci_u32_e32 v10, vcc_lo, v32, v19, vcc_lo
	s_delay_alu instid0(VALU_DEP_2) | instskip(NEXT) | instid1(VALU_DEP_2)
	v_add_co_u32 v27, vcc_lo, v6, v27
	v_add_co_ci_u32_e32 v28, vcc_lo, v10, v28, vcc_lo
	s_delay_alu instid0(VALU_DEP_1) | instskip(NEXT) | instid1(VALU_DEP_1)
	v_lshlrev_b64 v[31:32], 3, v[27:28]
	v_add_co_u32 v31, vcc_lo, s16, v31
	s_delay_alu instid0(VALU_DEP_2)
	v_add_co_ci_u32_e32 v32, vcc_lo, s17, v32, vcc_lo
	v_add_co_u32 v6, vcc_lo, v27, 1
	v_add_co_ci_u32_e32 v10, vcc_lo, 0, v28, vcc_lo
	global_load_b64 v[31:32], v[31:32], off
	s_waitcnt vmcnt(0) lgkmcnt(3)
	v_cmp_lt_i64_e64 s0, v[31:32], v[15:16]
	s_delay_alu instid0(VALU_DEP_1) | instskip(SKIP_3) | instid1(VALU_DEP_1)
	v_cndmask_b32_e64 v24, v28, v24, s0
	v_cndmask_b32_e64 v23, v27, v23, s0
	;; [unrolled: 1-line block ×4, first 2 shown]
	v_cmp_ge_u64_e32 vcc_lo, v[18:19], v[23:24]
	s_or_b32 s1, vcc_lo, s1
	s_delay_alu instid0(SALU_CYCLE_1)
	s_and_not1_b32 exec_lo, exec_lo, s1
	s_cbranch_execnz .LBB308_47
; %bb.48:
	s_set_inst_prefetch_distance 0x2
	s_or_b32 exec_lo, exec_lo, s1
	v_cmp_ne_u32_e32 vcc_lo, 1, v2
	s_cbranch_vccnz .LBB308_64
.LBB308_49:
	s_waitcnt vmcnt(3) lgkmcnt(3)
	v_mov_b32_e32 v14, 0
	v_dual_mov_b32 v15, 0 :: v_dual_mov_b32 v20, s19
	v_mov_b32_e32 v19, s18
	s_mov_b32 s1, 0
	s_set_inst_prefetch_distance 0x1
	.p2align	6
.LBB308_50:                             ; =>This Inner Loop Header: Depth=1
	s_delay_alu instid0(VALU_DEP_1) | instskip(SKIP_1) | instid1(VALU_DEP_1)
	v_sub_co_u32 v23, vcc_lo, v19, v14
	v_sub_co_ci_u32_e32 v24, vcc_lo, v20, v15, vcc_lo
	v_lshrrev_b64 v[27:28], 1, v[23:24]
	v_lshrrev_b64 v[23:24], 6, v[23:24]
	s_delay_alu instid0(VALU_DEP_2) | instskip(NEXT) | instid1(VALU_DEP_3)
	v_add_co_u32 v6, vcc_lo, v27, v14
	v_add_co_ci_u32_e32 v10, vcc_lo, v28, v15, vcc_lo
	s_delay_alu instid0(VALU_DEP_2) | instskip(NEXT) | instid1(VALU_DEP_2)
	v_add_co_u32 v23, vcc_lo, v6, v23
	v_add_co_ci_u32_e32 v24, vcc_lo, v10, v24, vcc_lo
	s_delay_alu instid0(VALU_DEP_1) | instskip(NEXT) | instid1(VALU_DEP_1)
	v_lshlrev_b64 v[27:28], 3, v[23:24]
	v_add_co_u32 v27, vcc_lo, s16, v27
	s_delay_alu instid0(VALU_DEP_2)
	v_add_co_ci_u32_e32 v28, vcc_lo, s17, v28, vcc_lo
	v_add_co_u32 v6, vcc_lo, v23, 1
	v_add_co_ci_u32_e32 v10, vcc_lo, 0, v24, vcc_lo
	global_load_b64 v[27:28], v[27:28], off
	s_waitcnt vmcnt(0) lgkmcnt(2)
	v_cmp_lt_i64_e64 s0, v[27:28], v[11:12]
	s_delay_alu instid0(VALU_DEP_1) | instskip(SKIP_3) | instid1(VALU_DEP_1)
	v_cndmask_b32_e64 v20, v24, v20, s0
	v_cndmask_b32_e64 v19, v23, v19, s0
	;; [unrolled: 1-line block ×4, first 2 shown]
	v_cmp_ge_u64_e32 vcc_lo, v[14:15], v[19:20]
	s_or_b32 s1, vcc_lo, s1
	s_delay_alu instid0(SALU_CYCLE_1)
	s_and_not1_b32 exec_lo, exec_lo, s1
	s_cbranch_execnz .LBB308_50
; %bb.51:
	s_set_inst_prefetch_distance 0x2
	s_or_b32 exec_lo, exec_lo, s1
	v_cmp_ne_u32_e32 vcc_lo, 1, v2
	s_cbranch_vccnz .LBB308_65
.LBB308_52:
	s_waitcnt vmcnt(2) lgkmcnt(2)
	v_dual_mov_b32 v10, 0 :: v_dual_mov_b32 v15, s18
	v_dual_mov_b32 v11, 0 :: v_dual_mov_b32 v16, s19
	s_mov_b32 s1, 0
	s_set_inst_prefetch_distance 0x1
	.p2align	6
.LBB308_53:                             ; =>This Inner Loop Header: Depth=1
	s_delay_alu instid0(VALU_DEP_2) | instskip(NEXT) | instid1(VALU_DEP_2)
	v_sub_co_u32 v19, vcc_lo, v15, v10
	v_sub_co_ci_u32_e32 v20, vcc_lo, v16, v11, vcc_lo
	s_delay_alu instid0(VALU_DEP_1) | instskip(SKIP_1) | instid1(VALU_DEP_2)
	v_lshrrev_b64 v[23:24], 1, v[19:20]
	v_lshrrev_b64 v[19:20], 6, v[19:20]
	v_add_co_u32 v6, vcc_lo, v23, v10
	s_delay_alu instid0(VALU_DEP_3) | instskip(NEXT) | instid1(VALU_DEP_2)
	v_add_co_ci_u32_e32 v12, vcc_lo, v24, v11, vcc_lo
	v_add_co_u32 v19, vcc_lo, v6, v19
	s_delay_alu instid0(VALU_DEP_2) | instskip(NEXT) | instid1(VALU_DEP_1)
	v_add_co_ci_u32_e32 v20, vcc_lo, v12, v20, vcc_lo
	v_lshlrev_b64 v[23:24], 3, v[19:20]
	s_delay_alu instid0(VALU_DEP_1) | instskip(NEXT) | instid1(VALU_DEP_2)
	v_add_co_u32 v23, vcc_lo, s16, v23
	v_add_co_ci_u32_e32 v24, vcc_lo, s17, v24, vcc_lo
	v_add_co_u32 v6, vcc_lo, v19, 1
	v_add_co_ci_u32_e32 v12, vcc_lo, 0, v20, vcc_lo
	global_load_b64 v[23:24], v[23:24], off
	s_waitcnt vmcnt(0) lgkmcnt(1)
	v_cmp_lt_i64_e64 s0, v[23:24], v[7:8]
	s_delay_alu instid0(VALU_DEP_1) | instskip(SKIP_3) | instid1(VALU_DEP_1)
	v_cndmask_b32_e64 v16, v20, v16, s0
	v_cndmask_b32_e64 v15, v19, v15, s0
	;; [unrolled: 1-line block ×4, first 2 shown]
	v_cmp_ge_u64_e32 vcc_lo, v[10:11], v[15:16]
	s_or_b32 s1, vcc_lo, s1
	s_delay_alu instid0(SALU_CYCLE_1)
	s_and_not1_b32 exec_lo, exec_lo, s1
	s_cbranch_execnz .LBB308_53
; %bb.54:
	s_set_inst_prefetch_distance 0x2
	s_or_b32 exec_lo, exec_lo, s1
	v_cmp_ne_u32_e32 vcc_lo, 1, v2
	s_cbranch_vccnz .LBB308_66
.LBB308_55:
	s_waitcnt vmcnt(1) lgkmcnt(1)
	v_dual_mov_b32 v6, 0 :: v_dual_mov_b32 v11, s18
	v_dual_mov_b32 v7, 0 :: v_dual_mov_b32 v12, s19
	s_mov_b32 s1, 0
	s_set_inst_prefetch_distance 0x1
	.p2align	6
.LBB308_56:                             ; =>This Inner Loop Header: Depth=1
	s_delay_alu instid0(VALU_DEP_2) | instskip(NEXT) | instid1(VALU_DEP_2)
	v_sub_co_u32 v15, vcc_lo, v11, v6
	v_sub_co_ci_u32_e32 v16, vcc_lo, v12, v7, vcc_lo
	s_delay_alu instid0(VALU_DEP_1) | instskip(SKIP_1) | instid1(VALU_DEP_2)
	v_lshrrev_b64 v[19:20], 1, v[15:16]
	v_lshrrev_b64 v[15:16], 6, v[15:16]
	v_add_co_u32 v2, vcc_lo, v19, v6
	s_delay_alu instid0(VALU_DEP_3) | instskip(NEXT) | instid1(VALU_DEP_2)
	v_add_co_ci_u32_e32 v8, vcc_lo, v20, v7, vcc_lo
	v_add_co_u32 v15, vcc_lo, v2, v15
	s_delay_alu instid0(VALU_DEP_2) | instskip(NEXT) | instid1(VALU_DEP_1)
	v_add_co_ci_u32_e32 v16, vcc_lo, v8, v16, vcc_lo
	v_lshlrev_b64 v[19:20], 3, v[15:16]
	s_delay_alu instid0(VALU_DEP_1) | instskip(NEXT) | instid1(VALU_DEP_2)
	v_add_co_u32 v19, vcc_lo, s16, v19
	v_add_co_ci_u32_e32 v20, vcc_lo, s17, v20, vcc_lo
	v_add_co_u32 v2, vcc_lo, v15, 1
	v_add_co_ci_u32_e32 v8, vcc_lo, 0, v16, vcc_lo
	global_load_b64 v[19:20], v[19:20], off
	s_waitcnt vmcnt(0) lgkmcnt(0)
	v_cmp_lt_i64_e64 s0, v[19:20], v[3:4]
	s_delay_alu instid0(VALU_DEP_1) | instskip(SKIP_3) | instid1(VALU_DEP_1)
	v_cndmask_b32_e64 v12, v16, v12, s0
	v_cndmask_b32_e64 v11, v15, v11, s0
	;; [unrolled: 1-line block ×4, first 2 shown]
	v_cmp_ge_u64_e32 vcc_lo, v[6:7], v[11:12]
	s_or_b32 s1, vcc_lo, s1
	s_delay_alu instid0(SALU_CYCLE_1)
	s_and_not1_b32 exec_lo, exec_lo, s1
	s_cbranch_execnz .LBB308_56
; %bb.57:
	s_set_inst_prefetch_distance 0x2
	s_or_b32 exec_lo, exec_lo, s1
	s_branch .LBB308_67
.LBB308_58:
	s_mov_b32 s24, s21
                                        ; implicit-def: $vgpr6
                                        ; implicit-def: $vgpr2_vgpr3
	s_and_b32 vcc_lo, exec_lo, s0
	s_cbranch_vccnz .LBB308_68
	s_branch .LBB308_197
.LBB308_59:
	s_waitcnt vmcnt(8) lgkmcnt(8)
	v_mov_b32_e32 v33, 0
	v_cmp_ne_u32_e32 vcc_lo, 1, v2
	s_cbranch_vccz .LBB308_37
.LBB308_60:
	v_mov_b32_e32 v30, 0
	v_cmp_ne_u32_e32 vcc_lo, 1, v2
	s_cbranch_vccz .LBB308_40
.LBB308_61:
	v_mov_b32_e32 v26, 0
	v_cmp_ne_u32_e32 vcc_lo, 1, v2
	s_cbranch_vccz .LBB308_43
.LBB308_62:
	v_mov_b32_e32 v22, 0
	v_cmp_ne_u32_e32 vcc_lo, 1, v2
	s_cbranch_vccz .LBB308_46
.LBB308_63:
	v_mov_b32_e32 v18, 0
	v_cmp_ne_u32_e32 vcc_lo, 1, v2
	s_cbranch_vccz .LBB308_49
.LBB308_64:
	v_mov_b32_e32 v14, 0
	v_cmp_ne_u32_e32 vcc_lo, 1, v2
	s_cbranch_vccz .LBB308_52
.LBB308_65:
	v_mov_b32_e32 v10, 0
	v_cmp_ne_u32_e32 vcc_lo, 1, v2
	s_cbranch_vccz .LBB308_55
.LBB308_66:
	v_mov_b32_e32 v6, 0
.LBB308_67:
	v_lshlrev_b32_e32 v2, 2, v0
	s_lshl_b64 s[0:1], s[20:21], 2
	s_mov_b32 s24, -1
	s_add_u32 s0, s22, s0
	s_addc_u32 s1, s23, s1
	v_add_co_u32 v2, s0, s0, v2
	s_waitcnt vmcnt(0) lgkmcnt(0)
	v_add_co_ci_u32_e64 v3, null, s1, 0, s0
	s_clause 0xe
	flat_store_b32 v[2:3], v1
	flat_store_b32 v[2:3], v5 offset:256
	flat_store_b32 v[2:3], v9 offset:512
	;; [unrolled: 1-line block ×14, first 2 shown]
	s_branch .LBB308_197
.LBB308_68:
	s_sub_i32 s15, s8, s20
                                        ; implicit-def: $vgpr5_vgpr6
	s_delay_alu instid0(SALU_CYCLE_1) | instskip(NEXT) | instid1(VALU_DEP_1)
	v_cmp_gt_u32_e64 s0, s15, v0
	s_and_saveexec_b32 s1, s0
	s_cbranch_execz .LBB308_70
; %bb.69:
	v_lshlrev_b32_e32 v1, 3, v0
	s_delay_alu instid0(VALU_DEP_1) | instskip(NEXT) | instid1(VALU_DEP_1)
	v_add_co_u32 v1, s2, s25, v1
	v_add_co_ci_u32_e64 v2, null, s26, 0, s2
	flat_load_b64 v[5:6], v[1:2]
.LBB308_70:
	s_or_b32 exec_lo, exec_lo, s1
	v_or_b32_e32 v1, 64, v0
                                        ; implicit-def: $vgpr11_vgpr12
	s_delay_alu instid0(VALU_DEP_1) | instskip(NEXT) | instid1(VALU_DEP_1)
	v_cmp_gt_u32_e64 s1, s15, v1
	s_and_saveexec_b32 s2, s1
	s_cbranch_execz .LBB308_72
; %bb.71:
	v_lshlrev_b32_e32 v1, 3, v0
	s_delay_alu instid0(VALU_DEP_1) | instskip(NEXT) | instid1(VALU_DEP_1)
	v_add_co_u32 v1, s3, s25, v1
	v_add_co_ci_u32_e64 v2, null, s26, 0, s3
	flat_load_b64 v[11:12], v[1:2] offset:512
.LBB308_72:
	s_or_b32 exec_lo, exec_lo, s2
	v_or_b32_e32 v1, 0x80, v0
                                        ; implicit-def: $vgpr15_vgpr16
	s_delay_alu instid0(VALU_DEP_1) | instskip(NEXT) | instid1(VALU_DEP_1)
	v_cmp_gt_u32_e64 s2, s15, v1
	s_and_saveexec_b32 s3, s2
	s_cbranch_execz .LBB308_74
; %bb.73:
	v_lshlrev_b32_e32 v1, 3, v0
	s_delay_alu instid0(VALU_DEP_1) | instskip(NEXT) | instid1(VALU_DEP_1)
	v_add_co_u32 v1, s4, s25, v1
	v_add_co_ci_u32_e64 v2, null, s26, 0, s4
	flat_load_b64 v[15:16], v[1:2] offset:1024
.LBB308_74:
	s_or_b32 exec_lo, exec_lo, s3
	v_or_b32_e32 v1, 0xc0, v0
                                        ; implicit-def: $vgpr19_vgpr20
	s_delay_alu instid0(VALU_DEP_1) | instskip(NEXT) | instid1(VALU_DEP_1)
	v_cmp_gt_u32_e64 s3, s15, v1
	s_and_saveexec_b32 s4, s3
	s_cbranch_execz .LBB308_76
; %bb.75:
	v_lshlrev_b32_e32 v1, 3, v0
	s_delay_alu instid0(VALU_DEP_1) | instskip(NEXT) | instid1(VALU_DEP_1)
	v_add_co_u32 v1, s5, s25, v1
	v_add_co_ci_u32_e64 v2, null, s26, 0, s5
	flat_load_b64 v[19:20], v[1:2] offset:1536
.LBB308_76:
	s_or_b32 exec_lo, exec_lo, s4
	v_or_b32_e32 v1, 0x100, v0
                                        ; implicit-def: $vgpr23_vgpr24
	s_delay_alu instid0(VALU_DEP_1) | instskip(NEXT) | instid1(VALU_DEP_1)
	v_cmp_gt_u32_e64 s4, s15, v1
	s_and_saveexec_b32 s5, s4
	s_cbranch_execz .LBB308_78
; %bb.77:
	v_lshlrev_b32_e32 v1, 3, v0
	s_delay_alu instid0(VALU_DEP_1) | instskip(NEXT) | instid1(VALU_DEP_1)
	v_add_co_u32 v1, s6, s25, v1
	v_add_co_ci_u32_e64 v2, null, s26, 0, s6
	flat_load_b64 v[23:24], v[1:2] offset:2048
.LBB308_78:
	s_or_b32 exec_lo, exec_lo, s5
	v_or_b32_e32 v1, 0x140, v0
                                        ; implicit-def: $vgpr27_vgpr28
	s_delay_alu instid0(VALU_DEP_1) | instskip(NEXT) | instid1(VALU_DEP_1)
	v_cmp_gt_u32_e64 s5, s15, v1
	s_and_saveexec_b32 s6, s5
	s_cbranch_execz .LBB308_80
; %bb.79:
	v_lshlrev_b32_e32 v1, 3, v0
	s_delay_alu instid0(VALU_DEP_1) | instskip(NEXT) | instid1(VALU_DEP_1)
	v_add_co_u32 v1, s7, s25, v1
	v_add_co_ci_u32_e64 v2, null, s26, 0, s7
	flat_load_b64 v[27:28], v[1:2] offset:2560
.LBB308_80:
	s_or_b32 exec_lo, exec_lo, s6
	v_or_b32_e32 v1, 0x180, v0
                                        ; implicit-def: $vgpr31_vgpr32
	s_delay_alu instid0(VALU_DEP_1) | instskip(NEXT) | instid1(VALU_DEP_1)
	v_cmp_gt_u32_e64 s6, s15, v1
	s_and_saveexec_b32 s7, s6
	s_cbranch_execz .LBB308_82
; %bb.81:
	v_lshlrev_b32_e32 v1, 3, v0
	s_delay_alu instid0(VALU_DEP_1) | instskip(NEXT) | instid1(VALU_DEP_1)
	v_add_co_u32 v1, s8, s25, v1
	v_add_co_ci_u32_e64 v2, null, s26, 0, s8
	flat_load_b64 v[31:32], v[1:2] offset:3072
.LBB308_82:
	s_or_b32 exec_lo, exec_lo, s7
	v_or_b32_e32 v1, 0x1c0, v0
                                        ; implicit-def: $vgpr33_vgpr34
	s_delay_alu instid0(VALU_DEP_1) | instskip(NEXT) | instid1(VALU_DEP_1)
	v_cmp_gt_u32_e64 s7, s15, v1
	s_and_saveexec_b32 s8, s7
	s_cbranch_execz .LBB308_84
; %bb.83:
	v_lshlrev_b32_e32 v1, 3, v0
	s_delay_alu instid0(VALU_DEP_1) | instskip(NEXT) | instid1(VALU_DEP_1)
	v_add_co_u32 v1, s9, s25, v1
	v_add_co_ci_u32_e64 v2, null, s26, 0, s9
	flat_load_b64 v[33:34], v[1:2] offset:3584
.LBB308_84:
	s_or_b32 exec_lo, exec_lo, s8
	v_or_b32_e32 v1, 0x200, v0
                                        ; implicit-def: $vgpr29_vgpr30
	s_delay_alu instid0(VALU_DEP_1) | instskip(NEXT) | instid1(VALU_DEP_1)
	v_cmp_gt_u32_e64 s8, s15, v1
	s_and_saveexec_b32 s9, s8
	s_cbranch_execz .LBB308_86
; %bb.85:
	v_lshlrev_b32_e32 v1, 3, v1
	s_delay_alu instid0(VALU_DEP_1) | instskip(NEXT) | instid1(VALU_DEP_1)
	v_add_co_u32 v1, s10, s25, v1
	v_add_co_ci_u32_e64 v2, null, s26, 0, s10
	flat_load_b64 v[29:30], v[1:2]
.LBB308_86:
	s_or_b32 exec_lo, exec_lo, s9
	v_or_b32_e32 v1, 0x240, v0
                                        ; implicit-def: $vgpr25_vgpr26
	s_delay_alu instid0(VALU_DEP_1) | instskip(NEXT) | instid1(VALU_DEP_1)
	v_cmp_gt_u32_e64 s9, s15, v1
	s_and_saveexec_b32 s10, s9
	s_cbranch_execz .LBB308_88
; %bb.87:
	v_lshlrev_b32_e32 v1, 3, v1
	s_delay_alu instid0(VALU_DEP_1) | instskip(NEXT) | instid1(VALU_DEP_1)
	v_add_co_u32 v1, s11, s25, v1
	v_add_co_ci_u32_e64 v2, null, s26, 0, s11
	flat_load_b64 v[25:26], v[1:2]
.LBB308_88:
	s_or_b32 exec_lo, exec_lo, s10
	v_or_b32_e32 v1, 0x280, v0
                                        ; implicit-def: $vgpr21_vgpr22
	s_delay_alu instid0(VALU_DEP_1) | instskip(NEXT) | instid1(VALU_DEP_1)
	v_cmp_gt_u32_e64 s10, s15, v1
	s_and_saveexec_b32 s11, s10
	s_cbranch_execz .LBB308_90
; %bb.89:
	v_lshlrev_b32_e32 v1, 3, v1
	s_delay_alu instid0(VALU_DEP_1) | instskip(NEXT) | instid1(VALU_DEP_1)
	v_add_co_u32 v1, s12, s25, v1
	v_add_co_ci_u32_e64 v2, null, s26, 0, s12
	flat_load_b64 v[21:22], v[1:2]
.LBB308_90:
	s_or_b32 exec_lo, exec_lo, s11
	v_or_b32_e32 v1, 0x2c0, v0
                                        ; implicit-def: $vgpr17_vgpr18
	s_delay_alu instid0(VALU_DEP_1) | instskip(NEXT) | instid1(VALU_DEP_1)
	v_cmp_gt_u32_e64 s11, s15, v1
	s_and_saveexec_b32 s12, s11
	s_cbranch_execz .LBB308_92
; %bb.91:
	v_lshlrev_b32_e32 v1, 3, v1
	s_delay_alu instid0(VALU_DEP_1) | instskip(NEXT) | instid1(VALU_DEP_1)
	v_add_co_u32 v1, s13, s25, v1
	v_add_co_ci_u32_e64 v2, null, s26, 0, s13
	flat_load_b64 v[17:18], v[1:2]
.LBB308_92:
	s_or_b32 exec_lo, exec_lo, s12
	v_or_b32_e32 v1, 0x300, v0
                                        ; implicit-def: $vgpr13_vgpr14
	s_delay_alu instid0(VALU_DEP_1) | instskip(NEXT) | instid1(VALU_DEP_1)
	v_cmp_gt_u32_e64 s12, s15, v1
	s_and_saveexec_b32 s13, s12
	s_cbranch_execz .LBB308_94
; %bb.93:
	v_lshlrev_b32_e32 v1, 3, v1
	s_delay_alu instid0(VALU_DEP_1) | instskip(NEXT) | instid1(VALU_DEP_1)
	v_add_co_u32 v1, s14, s25, v1
	v_add_co_ci_u32_e64 v2, null, s26, 0, s14
	flat_load_b64 v[13:14], v[1:2]
.LBB308_94:
	s_or_b32 exec_lo, exec_lo, s13
	v_or_b32_e32 v1, 0x340, v0
                                        ; implicit-def: $vgpr9_vgpr10
	s_delay_alu instid0(VALU_DEP_1) | instskip(NEXT) | instid1(VALU_DEP_1)
	v_cmp_gt_u32_e64 s13, s15, v1
	s_and_saveexec_b32 s14, s13
	s_cbranch_execz .LBB308_96
; %bb.95:
	v_lshlrev_b32_e32 v1, 3, v1
	s_delay_alu instid0(VALU_DEP_1) | instskip(NEXT) | instid1(VALU_DEP_1)
	v_add_co_u32 v1, s24, s25, v1
	v_add_co_ci_u32_e64 v2, null, s26, 0, s24
	flat_load_b64 v[9:10], v[1:2]
.LBB308_96:
	s_or_b32 exec_lo, exec_lo, s14
	v_or_b32_e32 v1, 0x380, v0
                                        ; implicit-def: $vgpr7_vgpr8
	s_delay_alu instid0(VALU_DEP_1) | instskip(NEXT) | instid1(VALU_DEP_1)
	v_cmp_gt_u32_e64 s14, s15, v1
	s_and_saveexec_b32 s24, s14
	s_cbranch_execz .LBB308_98
; %bb.97:
	v_lshlrev_b32_e32 v1, 3, v1
	s_delay_alu instid0(VALU_DEP_1) | instskip(NEXT) | instid1(VALU_DEP_1)
	v_add_co_u32 v1, s27, s25, v1
	v_add_co_ci_u32_e64 v2, null, s26, 0, s27
	flat_load_b64 v[7:8], v[1:2]
.LBB308_98:
	s_or_b32 exec_lo, exec_lo, s24
	v_or_b32_e32 v1, 0x3c0, v0
                                        ; implicit-def: $vgpr3_vgpr4
	s_delay_alu instid0(VALU_DEP_1) | instskip(NEXT) | instid1(VALU_DEP_1)
	v_cmp_gt_u32_e64 s24, s15, v1
	s_and_saveexec_b32 s15, s24
	s_cbranch_execz .LBB308_100
; %bb.99:
	v_lshlrev_b32_e32 v1, 3, v1
	s_delay_alu instid0(VALU_DEP_1) | instskip(NEXT) | instid1(VALU_DEP_1)
	v_add_co_u32 v1, s25, s25, v1
	v_add_co_ci_u32_e64 v2, null, s26, 0, s25
	flat_load_b64 v[3:4], v[1:2]
.LBB308_100:
	s_or_b32 exec_lo, exec_lo, s15
	s_cmp_lg_u64 s[18:19], 0
                                        ; implicit-def: $vgpr1
	s_cselect_b32 s25, -1, 0
	s_and_saveexec_b32 s26, s0
	s_cbranch_execz .LBB308_105
; %bb.101:
	v_mov_b32_e32 v1, 0
	v_mov_b32_e32 v2, 0
	s_and_not1_b32 vcc_lo, exec_lo, s25
	s_cbranch_vccnz .LBB308_105
; %bb.102:
	v_dual_mov_b32 v36, s19 :: v_dual_mov_b32 v35, s18
	s_mov_b32 s27, 0
	s_set_inst_prefetch_distance 0x1
	.p2align	6
.LBB308_103:                            ; =>This Inner Loop Header: Depth=1
	s_delay_alu instid0(VALU_DEP_1) | instskip(NEXT) | instid1(VALU_DEP_2)
	v_sub_co_u32 v37, vcc_lo, v35, v1
	v_sub_co_ci_u32_e32 v38, vcc_lo, v36, v2, vcc_lo
	s_delay_alu instid0(VALU_DEP_1) | instskip(SKIP_1) | instid1(VALU_DEP_2)
	v_lshrrev_b64 v[39:40], 1, v[37:38]
	v_lshrrev_b64 v[37:38], 6, v[37:38]
	v_add_co_u32 v39, vcc_lo, v39, v1
	s_delay_alu instid0(VALU_DEP_3) | instskip(NEXT) | instid1(VALU_DEP_2)
	v_add_co_ci_u32_e32 v40, vcc_lo, v40, v2, vcc_lo
	v_add_co_u32 v37, vcc_lo, v39, v37
	s_delay_alu instid0(VALU_DEP_2) | instskip(NEXT) | instid1(VALU_DEP_1)
	v_add_co_ci_u32_e32 v38, vcc_lo, v40, v38, vcc_lo
	v_lshlrev_b64 v[39:40], 3, v[37:38]
	s_delay_alu instid0(VALU_DEP_1) | instskip(NEXT) | instid1(VALU_DEP_2)
	v_add_co_u32 v39, vcc_lo, s16, v39
	v_add_co_ci_u32_e32 v40, vcc_lo, s17, v40, vcc_lo
	v_add_co_u32 v41, vcc_lo, v37, 1
	global_load_b64 v[39:40], v[39:40], off
	s_waitcnt vmcnt(0) lgkmcnt(0)
	v_cmp_lt_i64_e64 s15, v[39:40], v[5:6]
	v_add_co_ci_u32_e32 v39, vcc_lo, 0, v38, vcc_lo
	s_delay_alu instid0(VALU_DEP_2) | instskip(SKIP_1) | instid1(VALU_DEP_3)
	v_cndmask_b32_e64 v36, v38, v36, s15
	v_cndmask_b32_e64 v35, v37, v35, s15
	;; [unrolled: 1-line block ×4, first 2 shown]
	s_delay_alu instid0(VALU_DEP_1) | instskip(SKIP_1) | instid1(SALU_CYCLE_1)
	v_cmp_ge_u64_e32 vcc_lo, v[1:2], v[35:36]
	s_or_b32 s27, vcc_lo, s27
	s_and_not1_b32 exec_lo, exec_lo, s27
	s_cbranch_execnz .LBB308_103
; %bb.104:
	s_set_inst_prefetch_distance 0x2
	s_or_b32 exec_lo, exec_lo, s27
.LBB308_105:
	s_delay_alu instid0(SALU_CYCLE_1)
	s_or_b32 exec_lo, exec_lo, s26
                                        ; implicit-def: $vgpr5
	s_and_saveexec_b32 s26, s1
	s_cbranch_execz .LBB308_110
; %bb.106:
	s_waitcnt vmcnt(0) lgkmcnt(0)
	v_mov_b32_e32 v5, 0
	v_mov_b32_e32 v6, 0
	s_and_not1_b32 vcc_lo, exec_lo, s25
	s_cbranch_vccnz .LBB308_110
; %bb.107:
	v_dual_mov_b32 v36, s19 :: v_dual_mov_b32 v35, s18
	s_mov_b32 s27, 0
	s_set_inst_prefetch_distance 0x1
	.p2align	6
.LBB308_108:                            ; =>This Inner Loop Header: Depth=1
	s_delay_alu instid0(VALU_DEP_1) | instskip(NEXT) | instid1(VALU_DEP_2)
	v_sub_co_u32 v37, vcc_lo, v35, v5
	v_sub_co_ci_u32_e32 v38, vcc_lo, v36, v6, vcc_lo
	s_delay_alu instid0(VALU_DEP_1) | instskip(SKIP_1) | instid1(VALU_DEP_2)
	v_lshrrev_b64 v[39:40], 1, v[37:38]
	v_lshrrev_b64 v[37:38], 6, v[37:38]
	v_add_co_u32 v2, vcc_lo, v39, v5
	s_delay_alu instid0(VALU_DEP_3) | instskip(NEXT) | instid1(VALU_DEP_2)
	v_add_co_ci_u32_e32 v39, vcc_lo, v40, v6, vcc_lo
	v_add_co_u32 v37, vcc_lo, v2, v37
	s_delay_alu instid0(VALU_DEP_2) | instskip(NEXT) | instid1(VALU_DEP_1)
	v_add_co_ci_u32_e32 v38, vcc_lo, v39, v38, vcc_lo
	v_lshlrev_b64 v[39:40], 3, v[37:38]
	s_delay_alu instid0(VALU_DEP_1) | instskip(NEXT) | instid1(VALU_DEP_2)
	v_add_co_u32 v39, vcc_lo, s16, v39
	v_add_co_ci_u32_e32 v40, vcc_lo, s17, v40, vcc_lo
	v_add_co_u32 v2, vcc_lo, v37, 1
	global_load_b64 v[39:40], v[39:40], off
	s_waitcnt vmcnt(0)
	v_cmp_lt_i64_e64 s15, v[39:40], v[11:12]
	v_add_co_ci_u32_e32 v39, vcc_lo, 0, v38, vcc_lo
	s_delay_alu instid0(VALU_DEP_2) | instskip(SKIP_1) | instid1(VALU_DEP_3)
	v_cndmask_b32_e64 v36, v38, v36, s15
	v_cndmask_b32_e64 v35, v37, v35, s15
	;; [unrolled: 1-line block ×4, first 2 shown]
	s_delay_alu instid0(VALU_DEP_1) | instskip(SKIP_1) | instid1(SALU_CYCLE_1)
	v_cmp_ge_u64_e32 vcc_lo, v[5:6], v[35:36]
	s_or_b32 s27, vcc_lo, s27
	s_and_not1_b32 exec_lo, exec_lo, s27
	s_cbranch_execnz .LBB308_108
; %bb.109:
	s_set_inst_prefetch_distance 0x2
	s_or_b32 exec_lo, exec_lo, s27
.LBB308_110:
	s_delay_alu instid0(SALU_CYCLE_1)
	s_or_b32 exec_lo, exec_lo, s26
                                        ; implicit-def: $vgpr11
	s_and_saveexec_b32 s26, s2
	s_cbranch_execz .LBB308_115
; %bb.111:
	s_waitcnt vmcnt(0) lgkmcnt(0)
	v_mov_b32_e32 v11, 0
	v_mov_b32_e32 v12, 0
	s_and_not1_b32 vcc_lo, exec_lo, s25
	s_cbranch_vccnz .LBB308_115
; %bb.112:
	v_dual_mov_b32 v36, s19 :: v_dual_mov_b32 v35, s18
	s_mov_b32 s27, 0
	s_set_inst_prefetch_distance 0x1
	.p2align	6
.LBB308_113:                            ; =>This Inner Loop Header: Depth=1
	s_delay_alu instid0(VALU_DEP_1) | instskip(NEXT) | instid1(VALU_DEP_2)
	v_sub_co_u32 v37, vcc_lo, v35, v11
	v_sub_co_ci_u32_e32 v38, vcc_lo, v36, v12, vcc_lo
	s_delay_alu instid0(VALU_DEP_1) | instskip(SKIP_1) | instid1(VALU_DEP_2)
	v_lshrrev_b64 v[39:40], 1, v[37:38]
	v_lshrrev_b64 v[37:38], 6, v[37:38]
	v_add_co_u32 v2, vcc_lo, v39, v11
	s_delay_alu instid0(VALU_DEP_3) | instskip(NEXT) | instid1(VALU_DEP_2)
	v_add_co_ci_u32_e32 v6, vcc_lo, v40, v12, vcc_lo
	v_add_co_u32 v37, vcc_lo, v2, v37
	s_delay_alu instid0(VALU_DEP_2) | instskip(NEXT) | instid1(VALU_DEP_1)
	v_add_co_ci_u32_e32 v38, vcc_lo, v6, v38, vcc_lo
	v_lshlrev_b64 v[39:40], 3, v[37:38]
	s_delay_alu instid0(VALU_DEP_1) | instskip(NEXT) | instid1(VALU_DEP_2)
	v_add_co_u32 v39, vcc_lo, s16, v39
	v_add_co_ci_u32_e32 v40, vcc_lo, s17, v40, vcc_lo
	v_add_co_u32 v2, vcc_lo, v37, 1
	v_add_co_ci_u32_e32 v6, vcc_lo, 0, v38, vcc_lo
	global_load_b64 v[39:40], v[39:40], off
	s_waitcnt vmcnt(0)
	v_cmp_lt_i64_e64 s15, v[39:40], v[15:16]
	s_delay_alu instid0(VALU_DEP_1) | instskip(SKIP_3) | instid1(VALU_DEP_1)
	v_cndmask_b32_e64 v36, v38, v36, s15
	v_cndmask_b32_e64 v35, v37, v35, s15
	;; [unrolled: 1-line block ×4, first 2 shown]
	v_cmp_ge_u64_e32 vcc_lo, v[11:12], v[35:36]
	s_or_b32 s27, vcc_lo, s27
	s_delay_alu instid0(SALU_CYCLE_1)
	s_and_not1_b32 exec_lo, exec_lo, s27
	s_cbranch_execnz .LBB308_113
; %bb.114:
	s_set_inst_prefetch_distance 0x2
	s_or_b32 exec_lo, exec_lo, s27
.LBB308_115:
	s_delay_alu instid0(SALU_CYCLE_1)
	s_or_b32 exec_lo, exec_lo, s26
                                        ; implicit-def: $vgpr15
	s_and_saveexec_b32 s26, s3
	s_cbranch_execz .LBB308_120
; %bb.116:
	s_waitcnt vmcnt(0) lgkmcnt(0)
	v_mov_b32_e32 v15, 0
	v_mov_b32_e32 v16, 0
	s_and_not1_b32 vcc_lo, exec_lo, s25
	s_cbranch_vccnz .LBB308_120
; %bb.117:
	v_dual_mov_b32 v36, s19 :: v_dual_mov_b32 v35, s18
	s_mov_b32 s27, 0
	s_set_inst_prefetch_distance 0x1
	.p2align	6
.LBB308_118:                            ; =>This Inner Loop Header: Depth=1
	s_delay_alu instid0(VALU_DEP_1) | instskip(NEXT) | instid1(VALU_DEP_2)
	v_sub_co_u32 v37, vcc_lo, v35, v15
	v_sub_co_ci_u32_e32 v38, vcc_lo, v36, v16, vcc_lo
	s_delay_alu instid0(VALU_DEP_1) | instskip(SKIP_1) | instid1(VALU_DEP_2)
	v_lshrrev_b64 v[39:40], 1, v[37:38]
	v_lshrrev_b64 v[37:38], 6, v[37:38]
	v_add_co_u32 v2, vcc_lo, v39, v15
	s_delay_alu instid0(VALU_DEP_3) | instskip(NEXT) | instid1(VALU_DEP_2)
	v_add_co_ci_u32_e32 v6, vcc_lo, v40, v16, vcc_lo
	v_add_co_u32 v37, vcc_lo, v2, v37
	s_delay_alu instid0(VALU_DEP_2) | instskip(NEXT) | instid1(VALU_DEP_1)
	v_add_co_ci_u32_e32 v38, vcc_lo, v6, v38, vcc_lo
	v_lshlrev_b64 v[39:40], 3, v[37:38]
	s_delay_alu instid0(VALU_DEP_1) | instskip(NEXT) | instid1(VALU_DEP_2)
	v_add_co_u32 v39, vcc_lo, s16, v39
	v_add_co_ci_u32_e32 v40, vcc_lo, s17, v40, vcc_lo
	v_add_co_u32 v2, vcc_lo, v37, 1
	v_add_co_ci_u32_e32 v6, vcc_lo, 0, v38, vcc_lo
	global_load_b64 v[39:40], v[39:40], off
	s_waitcnt vmcnt(0)
	v_cmp_lt_i64_e64 s15, v[39:40], v[19:20]
	s_delay_alu instid0(VALU_DEP_1) | instskip(SKIP_3) | instid1(VALU_DEP_1)
	v_cndmask_b32_e64 v36, v38, v36, s15
	v_cndmask_b32_e64 v35, v37, v35, s15
	;; [unrolled: 1-line block ×4, first 2 shown]
	v_cmp_ge_u64_e32 vcc_lo, v[15:16], v[35:36]
	s_or_b32 s27, vcc_lo, s27
	s_delay_alu instid0(SALU_CYCLE_1)
	s_and_not1_b32 exec_lo, exec_lo, s27
	s_cbranch_execnz .LBB308_118
; %bb.119:
	s_set_inst_prefetch_distance 0x2
	s_or_b32 exec_lo, exec_lo, s27
.LBB308_120:
	s_delay_alu instid0(SALU_CYCLE_1)
	s_or_b32 exec_lo, exec_lo, s26
                                        ; implicit-def: $vgpr19
	s_and_saveexec_b32 s26, s4
	s_cbranch_execz .LBB308_125
; %bb.121:
	s_waitcnt vmcnt(0) lgkmcnt(0)
	v_mov_b32_e32 v19, 0
	v_mov_b32_e32 v20, 0
	s_and_not1_b32 vcc_lo, exec_lo, s25
	s_cbranch_vccnz .LBB308_125
; %bb.122:
	v_dual_mov_b32 v36, s19 :: v_dual_mov_b32 v35, s18
	s_mov_b32 s27, 0
	s_set_inst_prefetch_distance 0x1
	.p2align	6
.LBB308_123:                            ; =>This Inner Loop Header: Depth=1
	s_delay_alu instid0(VALU_DEP_1) | instskip(NEXT) | instid1(VALU_DEP_2)
	v_sub_co_u32 v37, vcc_lo, v35, v19
	v_sub_co_ci_u32_e32 v38, vcc_lo, v36, v20, vcc_lo
	s_delay_alu instid0(VALU_DEP_1) | instskip(SKIP_1) | instid1(VALU_DEP_2)
	v_lshrrev_b64 v[39:40], 1, v[37:38]
	v_lshrrev_b64 v[37:38], 6, v[37:38]
	v_add_co_u32 v2, vcc_lo, v39, v19
	s_delay_alu instid0(VALU_DEP_3) | instskip(NEXT) | instid1(VALU_DEP_2)
	v_add_co_ci_u32_e32 v6, vcc_lo, v40, v20, vcc_lo
	v_add_co_u32 v37, vcc_lo, v2, v37
	s_delay_alu instid0(VALU_DEP_2) | instskip(NEXT) | instid1(VALU_DEP_1)
	v_add_co_ci_u32_e32 v38, vcc_lo, v6, v38, vcc_lo
	v_lshlrev_b64 v[39:40], 3, v[37:38]
	s_delay_alu instid0(VALU_DEP_1) | instskip(NEXT) | instid1(VALU_DEP_2)
	v_add_co_u32 v39, vcc_lo, s16, v39
	v_add_co_ci_u32_e32 v40, vcc_lo, s17, v40, vcc_lo
	v_add_co_u32 v2, vcc_lo, v37, 1
	v_add_co_ci_u32_e32 v6, vcc_lo, 0, v38, vcc_lo
	global_load_b64 v[39:40], v[39:40], off
	s_waitcnt vmcnt(0)
	v_cmp_lt_i64_e64 s15, v[39:40], v[23:24]
	s_delay_alu instid0(VALU_DEP_1) | instskip(SKIP_3) | instid1(VALU_DEP_1)
	v_cndmask_b32_e64 v36, v38, v36, s15
	v_cndmask_b32_e64 v35, v37, v35, s15
	;; [unrolled: 1-line block ×4, first 2 shown]
	v_cmp_ge_u64_e32 vcc_lo, v[19:20], v[35:36]
	s_or_b32 s27, vcc_lo, s27
	s_delay_alu instid0(SALU_CYCLE_1)
	s_and_not1_b32 exec_lo, exec_lo, s27
	s_cbranch_execnz .LBB308_123
; %bb.124:
	s_set_inst_prefetch_distance 0x2
	s_or_b32 exec_lo, exec_lo, s27
.LBB308_125:
	s_delay_alu instid0(SALU_CYCLE_1)
	s_or_b32 exec_lo, exec_lo, s26
                                        ; implicit-def: $vgpr23
	s_and_saveexec_b32 s26, s5
	s_cbranch_execz .LBB308_130
; %bb.126:
	s_waitcnt vmcnt(0) lgkmcnt(0)
	v_mov_b32_e32 v23, 0
	v_mov_b32_e32 v24, 0
	s_and_not1_b32 vcc_lo, exec_lo, s25
	s_cbranch_vccnz .LBB308_130
; %bb.127:
	v_dual_mov_b32 v36, s19 :: v_dual_mov_b32 v35, s18
	s_mov_b32 s27, 0
	s_set_inst_prefetch_distance 0x1
	.p2align	6
.LBB308_128:                            ; =>This Inner Loop Header: Depth=1
	s_delay_alu instid0(VALU_DEP_1) | instskip(NEXT) | instid1(VALU_DEP_2)
	v_sub_co_u32 v37, vcc_lo, v35, v23
	v_sub_co_ci_u32_e32 v38, vcc_lo, v36, v24, vcc_lo
	s_delay_alu instid0(VALU_DEP_1) | instskip(SKIP_1) | instid1(VALU_DEP_2)
	v_lshrrev_b64 v[39:40], 1, v[37:38]
	v_lshrrev_b64 v[37:38], 6, v[37:38]
	v_add_co_u32 v2, vcc_lo, v39, v23
	s_delay_alu instid0(VALU_DEP_3) | instskip(NEXT) | instid1(VALU_DEP_2)
	v_add_co_ci_u32_e32 v6, vcc_lo, v40, v24, vcc_lo
	v_add_co_u32 v37, vcc_lo, v2, v37
	s_delay_alu instid0(VALU_DEP_2) | instskip(NEXT) | instid1(VALU_DEP_1)
	v_add_co_ci_u32_e32 v38, vcc_lo, v6, v38, vcc_lo
	v_lshlrev_b64 v[39:40], 3, v[37:38]
	s_delay_alu instid0(VALU_DEP_1) | instskip(NEXT) | instid1(VALU_DEP_2)
	v_add_co_u32 v39, vcc_lo, s16, v39
	v_add_co_ci_u32_e32 v40, vcc_lo, s17, v40, vcc_lo
	v_add_co_u32 v2, vcc_lo, v37, 1
	v_add_co_ci_u32_e32 v6, vcc_lo, 0, v38, vcc_lo
	global_load_b64 v[39:40], v[39:40], off
	s_waitcnt vmcnt(0)
	v_cmp_lt_i64_e64 s15, v[39:40], v[27:28]
	s_delay_alu instid0(VALU_DEP_1) | instskip(SKIP_3) | instid1(VALU_DEP_1)
	v_cndmask_b32_e64 v36, v38, v36, s15
	v_cndmask_b32_e64 v35, v37, v35, s15
	;; [unrolled: 1-line block ×4, first 2 shown]
	v_cmp_ge_u64_e32 vcc_lo, v[23:24], v[35:36]
	s_or_b32 s27, vcc_lo, s27
	s_delay_alu instid0(SALU_CYCLE_1)
	s_and_not1_b32 exec_lo, exec_lo, s27
	s_cbranch_execnz .LBB308_128
; %bb.129:
	s_set_inst_prefetch_distance 0x2
	s_or_b32 exec_lo, exec_lo, s27
.LBB308_130:
	s_delay_alu instid0(SALU_CYCLE_1)
	s_or_b32 exec_lo, exec_lo, s26
                                        ; implicit-def: $vgpr27
	s_and_saveexec_b32 s26, s6
	s_cbranch_execz .LBB308_135
; %bb.131:
	s_waitcnt vmcnt(0) lgkmcnt(0)
	v_mov_b32_e32 v27, 0
	v_mov_b32_e32 v28, 0
	s_and_not1_b32 vcc_lo, exec_lo, s25
	s_cbranch_vccnz .LBB308_135
; %bb.132:
	v_dual_mov_b32 v36, s19 :: v_dual_mov_b32 v35, s18
	s_mov_b32 s27, 0
	s_set_inst_prefetch_distance 0x1
	.p2align	6
.LBB308_133:                            ; =>This Inner Loop Header: Depth=1
	s_delay_alu instid0(VALU_DEP_1) | instskip(NEXT) | instid1(VALU_DEP_2)
	v_sub_co_u32 v37, vcc_lo, v35, v27
	v_sub_co_ci_u32_e32 v38, vcc_lo, v36, v28, vcc_lo
	s_delay_alu instid0(VALU_DEP_1) | instskip(SKIP_1) | instid1(VALU_DEP_2)
	v_lshrrev_b64 v[39:40], 1, v[37:38]
	v_lshrrev_b64 v[37:38], 6, v[37:38]
	v_add_co_u32 v2, vcc_lo, v39, v27
	s_delay_alu instid0(VALU_DEP_3) | instskip(NEXT) | instid1(VALU_DEP_2)
	v_add_co_ci_u32_e32 v6, vcc_lo, v40, v28, vcc_lo
	v_add_co_u32 v37, vcc_lo, v2, v37
	s_delay_alu instid0(VALU_DEP_2) | instskip(NEXT) | instid1(VALU_DEP_1)
	v_add_co_ci_u32_e32 v38, vcc_lo, v6, v38, vcc_lo
	v_lshlrev_b64 v[39:40], 3, v[37:38]
	s_delay_alu instid0(VALU_DEP_1) | instskip(NEXT) | instid1(VALU_DEP_2)
	v_add_co_u32 v39, vcc_lo, s16, v39
	v_add_co_ci_u32_e32 v40, vcc_lo, s17, v40, vcc_lo
	v_add_co_u32 v2, vcc_lo, v37, 1
	v_add_co_ci_u32_e32 v6, vcc_lo, 0, v38, vcc_lo
	global_load_b64 v[39:40], v[39:40], off
	s_waitcnt vmcnt(0)
	v_cmp_lt_i64_e64 s15, v[39:40], v[31:32]
	s_delay_alu instid0(VALU_DEP_1) | instskip(SKIP_3) | instid1(VALU_DEP_1)
	v_cndmask_b32_e64 v36, v38, v36, s15
	v_cndmask_b32_e64 v35, v37, v35, s15
	;; [unrolled: 1-line block ×4, first 2 shown]
	v_cmp_ge_u64_e32 vcc_lo, v[27:28], v[35:36]
	s_or_b32 s27, vcc_lo, s27
	s_delay_alu instid0(SALU_CYCLE_1)
	s_and_not1_b32 exec_lo, exec_lo, s27
	s_cbranch_execnz .LBB308_133
; %bb.134:
	s_set_inst_prefetch_distance 0x2
	s_or_b32 exec_lo, exec_lo, s27
.LBB308_135:
	s_delay_alu instid0(SALU_CYCLE_1)
	s_or_b32 exec_lo, exec_lo, s26
                                        ; implicit-def: $vgpr31
	s_and_saveexec_b32 s26, s7
	s_cbranch_execz .LBB308_140
; %bb.136:
	s_waitcnt vmcnt(0) lgkmcnt(0)
	v_mov_b32_e32 v31, 0
	v_mov_b32_e32 v32, 0
	s_and_not1_b32 vcc_lo, exec_lo, s25
	s_cbranch_vccnz .LBB308_140
; %bb.137:
	v_dual_mov_b32 v36, s19 :: v_dual_mov_b32 v35, s18
	s_mov_b32 s27, 0
	s_set_inst_prefetch_distance 0x1
	.p2align	6
.LBB308_138:                            ; =>This Inner Loop Header: Depth=1
	s_delay_alu instid0(VALU_DEP_1) | instskip(NEXT) | instid1(VALU_DEP_2)
	v_sub_co_u32 v37, vcc_lo, v35, v31
	v_sub_co_ci_u32_e32 v38, vcc_lo, v36, v32, vcc_lo
	s_delay_alu instid0(VALU_DEP_1) | instskip(SKIP_1) | instid1(VALU_DEP_2)
	v_lshrrev_b64 v[39:40], 1, v[37:38]
	v_lshrrev_b64 v[37:38], 6, v[37:38]
	v_add_co_u32 v2, vcc_lo, v39, v31
	s_delay_alu instid0(VALU_DEP_3) | instskip(NEXT) | instid1(VALU_DEP_2)
	v_add_co_ci_u32_e32 v6, vcc_lo, v40, v32, vcc_lo
	v_add_co_u32 v37, vcc_lo, v2, v37
	s_delay_alu instid0(VALU_DEP_2) | instskip(NEXT) | instid1(VALU_DEP_1)
	v_add_co_ci_u32_e32 v38, vcc_lo, v6, v38, vcc_lo
	v_lshlrev_b64 v[39:40], 3, v[37:38]
	s_delay_alu instid0(VALU_DEP_1) | instskip(NEXT) | instid1(VALU_DEP_2)
	v_add_co_u32 v39, vcc_lo, s16, v39
	v_add_co_ci_u32_e32 v40, vcc_lo, s17, v40, vcc_lo
	v_add_co_u32 v2, vcc_lo, v37, 1
	v_add_co_ci_u32_e32 v6, vcc_lo, 0, v38, vcc_lo
	global_load_b64 v[39:40], v[39:40], off
	s_waitcnt vmcnt(0)
	v_cmp_lt_i64_e64 s15, v[39:40], v[33:34]
	s_delay_alu instid0(VALU_DEP_1) | instskip(SKIP_3) | instid1(VALU_DEP_1)
	v_cndmask_b32_e64 v36, v38, v36, s15
	v_cndmask_b32_e64 v35, v37, v35, s15
	;; [unrolled: 1-line block ×4, first 2 shown]
	v_cmp_ge_u64_e32 vcc_lo, v[31:32], v[35:36]
	s_or_b32 s27, vcc_lo, s27
	s_delay_alu instid0(SALU_CYCLE_1)
	s_and_not1_b32 exec_lo, exec_lo, s27
	s_cbranch_execnz .LBB308_138
; %bb.139:
	s_set_inst_prefetch_distance 0x2
	s_or_b32 exec_lo, exec_lo, s27
.LBB308_140:
	s_delay_alu instid0(SALU_CYCLE_1)
	s_or_b32 exec_lo, exec_lo, s26
                                        ; implicit-def: $vgpr32
	s_and_saveexec_b32 s26, s8
	s_cbranch_execz .LBB308_145
; %bb.141:
	s_waitcnt vmcnt(0) lgkmcnt(0)
	v_mov_b32_e32 v32, 0
	v_mov_b32_e32 v33, 0
	s_and_not1_b32 vcc_lo, exec_lo, s25
	s_cbranch_vccnz .LBB308_145
; %bb.142:
	v_dual_mov_b32 v35, s19 :: v_dual_mov_b32 v34, s18
	s_mov_b32 s27, 0
	s_set_inst_prefetch_distance 0x1
	.p2align	6
.LBB308_143:                            ; =>This Inner Loop Header: Depth=1
	s_delay_alu instid0(VALU_DEP_1) | instskip(NEXT) | instid1(VALU_DEP_2)
	v_sub_co_u32 v36, vcc_lo, v34, v32
	v_sub_co_ci_u32_e32 v37, vcc_lo, v35, v33, vcc_lo
	s_delay_alu instid0(VALU_DEP_1) | instskip(SKIP_1) | instid1(VALU_DEP_2)
	v_lshrrev_b64 v[38:39], 1, v[36:37]
	v_lshrrev_b64 v[36:37], 6, v[36:37]
	v_add_co_u32 v2, vcc_lo, v38, v32
	s_delay_alu instid0(VALU_DEP_3) | instskip(NEXT) | instid1(VALU_DEP_2)
	v_add_co_ci_u32_e32 v6, vcc_lo, v39, v33, vcc_lo
	v_add_co_u32 v36, vcc_lo, v2, v36
	s_delay_alu instid0(VALU_DEP_2) | instskip(NEXT) | instid1(VALU_DEP_1)
	v_add_co_ci_u32_e32 v37, vcc_lo, v6, v37, vcc_lo
	v_lshlrev_b64 v[38:39], 3, v[36:37]
	s_delay_alu instid0(VALU_DEP_1) | instskip(NEXT) | instid1(VALU_DEP_2)
	v_add_co_u32 v38, vcc_lo, s16, v38
	v_add_co_ci_u32_e32 v39, vcc_lo, s17, v39, vcc_lo
	v_add_co_u32 v2, vcc_lo, v36, 1
	v_add_co_ci_u32_e32 v6, vcc_lo, 0, v37, vcc_lo
	global_load_b64 v[38:39], v[38:39], off
	s_waitcnt vmcnt(0)
	v_cmp_lt_i64_e64 s15, v[38:39], v[29:30]
	s_delay_alu instid0(VALU_DEP_1) | instskip(SKIP_3) | instid1(VALU_DEP_1)
	v_cndmask_b32_e64 v35, v37, v35, s15
	v_cndmask_b32_e64 v34, v36, v34, s15
	;; [unrolled: 1-line block ×4, first 2 shown]
	v_cmp_ge_u64_e32 vcc_lo, v[32:33], v[34:35]
	s_or_b32 s27, vcc_lo, s27
	s_delay_alu instid0(SALU_CYCLE_1)
	s_and_not1_b32 exec_lo, exec_lo, s27
	s_cbranch_execnz .LBB308_143
; %bb.144:
	s_set_inst_prefetch_distance 0x2
	s_or_b32 exec_lo, exec_lo, s27
.LBB308_145:
	s_delay_alu instid0(SALU_CYCLE_1)
	s_or_b32 exec_lo, exec_lo, s26
                                        ; implicit-def: $vgpr28
	s_and_saveexec_b32 s26, s9
	s_cbranch_execz .LBB308_150
; %bb.146:
	s_waitcnt vmcnt(0) lgkmcnt(0)
	v_mov_b32_e32 v28, 0
	v_mov_b32_e32 v29, 0
	s_and_not1_b32 vcc_lo, exec_lo, s25
	s_cbranch_vccnz .LBB308_150
; %bb.147:
	v_dual_mov_b32 v34, s19 :: v_dual_mov_b32 v33, s18
	s_mov_b32 s27, 0
	s_set_inst_prefetch_distance 0x1
	.p2align	6
.LBB308_148:                            ; =>This Inner Loop Header: Depth=1
	s_delay_alu instid0(VALU_DEP_1) | instskip(NEXT) | instid1(VALU_DEP_2)
	v_sub_co_u32 v35, vcc_lo, v33, v28
	v_sub_co_ci_u32_e32 v36, vcc_lo, v34, v29, vcc_lo
	s_delay_alu instid0(VALU_DEP_1) | instskip(SKIP_1) | instid1(VALU_DEP_2)
	v_lshrrev_b64 v[37:38], 1, v[35:36]
	v_lshrrev_b64 v[35:36], 6, v[35:36]
	v_add_co_u32 v2, vcc_lo, v37, v28
	s_delay_alu instid0(VALU_DEP_3) | instskip(NEXT) | instid1(VALU_DEP_2)
	v_add_co_ci_u32_e32 v6, vcc_lo, v38, v29, vcc_lo
	v_add_co_u32 v35, vcc_lo, v2, v35
	s_delay_alu instid0(VALU_DEP_2) | instskip(NEXT) | instid1(VALU_DEP_1)
	v_add_co_ci_u32_e32 v36, vcc_lo, v6, v36, vcc_lo
	v_lshlrev_b64 v[37:38], 3, v[35:36]
	s_delay_alu instid0(VALU_DEP_1) | instskip(NEXT) | instid1(VALU_DEP_2)
	v_add_co_u32 v37, vcc_lo, s16, v37
	v_add_co_ci_u32_e32 v38, vcc_lo, s17, v38, vcc_lo
	v_add_co_u32 v2, vcc_lo, v35, 1
	v_add_co_ci_u32_e32 v6, vcc_lo, 0, v36, vcc_lo
	global_load_b64 v[37:38], v[37:38], off
	s_waitcnt vmcnt(0)
	v_cmp_lt_i64_e64 s15, v[37:38], v[25:26]
	s_delay_alu instid0(VALU_DEP_1) | instskip(SKIP_3) | instid1(VALU_DEP_1)
	v_cndmask_b32_e64 v34, v36, v34, s15
	v_cndmask_b32_e64 v33, v35, v33, s15
	;; [unrolled: 1-line block ×4, first 2 shown]
	v_cmp_ge_u64_e32 vcc_lo, v[28:29], v[33:34]
	s_or_b32 s27, vcc_lo, s27
	s_delay_alu instid0(SALU_CYCLE_1)
	s_and_not1_b32 exec_lo, exec_lo, s27
	s_cbranch_execnz .LBB308_148
; %bb.149:
	s_set_inst_prefetch_distance 0x2
	s_or_b32 exec_lo, exec_lo, s27
.LBB308_150:
	s_delay_alu instid0(SALU_CYCLE_1)
	s_or_b32 exec_lo, exec_lo, s26
                                        ; implicit-def: $vgpr24
	s_and_saveexec_b32 s26, s10
	s_cbranch_execz .LBB308_155
; %bb.151:
	s_waitcnt vmcnt(0) lgkmcnt(0)
	v_mov_b32_e32 v24, 0
	v_mov_b32_e32 v25, 0
	s_and_not1_b32 vcc_lo, exec_lo, s25
	s_cbranch_vccnz .LBB308_155
; %bb.152:
	v_dual_mov_b32 v30, s19 :: v_dual_mov_b32 v29, s18
	s_mov_b32 s27, 0
	s_set_inst_prefetch_distance 0x1
	.p2align	6
.LBB308_153:                            ; =>This Inner Loop Header: Depth=1
	s_delay_alu instid0(VALU_DEP_1) | instskip(NEXT) | instid1(VALU_DEP_2)
	v_sub_co_u32 v33, vcc_lo, v29, v24
	v_sub_co_ci_u32_e32 v34, vcc_lo, v30, v25, vcc_lo
	s_delay_alu instid0(VALU_DEP_1) | instskip(SKIP_1) | instid1(VALU_DEP_2)
	v_lshrrev_b64 v[35:36], 1, v[33:34]
	v_lshrrev_b64 v[33:34], 6, v[33:34]
	v_add_co_u32 v2, vcc_lo, v35, v24
	s_delay_alu instid0(VALU_DEP_3) | instskip(NEXT) | instid1(VALU_DEP_2)
	v_add_co_ci_u32_e32 v6, vcc_lo, v36, v25, vcc_lo
	v_add_co_u32 v33, vcc_lo, v2, v33
	s_delay_alu instid0(VALU_DEP_2) | instskip(NEXT) | instid1(VALU_DEP_1)
	v_add_co_ci_u32_e32 v34, vcc_lo, v6, v34, vcc_lo
	v_lshlrev_b64 v[35:36], 3, v[33:34]
	s_delay_alu instid0(VALU_DEP_1) | instskip(NEXT) | instid1(VALU_DEP_2)
	v_add_co_u32 v35, vcc_lo, s16, v35
	v_add_co_ci_u32_e32 v36, vcc_lo, s17, v36, vcc_lo
	v_add_co_u32 v2, vcc_lo, v33, 1
	v_add_co_ci_u32_e32 v6, vcc_lo, 0, v34, vcc_lo
	global_load_b64 v[35:36], v[35:36], off
	s_waitcnt vmcnt(0)
	v_cmp_lt_i64_e64 s15, v[35:36], v[21:22]
	s_delay_alu instid0(VALU_DEP_1) | instskip(SKIP_3) | instid1(VALU_DEP_1)
	v_cndmask_b32_e64 v30, v34, v30, s15
	v_cndmask_b32_e64 v29, v33, v29, s15
	;; [unrolled: 1-line block ×4, first 2 shown]
	v_cmp_ge_u64_e32 vcc_lo, v[24:25], v[29:30]
	s_or_b32 s27, vcc_lo, s27
	s_delay_alu instid0(SALU_CYCLE_1)
	s_and_not1_b32 exec_lo, exec_lo, s27
	s_cbranch_execnz .LBB308_153
; %bb.154:
	s_set_inst_prefetch_distance 0x2
	s_or_b32 exec_lo, exec_lo, s27
.LBB308_155:
	s_delay_alu instid0(SALU_CYCLE_1)
	s_or_b32 exec_lo, exec_lo, s26
                                        ; implicit-def: $vgpr20
	s_and_saveexec_b32 s26, s11
	s_cbranch_execz .LBB308_160
; %bb.156:
	s_waitcnt vmcnt(0) lgkmcnt(0)
	v_mov_b32_e32 v20, 0
	v_mov_b32_e32 v21, 0
	s_and_not1_b32 vcc_lo, exec_lo, s25
	s_cbranch_vccnz .LBB308_160
; %bb.157:
	v_dual_mov_b32 v26, s19 :: v_dual_mov_b32 v25, s18
	s_mov_b32 s27, 0
	s_set_inst_prefetch_distance 0x1
	.p2align	6
.LBB308_158:                            ; =>This Inner Loop Header: Depth=1
	s_delay_alu instid0(VALU_DEP_1) | instskip(NEXT) | instid1(VALU_DEP_2)
	v_sub_co_u32 v29, vcc_lo, v25, v20
	v_sub_co_ci_u32_e32 v30, vcc_lo, v26, v21, vcc_lo
	s_delay_alu instid0(VALU_DEP_1) | instskip(SKIP_1) | instid1(VALU_DEP_2)
	v_lshrrev_b64 v[33:34], 1, v[29:30]
	v_lshrrev_b64 v[29:30], 6, v[29:30]
	v_add_co_u32 v2, vcc_lo, v33, v20
	s_delay_alu instid0(VALU_DEP_3) | instskip(NEXT) | instid1(VALU_DEP_2)
	v_add_co_ci_u32_e32 v6, vcc_lo, v34, v21, vcc_lo
	v_add_co_u32 v29, vcc_lo, v2, v29
	s_delay_alu instid0(VALU_DEP_2) | instskip(NEXT) | instid1(VALU_DEP_1)
	v_add_co_ci_u32_e32 v30, vcc_lo, v6, v30, vcc_lo
	v_lshlrev_b64 v[33:34], 3, v[29:30]
	s_delay_alu instid0(VALU_DEP_1) | instskip(NEXT) | instid1(VALU_DEP_2)
	v_add_co_u32 v33, vcc_lo, s16, v33
	v_add_co_ci_u32_e32 v34, vcc_lo, s17, v34, vcc_lo
	v_add_co_u32 v2, vcc_lo, v29, 1
	v_add_co_ci_u32_e32 v6, vcc_lo, 0, v30, vcc_lo
	global_load_b64 v[33:34], v[33:34], off
	s_waitcnt vmcnt(0)
	v_cmp_lt_i64_e64 s15, v[33:34], v[17:18]
	s_delay_alu instid0(VALU_DEP_1) | instskip(SKIP_3) | instid1(VALU_DEP_1)
	v_cndmask_b32_e64 v26, v30, v26, s15
	v_cndmask_b32_e64 v25, v29, v25, s15
	;; [unrolled: 1-line block ×4, first 2 shown]
	v_cmp_ge_u64_e32 vcc_lo, v[20:21], v[25:26]
	s_or_b32 s27, vcc_lo, s27
	s_delay_alu instid0(SALU_CYCLE_1)
	s_and_not1_b32 exec_lo, exec_lo, s27
	s_cbranch_execnz .LBB308_158
; %bb.159:
	s_set_inst_prefetch_distance 0x2
	s_or_b32 exec_lo, exec_lo, s27
.LBB308_160:
	s_delay_alu instid0(SALU_CYCLE_1)
	s_or_b32 exec_lo, exec_lo, s26
                                        ; implicit-def: $vgpr16
	s_and_saveexec_b32 s26, s12
	s_cbranch_execz .LBB308_165
; %bb.161:
	s_waitcnt vmcnt(0) lgkmcnt(0)
	v_mov_b32_e32 v16, 0
	v_mov_b32_e32 v17, 0
	s_and_not1_b32 vcc_lo, exec_lo, s25
	s_cbranch_vccnz .LBB308_165
; %bb.162:
	v_dual_mov_b32 v22, s19 :: v_dual_mov_b32 v21, s18
	s_mov_b32 s27, 0
	s_set_inst_prefetch_distance 0x1
	.p2align	6
.LBB308_163:                            ; =>This Inner Loop Header: Depth=1
	s_delay_alu instid0(VALU_DEP_1) | instskip(NEXT) | instid1(VALU_DEP_2)
	v_sub_co_u32 v25, vcc_lo, v21, v16
	v_sub_co_ci_u32_e32 v26, vcc_lo, v22, v17, vcc_lo
	s_delay_alu instid0(VALU_DEP_1) | instskip(SKIP_1) | instid1(VALU_DEP_2)
	v_lshrrev_b64 v[29:30], 1, v[25:26]
	v_lshrrev_b64 v[25:26], 6, v[25:26]
	v_add_co_u32 v2, vcc_lo, v29, v16
	s_delay_alu instid0(VALU_DEP_3) | instskip(NEXT) | instid1(VALU_DEP_2)
	v_add_co_ci_u32_e32 v6, vcc_lo, v30, v17, vcc_lo
	v_add_co_u32 v25, vcc_lo, v2, v25
	s_delay_alu instid0(VALU_DEP_2) | instskip(NEXT) | instid1(VALU_DEP_1)
	v_add_co_ci_u32_e32 v26, vcc_lo, v6, v26, vcc_lo
	v_lshlrev_b64 v[29:30], 3, v[25:26]
	s_delay_alu instid0(VALU_DEP_1) | instskip(NEXT) | instid1(VALU_DEP_2)
	v_add_co_u32 v29, vcc_lo, s16, v29
	v_add_co_ci_u32_e32 v30, vcc_lo, s17, v30, vcc_lo
	v_add_co_u32 v2, vcc_lo, v25, 1
	v_add_co_ci_u32_e32 v6, vcc_lo, 0, v26, vcc_lo
	global_load_b64 v[29:30], v[29:30], off
	s_waitcnt vmcnt(0)
	v_cmp_lt_i64_e64 s15, v[29:30], v[13:14]
	s_delay_alu instid0(VALU_DEP_1) | instskip(SKIP_3) | instid1(VALU_DEP_1)
	v_cndmask_b32_e64 v22, v26, v22, s15
	v_cndmask_b32_e64 v21, v25, v21, s15
	;; [unrolled: 1-line block ×4, first 2 shown]
	v_cmp_ge_u64_e32 vcc_lo, v[16:17], v[21:22]
	s_or_b32 s27, vcc_lo, s27
	s_delay_alu instid0(SALU_CYCLE_1)
	s_and_not1_b32 exec_lo, exec_lo, s27
	s_cbranch_execnz .LBB308_163
; %bb.164:
	s_set_inst_prefetch_distance 0x2
	s_or_b32 exec_lo, exec_lo, s27
.LBB308_165:
	s_delay_alu instid0(SALU_CYCLE_1)
	s_or_b32 exec_lo, exec_lo, s26
                                        ; implicit-def: $vgpr12
	s_and_saveexec_b32 s26, s13
	s_cbranch_execz .LBB308_170
; %bb.166:
	s_waitcnt vmcnt(0) lgkmcnt(0)
	v_mov_b32_e32 v12, 0
	v_mov_b32_e32 v13, 0
	s_and_not1_b32 vcc_lo, exec_lo, s25
	s_cbranch_vccnz .LBB308_170
; %bb.167:
	v_dual_mov_b32 v17, s18 :: v_dual_mov_b32 v18, s19
	s_mov_b32 s27, 0
	s_set_inst_prefetch_distance 0x1
	.p2align	6
.LBB308_168:                            ; =>This Inner Loop Header: Depth=1
	s_delay_alu instid0(VALU_DEP_1) | instskip(NEXT) | instid1(VALU_DEP_2)
	v_sub_co_u32 v21, vcc_lo, v17, v12
	v_sub_co_ci_u32_e32 v22, vcc_lo, v18, v13, vcc_lo
	s_delay_alu instid0(VALU_DEP_1) | instskip(SKIP_1) | instid1(VALU_DEP_2)
	v_lshrrev_b64 v[25:26], 1, v[21:22]
	v_lshrrev_b64 v[21:22], 6, v[21:22]
	v_add_co_u32 v2, vcc_lo, v25, v12
	s_delay_alu instid0(VALU_DEP_3) | instskip(NEXT) | instid1(VALU_DEP_2)
	v_add_co_ci_u32_e32 v6, vcc_lo, v26, v13, vcc_lo
	v_add_co_u32 v21, vcc_lo, v2, v21
	s_delay_alu instid0(VALU_DEP_2) | instskip(NEXT) | instid1(VALU_DEP_1)
	v_add_co_ci_u32_e32 v22, vcc_lo, v6, v22, vcc_lo
	v_lshlrev_b64 v[25:26], 3, v[21:22]
	s_delay_alu instid0(VALU_DEP_1) | instskip(NEXT) | instid1(VALU_DEP_2)
	v_add_co_u32 v25, vcc_lo, s16, v25
	v_add_co_ci_u32_e32 v26, vcc_lo, s17, v26, vcc_lo
	v_add_co_u32 v2, vcc_lo, v21, 1
	v_add_co_ci_u32_e32 v6, vcc_lo, 0, v22, vcc_lo
	global_load_b64 v[25:26], v[25:26], off
	s_waitcnt vmcnt(0)
	v_cmp_lt_i64_e64 s15, v[25:26], v[9:10]
	s_delay_alu instid0(VALU_DEP_1) | instskip(SKIP_3) | instid1(VALU_DEP_1)
	v_cndmask_b32_e64 v18, v22, v18, s15
	v_cndmask_b32_e64 v17, v21, v17, s15
	;; [unrolled: 1-line block ×4, first 2 shown]
	v_cmp_ge_u64_e32 vcc_lo, v[12:13], v[17:18]
	s_or_b32 s27, vcc_lo, s27
	s_delay_alu instid0(SALU_CYCLE_1)
	s_and_not1_b32 exec_lo, exec_lo, s27
	s_cbranch_execnz .LBB308_168
; %bb.169:
	s_set_inst_prefetch_distance 0x2
	s_or_b32 exec_lo, exec_lo, s27
.LBB308_170:
	s_delay_alu instid0(SALU_CYCLE_1)
	s_or_b32 exec_lo, exec_lo, s26
                                        ; implicit-def: $vgpr9
	s_and_saveexec_b32 s26, s14
	s_cbranch_execz .LBB308_175
; %bb.171:
	s_waitcnt vmcnt(0) lgkmcnt(0)
	v_mov_b32_e32 v9, 0
	v_mov_b32_e32 v10, 0
	s_and_not1_b32 vcc_lo, exec_lo, s25
	s_cbranch_vccnz .LBB308_175
; %bb.172:
	v_dual_mov_b32 v13, s18 :: v_dual_mov_b32 v14, s19
	s_mov_b32 s27, 0
	s_set_inst_prefetch_distance 0x1
	.p2align	6
.LBB308_173:                            ; =>This Inner Loop Header: Depth=1
	s_delay_alu instid0(VALU_DEP_1) | instskip(NEXT) | instid1(VALU_DEP_2)
	v_sub_co_u32 v17, vcc_lo, v13, v9
	v_sub_co_ci_u32_e32 v18, vcc_lo, v14, v10, vcc_lo
	s_delay_alu instid0(VALU_DEP_1) | instskip(SKIP_1) | instid1(VALU_DEP_2)
	v_lshrrev_b64 v[21:22], 1, v[17:18]
	v_lshrrev_b64 v[17:18], 6, v[17:18]
	v_add_co_u32 v2, vcc_lo, v21, v9
	s_delay_alu instid0(VALU_DEP_3) | instskip(NEXT) | instid1(VALU_DEP_2)
	v_add_co_ci_u32_e32 v6, vcc_lo, v22, v10, vcc_lo
	v_add_co_u32 v17, vcc_lo, v2, v17
	s_delay_alu instid0(VALU_DEP_2) | instskip(NEXT) | instid1(VALU_DEP_1)
	v_add_co_ci_u32_e32 v18, vcc_lo, v6, v18, vcc_lo
	v_lshlrev_b64 v[21:22], 3, v[17:18]
	s_delay_alu instid0(VALU_DEP_1) | instskip(NEXT) | instid1(VALU_DEP_2)
	v_add_co_u32 v21, vcc_lo, s16, v21
	v_add_co_ci_u32_e32 v22, vcc_lo, s17, v22, vcc_lo
	v_add_co_u32 v2, vcc_lo, v17, 1
	v_add_co_ci_u32_e32 v6, vcc_lo, 0, v18, vcc_lo
	global_load_b64 v[21:22], v[21:22], off
	s_waitcnt vmcnt(0)
	v_cmp_lt_i64_e64 s15, v[21:22], v[7:8]
	s_delay_alu instid0(VALU_DEP_1) | instskip(SKIP_3) | instid1(VALU_DEP_1)
	v_cndmask_b32_e64 v14, v18, v14, s15
	v_cndmask_b32_e64 v13, v17, v13, s15
	;; [unrolled: 1-line block ×4, first 2 shown]
	v_cmp_ge_u64_e32 vcc_lo, v[9:10], v[13:14]
	s_or_b32 s27, vcc_lo, s27
	s_delay_alu instid0(SALU_CYCLE_1)
	s_and_not1_b32 exec_lo, exec_lo, s27
	s_cbranch_execnz .LBB308_173
; %bb.174:
	s_set_inst_prefetch_distance 0x2
	s_or_b32 exec_lo, exec_lo, s27
.LBB308_175:
	s_delay_alu instid0(SALU_CYCLE_1)
	s_or_b32 exec_lo, exec_lo, s26
                                        ; implicit-def: $vgpr6
	s_and_saveexec_b32 s26, s24
	s_cbranch_execz .LBB308_180
; %bb.176:
	s_waitcnt vmcnt(0) lgkmcnt(0)
	v_mov_b32_e32 v6, 0
	v_mov_b32_e32 v7, 0
	s_and_not1_b32 vcc_lo, exec_lo, s25
	s_cbranch_vccnz .LBB308_180
; %bb.177:
	v_dual_mov_b32 v13, s18 :: v_dual_mov_b32 v14, s19
	s_mov_b32 s18, 0
	s_set_inst_prefetch_distance 0x1
	.p2align	6
.LBB308_178:                            ; =>This Inner Loop Header: Depth=1
	s_delay_alu instid0(VALU_DEP_1) | instskip(NEXT) | instid1(VALU_DEP_2)
	v_sub_co_u32 v17, vcc_lo, v13, v6
	v_sub_co_ci_u32_e32 v18, vcc_lo, v14, v7, vcc_lo
	s_delay_alu instid0(VALU_DEP_1) | instskip(SKIP_1) | instid1(VALU_DEP_2)
	v_lshrrev_b64 v[21:22], 1, v[17:18]
	v_lshrrev_b64 v[17:18], 6, v[17:18]
	v_add_co_u32 v2, vcc_lo, v21, v6
	s_delay_alu instid0(VALU_DEP_3) | instskip(NEXT) | instid1(VALU_DEP_2)
	v_add_co_ci_u32_e32 v8, vcc_lo, v22, v7, vcc_lo
	v_add_co_u32 v17, vcc_lo, v2, v17
	s_delay_alu instid0(VALU_DEP_2) | instskip(NEXT) | instid1(VALU_DEP_1)
	v_add_co_ci_u32_e32 v18, vcc_lo, v8, v18, vcc_lo
	v_lshlrev_b64 v[21:22], 3, v[17:18]
	s_delay_alu instid0(VALU_DEP_1) | instskip(NEXT) | instid1(VALU_DEP_2)
	v_add_co_u32 v21, vcc_lo, s16, v21
	v_add_co_ci_u32_e32 v22, vcc_lo, s17, v22, vcc_lo
	v_add_co_u32 v2, vcc_lo, v17, 1
	v_add_co_ci_u32_e32 v8, vcc_lo, 0, v18, vcc_lo
	global_load_b64 v[21:22], v[21:22], off
	s_waitcnt vmcnt(0)
	v_cmp_lt_i64_e64 s15, v[21:22], v[3:4]
	s_delay_alu instid0(VALU_DEP_1) | instskip(SKIP_3) | instid1(VALU_DEP_1)
	v_cndmask_b32_e64 v14, v18, v14, s15
	v_cndmask_b32_e64 v13, v17, v13, s15
	;; [unrolled: 1-line block ×4, first 2 shown]
	v_cmp_ge_u64_e32 vcc_lo, v[6:7], v[13:14]
	s_or_b32 s18, vcc_lo, s18
	s_delay_alu instid0(SALU_CYCLE_1)
	s_and_not1_b32 exec_lo, exec_lo, s18
	s_cbranch_execnz .LBB308_178
; %bb.179:
	s_set_inst_prefetch_distance 0x2
	s_or_b32 exec_lo, exec_lo, s18
.LBB308_180:
	s_delay_alu instid0(SALU_CYCLE_1) | instskip(SKIP_2) | instid1(SALU_CYCLE_1)
	s_or_b32 exec_lo, exec_lo, s26
	v_lshlrev_b32_e32 v0, 2, v0
	s_lshl_b64 s[16:17], s[20:21], 2
	s_add_u32 s15, s22, s16
	s_addc_u32 s16, s23, s17
	s_delay_alu instid0(VALU_DEP_1) | instskip(SKIP_3) | instid1(SALU_CYCLE_1)
	v_add_co_u32 v2, s15, s15, v0
	s_waitcnt vmcnt(0) lgkmcnt(0)
	v_add_co_ci_u32_e64 v3, null, s16, 0, s15
	s_and_saveexec_b32 s15, s0
	s_xor_b32 s0, exec_lo, s15
	s_cbranch_execnz .LBB308_200
; %bb.181:
	s_or_b32 exec_lo, exec_lo, s0
	s_and_saveexec_b32 s0, s1
	s_cbranch_execnz .LBB308_201
.LBB308_182:
	s_or_b32 exec_lo, exec_lo, s0
	s_and_saveexec_b32 s0, s2
	s_cbranch_execnz .LBB308_202
.LBB308_183:
	s_or_b32 exec_lo, exec_lo, s0
	s_and_saveexec_b32 s0, s3
	s_cbranch_execnz .LBB308_203
.LBB308_184:
	s_or_b32 exec_lo, exec_lo, s0
	s_and_saveexec_b32 s0, s4
	s_cbranch_execnz .LBB308_204
.LBB308_185:
	s_or_b32 exec_lo, exec_lo, s0
	s_and_saveexec_b32 s0, s5
	s_cbranch_execnz .LBB308_205
.LBB308_186:
	s_or_b32 exec_lo, exec_lo, s0
	s_and_saveexec_b32 s0, s6
	s_cbranch_execnz .LBB308_206
.LBB308_187:
	s_or_b32 exec_lo, exec_lo, s0
	s_and_saveexec_b32 s0, s7
	s_cbranch_execnz .LBB308_207
.LBB308_188:
	s_or_b32 exec_lo, exec_lo, s0
	s_and_saveexec_b32 s0, s8
	s_cbranch_execnz .LBB308_208
.LBB308_189:
	s_or_b32 exec_lo, exec_lo, s0
	s_and_saveexec_b32 s0, s9
	s_cbranch_execnz .LBB308_209
.LBB308_190:
	s_or_b32 exec_lo, exec_lo, s0
	s_and_saveexec_b32 s0, s10
	s_cbranch_execnz .LBB308_210
.LBB308_191:
	s_or_b32 exec_lo, exec_lo, s0
	s_and_saveexec_b32 s0, s11
	s_cbranch_execnz .LBB308_211
.LBB308_192:
	s_or_b32 exec_lo, exec_lo, s0
	s_and_saveexec_b32 s0, s12
	s_cbranch_execnz .LBB308_212
.LBB308_193:
	s_or_b32 exec_lo, exec_lo, s0
	s_and_saveexec_b32 s0, s13
	s_cbranch_execnz .LBB308_213
.LBB308_194:
	s_or_b32 exec_lo, exec_lo, s0
	s_and_saveexec_b32 s0, s14
	s_cbranch_execz .LBB308_196
.LBB308_195:
	flat_store_b32 v[2:3], v9 offset:3584
.LBB308_196:
	s_or_b32 exec_lo, exec_lo, s0
.LBB308_197:
	s_and_saveexec_b32 s0, s24
	s_cbranch_execnz .LBB308_199
; %bb.198:
	s_endpgm
.LBB308_199:
	flat_store_b32 v[2:3], v6 offset:3840
	s_endpgm
.LBB308_200:
	flat_store_b32 v[2:3], v1
	s_or_b32 exec_lo, exec_lo, s0
	s_and_saveexec_b32 s0, s1
	s_cbranch_execz .LBB308_182
.LBB308_201:
	flat_store_b32 v[2:3], v5 offset:256
	s_or_b32 exec_lo, exec_lo, s0
	s_and_saveexec_b32 s0, s2
	s_cbranch_execz .LBB308_183
.LBB308_202:
	flat_store_b32 v[2:3], v11 offset:512
	s_or_b32 exec_lo, exec_lo, s0
	s_and_saveexec_b32 s0, s3
	s_cbranch_execz .LBB308_184
.LBB308_203:
	flat_store_b32 v[2:3], v15 offset:768
	s_or_b32 exec_lo, exec_lo, s0
	s_and_saveexec_b32 s0, s4
	s_cbranch_execz .LBB308_185
.LBB308_204:
	flat_store_b32 v[2:3], v19 offset:1024
	s_or_b32 exec_lo, exec_lo, s0
	s_and_saveexec_b32 s0, s5
	s_cbranch_execz .LBB308_186
.LBB308_205:
	flat_store_b32 v[2:3], v23 offset:1280
	s_or_b32 exec_lo, exec_lo, s0
	s_and_saveexec_b32 s0, s6
	s_cbranch_execz .LBB308_187
.LBB308_206:
	flat_store_b32 v[2:3], v27 offset:1536
	s_or_b32 exec_lo, exec_lo, s0
	s_and_saveexec_b32 s0, s7
	s_cbranch_execz .LBB308_188
.LBB308_207:
	flat_store_b32 v[2:3], v31 offset:1792
	s_or_b32 exec_lo, exec_lo, s0
	s_and_saveexec_b32 s0, s8
	s_cbranch_execz .LBB308_189
.LBB308_208:
	flat_store_b32 v[2:3], v32 offset:2048
	s_or_b32 exec_lo, exec_lo, s0
	s_and_saveexec_b32 s0, s9
	s_cbranch_execz .LBB308_190
.LBB308_209:
	flat_store_b32 v[2:3], v28 offset:2304
	s_or_b32 exec_lo, exec_lo, s0
	s_and_saveexec_b32 s0, s10
	s_cbranch_execz .LBB308_191
.LBB308_210:
	flat_store_b32 v[2:3], v24 offset:2560
	s_or_b32 exec_lo, exec_lo, s0
	s_and_saveexec_b32 s0, s11
	s_cbranch_execz .LBB308_192
.LBB308_211:
	flat_store_b32 v[2:3], v20 offset:2816
	s_or_b32 exec_lo, exec_lo, s0
	s_and_saveexec_b32 s0, s12
	s_cbranch_execz .LBB308_193
.LBB308_212:
	flat_store_b32 v[2:3], v16 offset:3072
	s_or_b32 exec_lo, exec_lo, s0
	s_and_saveexec_b32 s0, s13
	s_cbranch_execz .LBB308_194
.LBB308_213:
	flat_store_b32 v[2:3], v12 offset:3328
	s_or_b32 exec_lo, exec_lo, s0
	s_and_saveexec_b32 s0, s14
	s_cbranch_execnz .LBB308_195
	s_branch .LBB308_196
	.section	.rodata,"a",@progbits
	.p2align	6, 0x0
	.amdhsa_kernel _ZN7rocprim17ROCPRIM_400000_NS6detail17trampoline_kernelINS0_14default_configENS1_27lower_bound_config_selectorIxiEEZNS1_14transform_implILb0ES3_S5_N6thrust23THRUST_200600_302600_NS6detail15normal_iteratorINS8_10device_ptrIxEEEENSA_INSB_IiEEEEZNS1_13binary_searchIS3_S5_SD_SD_SF_NS1_21lower_bound_search_opENS9_16wrapped_functionINS0_4lessIvEEbEEEE10hipError_tPvRmT1_T2_T3_mmT4_T5_P12ihipStream_tbEUlRKxE_EESM_SQ_SR_mSS_SV_bEUlT_E_NS1_11comp_targetILNS1_3genE9ELNS1_11target_archE1100ELNS1_3gpuE3ELNS1_3repE0EEENS1_30default_config_static_selectorELNS0_4arch9wavefront6targetE0EEEvSP_
		.amdhsa_group_segment_fixed_size 0
		.amdhsa_private_segment_fixed_size 0
		.amdhsa_kernarg_size 312
		.amdhsa_user_sgpr_count 15
		.amdhsa_user_sgpr_dispatch_ptr 0
		.amdhsa_user_sgpr_queue_ptr 0
		.amdhsa_user_sgpr_kernarg_segment_ptr 1
		.amdhsa_user_sgpr_dispatch_id 0
		.amdhsa_user_sgpr_private_segment_size 0
		.amdhsa_wavefront_size32 1
		.amdhsa_uses_dynamic_stack 0
		.amdhsa_enable_private_segment 0
		.amdhsa_system_sgpr_workgroup_id_x 1
		.amdhsa_system_sgpr_workgroup_id_y 0
		.amdhsa_system_sgpr_workgroup_id_z 0
		.amdhsa_system_sgpr_workgroup_info 0
		.amdhsa_system_vgpr_workitem_id 0
		.amdhsa_next_free_vgpr 42
		.amdhsa_next_free_sgpr 28
		.amdhsa_reserve_vcc 1
		.amdhsa_float_round_mode_32 0
		.amdhsa_float_round_mode_16_64 0
		.amdhsa_float_denorm_mode_32 3
		.amdhsa_float_denorm_mode_16_64 3
		.amdhsa_dx10_clamp 1
		.amdhsa_ieee_mode 1
		.amdhsa_fp16_overflow 0
		.amdhsa_workgroup_processor_mode 1
		.amdhsa_memory_ordered 1
		.amdhsa_forward_progress 0
		.amdhsa_shared_vgpr_count 0
		.amdhsa_exception_fp_ieee_invalid_op 0
		.amdhsa_exception_fp_denorm_src 0
		.amdhsa_exception_fp_ieee_div_zero 0
		.amdhsa_exception_fp_ieee_overflow 0
		.amdhsa_exception_fp_ieee_underflow 0
		.amdhsa_exception_fp_ieee_inexact 0
		.amdhsa_exception_int_div_zero 0
	.end_amdhsa_kernel
	.section	.text._ZN7rocprim17ROCPRIM_400000_NS6detail17trampoline_kernelINS0_14default_configENS1_27lower_bound_config_selectorIxiEEZNS1_14transform_implILb0ES3_S5_N6thrust23THRUST_200600_302600_NS6detail15normal_iteratorINS8_10device_ptrIxEEEENSA_INSB_IiEEEEZNS1_13binary_searchIS3_S5_SD_SD_SF_NS1_21lower_bound_search_opENS9_16wrapped_functionINS0_4lessIvEEbEEEE10hipError_tPvRmT1_T2_T3_mmT4_T5_P12ihipStream_tbEUlRKxE_EESM_SQ_SR_mSS_SV_bEUlT_E_NS1_11comp_targetILNS1_3genE9ELNS1_11target_archE1100ELNS1_3gpuE3ELNS1_3repE0EEENS1_30default_config_static_selectorELNS0_4arch9wavefront6targetE0EEEvSP_,"axG",@progbits,_ZN7rocprim17ROCPRIM_400000_NS6detail17trampoline_kernelINS0_14default_configENS1_27lower_bound_config_selectorIxiEEZNS1_14transform_implILb0ES3_S5_N6thrust23THRUST_200600_302600_NS6detail15normal_iteratorINS8_10device_ptrIxEEEENSA_INSB_IiEEEEZNS1_13binary_searchIS3_S5_SD_SD_SF_NS1_21lower_bound_search_opENS9_16wrapped_functionINS0_4lessIvEEbEEEE10hipError_tPvRmT1_T2_T3_mmT4_T5_P12ihipStream_tbEUlRKxE_EESM_SQ_SR_mSS_SV_bEUlT_E_NS1_11comp_targetILNS1_3genE9ELNS1_11target_archE1100ELNS1_3gpuE3ELNS1_3repE0EEENS1_30default_config_static_selectorELNS0_4arch9wavefront6targetE0EEEvSP_,comdat
.Lfunc_end308:
	.size	_ZN7rocprim17ROCPRIM_400000_NS6detail17trampoline_kernelINS0_14default_configENS1_27lower_bound_config_selectorIxiEEZNS1_14transform_implILb0ES3_S5_N6thrust23THRUST_200600_302600_NS6detail15normal_iteratorINS8_10device_ptrIxEEEENSA_INSB_IiEEEEZNS1_13binary_searchIS3_S5_SD_SD_SF_NS1_21lower_bound_search_opENS9_16wrapped_functionINS0_4lessIvEEbEEEE10hipError_tPvRmT1_T2_T3_mmT4_T5_P12ihipStream_tbEUlRKxE_EESM_SQ_SR_mSS_SV_bEUlT_E_NS1_11comp_targetILNS1_3genE9ELNS1_11target_archE1100ELNS1_3gpuE3ELNS1_3repE0EEENS1_30default_config_static_selectorELNS0_4arch9wavefront6targetE0EEEvSP_, .Lfunc_end308-_ZN7rocprim17ROCPRIM_400000_NS6detail17trampoline_kernelINS0_14default_configENS1_27lower_bound_config_selectorIxiEEZNS1_14transform_implILb0ES3_S5_N6thrust23THRUST_200600_302600_NS6detail15normal_iteratorINS8_10device_ptrIxEEEENSA_INSB_IiEEEEZNS1_13binary_searchIS3_S5_SD_SD_SF_NS1_21lower_bound_search_opENS9_16wrapped_functionINS0_4lessIvEEbEEEE10hipError_tPvRmT1_T2_T3_mmT4_T5_P12ihipStream_tbEUlRKxE_EESM_SQ_SR_mSS_SV_bEUlT_E_NS1_11comp_targetILNS1_3genE9ELNS1_11target_archE1100ELNS1_3gpuE3ELNS1_3repE0EEENS1_30default_config_static_selectorELNS0_4arch9wavefront6targetE0EEEvSP_
                                        ; -- End function
	.section	.AMDGPU.csdata,"",@progbits
; Kernel info:
; codeLenInByte = 9560
; NumSgprs: 30
; NumVgprs: 42
; ScratchSize: 0
; MemoryBound: 0
; FloatMode: 240
; IeeeMode: 1
; LDSByteSize: 0 bytes/workgroup (compile time only)
; SGPRBlocks: 3
; VGPRBlocks: 5
; NumSGPRsForWavesPerEU: 30
; NumVGPRsForWavesPerEU: 42
; Occupancy: 16
; WaveLimiterHint : 1
; COMPUTE_PGM_RSRC2:SCRATCH_EN: 0
; COMPUTE_PGM_RSRC2:USER_SGPR: 15
; COMPUTE_PGM_RSRC2:TRAP_HANDLER: 0
; COMPUTE_PGM_RSRC2:TGID_X_EN: 1
; COMPUTE_PGM_RSRC2:TGID_Y_EN: 0
; COMPUTE_PGM_RSRC2:TGID_Z_EN: 0
; COMPUTE_PGM_RSRC2:TIDIG_COMP_CNT: 0
	.section	.text._ZN7rocprim17ROCPRIM_400000_NS6detail17trampoline_kernelINS0_14default_configENS1_27lower_bound_config_selectorIxiEEZNS1_14transform_implILb0ES3_S5_N6thrust23THRUST_200600_302600_NS6detail15normal_iteratorINS8_10device_ptrIxEEEENSA_INSB_IiEEEEZNS1_13binary_searchIS3_S5_SD_SD_SF_NS1_21lower_bound_search_opENS9_16wrapped_functionINS0_4lessIvEEbEEEE10hipError_tPvRmT1_T2_T3_mmT4_T5_P12ihipStream_tbEUlRKxE_EESM_SQ_SR_mSS_SV_bEUlT_E_NS1_11comp_targetILNS1_3genE8ELNS1_11target_archE1030ELNS1_3gpuE2ELNS1_3repE0EEENS1_30default_config_static_selectorELNS0_4arch9wavefront6targetE0EEEvSP_,"axG",@progbits,_ZN7rocprim17ROCPRIM_400000_NS6detail17trampoline_kernelINS0_14default_configENS1_27lower_bound_config_selectorIxiEEZNS1_14transform_implILb0ES3_S5_N6thrust23THRUST_200600_302600_NS6detail15normal_iteratorINS8_10device_ptrIxEEEENSA_INSB_IiEEEEZNS1_13binary_searchIS3_S5_SD_SD_SF_NS1_21lower_bound_search_opENS9_16wrapped_functionINS0_4lessIvEEbEEEE10hipError_tPvRmT1_T2_T3_mmT4_T5_P12ihipStream_tbEUlRKxE_EESM_SQ_SR_mSS_SV_bEUlT_E_NS1_11comp_targetILNS1_3genE8ELNS1_11target_archE1030ELNS1_3gpuE2ELNS1_3repE0EEENS1_30default_config_static_selectorELNS0_4arch9wavefront6targetE0EEEvSP_,comdat
	.protected	_ZN7rocprim17ROCPRIM_400000_NS6detail17trampoline_kernelINS0_14default_configENS1_27lower_bound_config_selectorIxiEEZNS1_14transform_implILb0ES3_S5_N6thrust23THRUST_200600_302600_NS6detail15normal_iteratorINS8_10device_ptrIxEEEENSA_INSB_IiEEEEZNS1_13binary_searchIS3_S5_SD_SD_SF_NS1_21lower_bound_search_opENS9_16wrapped_functionINS0_4lessIvEEbEEEE10hipError_tPvRmT1_T2_T3_mmT4_T5_P12ihipStream_tbEUlRKxE_EESM_SQ_SR_mSS_SV_bEUlT_E_NS1_11comp_targetILNS1_3genE8ELNS1_11target_archE1030ELNS1_3gpuE2ELNS1_3repE0EEENS1_30default_config_static_selectorELNS0_4arch9wavefront6targetE0EEEvSP_ ; -- Begin function _ZN7rocprim17ROCPRIM_400000_NS6detail17trampoline_kernelINS0_14default_configENS1_27lower_bound_config_selectorIxiEEZNS1_14transform_implILb0ES3_S5_N6thrust23THRUST_200600_302600_NS6detail15normal_iteratorINS8_10device_ptrIxEEEENSA_INSB_IiEEEEZNS1_13binary_searchIS3_S5_SD_SD_SF_NS1_21lower_bound_search_opENS9_16wrapped_functionINS0_4lessIvEEbEEEE10hipError_tPvRmT1_T2_T3_mmT4_T5_P12ihipStream_tbEUlRKxE_EESM_SQ_SR_mSS_SV_bEUlT_E_NS1_11comp_targetILNS1_3genE8ELNS1_11target_archE1030ELNS1_3gpuE2ELNS1_3repE0EEENS1_30default_config_static_selectorELNS0_4arch9wavefront6targetE0EEEvSP_
	.globl	_ZN7rocprim17ROCPRIM_400000_NS6detail17trampoline_kernelINS0_14default_configENS1_27lower_bound_config_selectorIxiEEZNS1_14transform_implILb0ES3_S5_N6thrust23THRUST_200600_302600_NS6detail15normal_iteratorINS8_10device_ptrIxEEEENSA_INSB_IiEEEEZNS1_13binary_searchIS3_S5_SD_SD_SF_NS1_21lower_bound_search_opENS9_16wrapped_functionINS0_4lessIvEEbEEEE10hipError_tPvRmT1_T2_T3_mmT4_T5_P12ihipStream_tbEUlRKxE_EESM_SQ_SR_mSS_SV_bEUlT_E_NS1_11comp_targetILNS1_3genE8ELNS1_11target_archE1030ELNS1_3gpuE2ELNS1_3repE0EEENS1_30default_config_static_selectorELNS0_4arch9wavefront6targetE0EEEvSP_
	.p2align	8
	.type	_ZN7rocprim17ROCPRIM_400000_NS6detail17trampoline_kernelINS0_14default_configENS1_27lower_bound_config_selectorIxiEEZNS1_14transform_implILb0ES3_S5_N6thrust23THRUST_200600_302600_NS6detail15normal_iteratorINS8_10device_ptrIxEEEENSA_INSB_IiEEEEZNS1_13binary_searchIS3_S5_SD_SD_SF_NS1_21lower_bound_search_opENS9_16wrapped_functionINS0_4lessIvEEbEEEE10hipError_tPvRmT1_T2_T3_mmT4_T5_P12ihipStream_tbEUlRKxE_EESM_SQ_SR_mSS_SV_bEUlT_E_NS1_11comp_targetILNS1_3genE8ELNS1_11target_archE1030ELNS1_3gpuE2ELNS1_3repE0EEENS1_30default_config_static_selectorELNS0_4arch9wavefront6targetE0EEEvSP_,@function
_ZN7rocprim17ROCPRIM_400000_NS6detail17trampoline_kernelINS0_14default_configENS1_27lower_bound_config_selectorIxiEEZNS1_14transform_implILb0ES3_S5_N6thrust23THRUST_200600_302600_NS6detail15normal_iteratorINS8_10device_ptrIxEEEENSA_INSB_IiEEEEZNS1_13binary_searchIS3_S5_SD_SD_SF_NS1_21lower_bound_search_opENS9_16wrapped_functionINS0_4lessIvEEbEEEE10hipError_tPvRmT1_T2_T3_mmT4_T5_P12ihipStream_tbEUlRKxE_EESM_SQ_SR_mSS_SV_bEUlT_E_NS1_11comp_targetILNS1_3genE8ELNS1_11target_archE1030ELNS1_3gpuE2ELNS1_3repE0EEENS1_30default_config_static_selectorELNS0_4arch9wavefront6targetE0EEEvSP_: ; @_ZN7rocprim17ROCPRIM_400000_NS6detail17trampoline_kernelINS0_14default_configENS1_27lower_bound_config_selectorIxiEEZNS1_14transform_implILb0ES3_S5_N6thrust23THRUST_200600_302600_NS6detail15normal_iteratorINS8_10device_ptrIxEEEENSA_INSB_IiEEEEZNS1_13binary_searchIS3_S5_SD_SD_SF_NS1_21lower_bound_search_opENS9_16wrapped_functionINS0_4lessIvEEbEEEE10hipError_tPvRmT1_T2_T3_mmT4_T5_P12ihipStream_tbEUlRKxE_EESM_SQ_SR_mSS_SV_bEUlT_E_NS1_11comp_targetILNS1_3genE8ELNS1_11target_archE1030ELNS1_3gpuE2ELNS1_3repE0EEENS1_30default_config_static_selectorELNS0_4arch9wavefront6targetE0EEEvSP_
; %bb.0:
	.section	.rodata,"a",@progbits
	.p2align	6, 0x0
	.amdhsa_kernel _ZN7rocprim17ROCPRIM_400000_NS6detail17trampoline_kernelINS0_14default_configENS1_27lower_bound_config_selectorIxiEEZNS1_14transform_implILb0ES3_S5_N6thrust23THRUST_200600_302600_NS6detail15normal_iteratorINS8_10device_ptrIxEEEENSA_INSB_IiEEEEZNS1_13binary_searchIS3_S5_SD_SD_SF_NS1_21lower_bound_search_opENS9_16wrapped_functionINS0_4lessIvEEbEEEE10hipError_tPvRmT1_T2_T3_mmT4_T5_P12ihipStream_tbEUlRKxE_EESM_SQ_SR_mSS_SV_bEUlT_E_NS1_11comp_targetILNS1_3genE8ELNS1_11target_archE1030ELNS1_3gpuE2ELNS1_3repE0EEENS1_30default_config_static_selectorELNS0_4arch9wavefront6targetE0EEEvSP_
		.amdhsa_group_segment_fixed_size 0
		.amdhsa_private_segment_fixed_size 0
		.amdhsa_kernarg_size 56
		.amdhsa_user_sgpr_count 15
		.amdhsa_user_sgpr_dispatch_ptr 0
		.amdhsa_user_sgpr_queue_ptr 0
		.amdhsa_user_sgpr_kernarg_segment_ptr 1
		.amdhsa_user_sgpr_dispatch_id 0
		.amdhsa_user_sgpr_private_segment_size 0
		.amdhsa_wavefront_size32 1
		.amdhsa_uses_dynamic_stack 0
		.amdhsa_enable_private_segment 0
		.amdhsa_system_sgpr_workgroup_id_x 1
		.amdhsa_system_sgpr_workgroup_id_y 0
		.amdhsa_system_sgpr_workgroup_id_z 0
		.amdhsa_system_sgpr_workgroup_info 0
		.amdhsa_system_vgpr_workitem_id 0
		.amdhsa_next_free_vgpr 1
		.amdhsa_next_free_sgpr 1
		.amdhsa_reserve_vcc 0
		.amdhsa_float_round_mode_32 0
		.amdhsa_float_round_mode_16_64 0
		.amdhsa_float_denorm_mode_32 3
		.amdhsa_float_denorm_mode_16_64 3
		.amdhsa_dx10_clamp 1
		.amdhsa_ieee_mode 1
		.amdhsa_fp16_overflow 0
		.amdhsa_workgroup_processor_mode 1
		.amdhsa_memory_ordered 1
		.amdhsa_forward_progress 0
		.amdhsa_shared_vgpr_count 0
		.amdhsa_exception_fp_ieee_invalid_op 0
		.amdhsa_exception_fp_denorm_src 0
		.amdhsa_exception_fp_ieee_div_zero 0
		.amdhsa_exception_fp_ieee_overflow 0
		.amdhsa_exception_fp_ieee_underflow 0
		.amdhsa_exception_fp_ieee_inexact 0
		.amdhsa_exception_int_div_zero 0
	.end_amdhsa_kernel
	.section	.text._ZN7rocprim17ROCPRIM_400000_NS6detail17trampoline_kernelINS0_14default_configENS1_27lower_bound_config_selectorIxiEEZNS1_14transform_implILb0ES3_S5_N6thrust23THRUST_200600_302600_NS6detail15normal_iteratorINS8_10device_ptrIxEEEENSA_INSB_IiEEEEZNS1_13binary_searchIS3_S5_SD_SD_SF_NS1_21lower_bound_search_opENS9_16wrapped_functionINS0_4lessIvEEbEEEE10hipError_tPvRmT1_T2_T3_mmT4_T5_P12ihipStream_tbEUlRKxE_EESM_SQ_SR_mSS_SV_bEUlT_E_NS1_11comp_targetILNS1_3genE8ELNS1_11target_archE1030ELNS1_3gpuE2ELNS1_3repE0EEENS1_30default_config_static_selectorELNS0_4arch9wavefront6targetE0EEEvSP_,"axG",@progbits,_ZN7rocprim17ROCPRIM_400000_NS6detail17trampoline_kernelINS0_14default_configENS1_27lower_bound_config_selectorIxiEEZNS1_14transform_implILb0ES3_S5_N6thrust23THRUST_200600_302600_NS6detail15normal_iteratorINS8_10device_ptrIxEEEENSA_INSB_IiEEEEZNS1_13binary_searchIS3_S5_SD_SD_SF_NS1_21lower_bound_search_opENS9_16wrapped_functionINS0_4lessIvEEbEEEE10hipError_tPvRmT1_T2_T3_mmT4_T5_P12ihipStream_tbEUlRKxE_EESM_SQ_SR_mSS_SV_bEUlT_E_NS1_11comp_targetILNS1_3genE8ELNS1_11target_archE1030ELNS1_3gpuE2ELNS1_3repE0EEENS1_30default_config_static_selectorELNS0_4arch9wavefront6targetE0EEEvSP_,comdat
.Lfunc_end309:
	.size	_ZN7rocprim17ROCPRIM_400000_NS6detail17trampoline_kernelINS0_14default_configENS1_27lower_bound_config_selectorIxiEEZNS1_14transform_implILb0ES3_S5_N6thrust23THRUST_200600_302600_NS6detail15normal_iteratorINS8_10device_ptrIxEEEENSA_INSB_IiEEEEZNS1_13binary_searchIS3_S5_SD_SD_SF_NS1_21lower_bound_search_opENS9_16wrapped_functionINS0_4lessIvEEbEEEE10hipError_tPvRmT1_T2_T3_mmT4_T5_P12ihipStream_tbEUlRKxE_EESM_SQ_SR_mSS_SV_bEUlT_E_NS1_11comp_targetILNS1_3genE8ELNS1_11target_archE1030ELNS1_3gpuE2ELNS1_3repE0EEENS1_30default_config_static_selectorELNS0_4arch9wavefront6targetE0EEEvSP_, .Lfunc_end309-_ZN7rocprim17ROCPRIM_400000_NS6detail17trampoline_kernelINS0_14default_configENS1_27lower_bound_config_selectorIxiEEZNS1_14transform_implILb0ES3_S5_N6thrust23THRUST_200600_302600_NS6detail15normal_iteratorINS8_10device_ptrIxEEEENSA_INSB_IiEEEEZNS1_13binary_searchIS3_S5_SD_SD_SF_NS1_21lower_bound_search_opENS9_16wrapped_functionINS0_4lessIvEEbEEEE10hipError_tPvRmT1_T2_T3_mmT4_T5_P12ihipStream_tbEUlRKxE_EESM_SQ_SR_mSS_SV_bEUlT_E_NS1_11comp_targetILNS1_3genE8ELNS1_11target_archE1030ELNS1_3gpuE2ELNS1_3repE0EEENS1_30default_config_static_selectorELNS0_4arch9wavefront6targetE0EEEvSP_
                                        ; -- End function
	.section	.AMDGPU.csdata,"",@progbits
; Kernel info:
; codeLenInByte = 0
; NumSgprs: 0
; NumVgprs: 0
; ScratchSize: 0
; MemoryBound: 0
; FloatMode: 240
; IeeeMode: 1
; LDSByteSize: 0 bytes/workgroup (compile time only)
; SGPRBlocks: 0
; VGPRBlocks: 0
; NumSGPRsForWavesPerEU: 1
; NumVGPRsForWavesPerEU: 1
; Occupancy: 16
; WaveLimiterHint : 0
; COMPUTE_PGM_RSRC2:SCRATCH_EN: 0
; COMPUTE_PGM_RSRC2:USER_SGPR: 15
; COMPUTE_PGM_RSRC2:TRAP_HANDLER: 0
; COMPUTE_PGM_RSRC2:TGID_X_EN: 1
; COMPUTE_PGM_RSRC2:TGID_Y_EN: 0
; COMPUTE_PGM_RSRC2:TGID_Z_EN: 0
; COMPUTE_PGM_RSRC2:TIDIG_COMP_CNT: 0
	.section	.text._ZN6thrust23THRUST_200600_302600_NS11hip_rocprim14__parallel_for6kernelILj256ENS1_10__tabulate7functorINS0_6detail15normal_iteratorINS0_10device_ptrIiEEEENS0_6system6detail7generic6detail22compute_sequence_valueIivEElEElLj1EEEvT0_T1_SJ_,"axG",@progbits,_ZN6thrust23THRUST_200600_302600_NS11hip_rocprim14__parallel_for6kernelILj256ENS1_10__tabulate7functorINS0_6detail15normal_iteratorINS0_10device_ptrIiEEEENS0_6system6detail7generic6detail22compute_sequence_valueIivEElEElLj1EEEvT0_T1_SJ_,comdat
	.protected	_ZN6thrust23THRUST_200600_302600_NS11hip_rocprim14__parallel_for6kernelILj256ENS1_10__tabulate7functorINS0_6detail15normal_iteratorINS0_10device_ptrIiEEEENS0_6system6detail7generic6detail22compute_sequence_valueIivEElEElLj1EEEvT0_T1_SJ_ ; -- Begin function _ZN6thrust23THRUST_200600_302600_NS11hip_rocprim14__parallel_for6kernelILj256ENS1_10__tabulate7functorINS0_6detail15normal_iteratorINS0_10device_ptrIiEEEENS0_6system6detail7generic6detail22compute_sequence_valueIivEElEElLj1EEEvT0_T1_SJ_
	.globl	_ZN6thrust23THRUST_200600_302600_NS11hip_rocprim14__parallel_for6kernelILj256ENS1_10__tabulate7functorINS0_6detail15normal_iteratorINS0_10device_ptrIiEEEENS0_6system6detail7generic6detail22compute_sequence_valueIivEElEElLj1EEEvT0_T1_SJ_
	.p2align	8
	.type	_ZN6thrust23THRUST_200600_302600_NS11hip_rocprim14__parallel_for6kernelILj256ENS1_10__tabulate7functorINS0_6detail15normal_iteratorINS0_10device_ptrIiEEEENS0_6system6detail7generic6detail22compute_sequence_valueIivEElEElLj1EEEvT0_T1_SJ_,@function
_ZN6thrust23THRUST_200600_302600_NS11hip_rocprim14__parallel_for6kernelILj256ENS1_10__tabulate7functorINS0_6detail15normal_iteratorINS0_10device_ptrIiEEEENS0_6system6detail7generic6detail22compute_sequence_valueIivEElEElLj1EEEvT0_T1_SJ_: ; @_ZN6thrust23THRUST_200600_302600_NS11hip_rocprim14__parallel_for6kernelILj256ENS1_10__tabulate7functorINS0_6detail15normal_iteratorINS0_10device_ptrIiEEEENS0_6system6detail7generic6detail22compute_sequence_valueIivEElEElLj1EEEvT0_T1_SJ_
; %bb.0:
	s_load_b128 s[4:7], s[0:1], 0x10
	s_lshl_b32 s2, s15, 8
	s_waitcnt lgkmcnt(0)
	s_add_u32 s2, s2, s6
	s_addc_u32 s3, 0, s7
	s_sub_u32 s4, s4, s2
	s_subb_u32 s5, s5, s3
	s_delay_alu instid0(SALU_CYCLE_1) | instskip(NEXT) | instid1(VALU_DEP_1)
	v_cmp_gt_i64_e64 s5, 0x100, s[4:5]
	s_and_b32 s5, s5, exec_lo
	s_cselect_b32 s4, s4, 0x100
	s_delay_alu instid0(SALU_CYCLE_1) | instskip(SKIP_2) | instid1(SALU_CYCLE_1)
	v_cmp_gt_u32_e32 vcc_lo, s4, v0
	s_cmpk_eq_i32 s4, 0x100
	s_cselect_b32 s4, -1, 0
	s_or_b32 s4, s4, vcc_lo
	s_delay_alu instid0(SALU_CYCLE_1)
	s_and_saveexec_b32 s5, s4
	s_cbranch_execz .LBB310_2
; %bb.1:
	s_load_b128 s[4:7], s[0:1], 0x0
	v_add_co_u32 v0, s0, s2, v0
	s_delay_alu instid0(VALU_DEP_1) | instskip(NEXT) | instid1(VALU_DEP_1)
	v_add_co_ci_u32_e64 v1, null, s3, 0, s0
	v_lshlrev_b64 v[1:2], 2, v[0:1]
	s_waitcnt lgkmcnt(0)
	v_mad_u64_u32 v[3:4], null, s7, v0, s[6:7]
	s_delay_alu instid0(VALU_DEP_2) | instskip(NEXT) | instid1(VALU_DEP_3)
	v_add_co_u32 v0, vcc_lo, s4, v1
	v_add_co_ci_u32_e32 v1, vcc_lo, s5, v2, vcc_lo
	flat_store_b32 v[0:1], v3
.LBB310_2:
	s_endpgm
	.section	.rodata,"a",@progbits
	.p2align	6, 0x0
	.amdhsa_kernel _ZN6thrust23THRUST_200600_302600_NS11hip_rocprim14__parallel_for6kernelILj256ENS1_10__tabulate7functorINS0_6detail15normal_iteratorINS0_10device_ptrIiEEEENS0_6system6detail7generic6detail22compute_sequence_valueIivEElEElLj1EEEvT0_T1_SJ_
		.amdhsa_group_segment_fixed_size 0
		.amdhsa_private_segment_fixed_size 0
		.amdhsa_kernarg_size 32
		.amdhsa_user_sgpr_count 15
		.amdhsa_user_sgpr_dispatch_ptr 0
		.amdhsa_user_sgpr_queue_ptr 0
		.amdhsa_user_sgpr_kernarg_segment_ptr 1
		.amdhsa_user_sgpr_dispatch_id 0
		.amdhsa_user_sgpr_private_segment_size 0
		.amdhsa_wavefront_size32 1
		.amdhsa_uses_dynamic_stack 0
		.amdhsa_enable_private_segment 0
		.amdhsa_system_sgpr_workgroup_id_x 1
		.amdhsa_system_sgpr_workgroup_id_y 0
		.amdhsa_system_sgpr_workgroup_id_z 0
		.amdhsa_system_sgpr_workgroup_info 0
		.amdhsa_system_vgpr_workitem_id 0
		.amdhsa_next_free_vgpr 5
		.amdhsa_next_free_sgpr 16
		.amdhsa_reserve_vcc 1
		.amdhsa_float_round_mode_32 0
		.amdhsa_float_round_mode_16_64 0
		.amdhsa_float_denorm_mode_32 3
		.amdhsa_float_denorm_mode_16_64 3
		.amdhsa_dx10_clamp 1
		.amdhsa_ieee_mode 1
		.amdhsa_fp16_overflow 0
		.amdhsa_workgroup_processor_mode 1
		.amdhsa_memory_ordered 1
		.amdhsa_forward_progress 0
		.amdhsa_shared_vgpr_count 0
		.amdhsa_exception_fp_ieee_invalid_op 0
		.amdhsa_exception_fp_denorm_src 0
		.amdhsa_exception_fp_ieee_div_zero 0
		.amdhsa_exception_fp_ieee_overflow 0
		.amdhsa_exception_fp_ieee_underflow 0
		.amdhsa_exception_fp_ieee_inexact 0
		.amdhsa_exception_int_div_zero 0
	.end_amdhsa_kernel
	.section	.text._ZN6thrust23THRUST_200600_302600_NS11hip_rocprim14__parallel_for6kernelILj256ENS1_10__tabulate7functorINS0_6detail15normal_iteratorINS0_10device_ptrIiEEEENS0_6system6detail7generic6detail22compute_sequence_valueIivEElEElLj1EEEvT0_T1_SJ_,"axG",@progbits,_ZN6thrust23THRUST_200600_302600_NS11hip_rocprim14__parallel_for6kernelILj256ENS1_10__tabulate7functorINS0_6detail15normal_iteratorINS0_10device_ptrIiEEEENS0_6system6detail7generic6detail22compute_sequence_valueIivEElEElLj1EEEvT0_T1_SJ_,comdat
.Lfunc_end310:
	.size	_ZN6thrust23THRUST_200600_302600_NS11hip_rocprim14__parallel_for6kernelILj256ENS1_10__tabulate7functorINS0_6detail15normal_iteratorINS0_10device_ptrIiEEEENS0_6system6detail7generic6detail22compute_sequence_valueIivEElEElLj1EEEvT0_T1_SJ_, .Lfunc_end310-_ZN6thrust23THRUST_200600_302600_NS11hip_rocprim14__parallel_for6kernelILj256ENS1_10__tabulate7functorINS0_6detail15normal_iteratorINS0_10device_ptrIiEEEENS0_6system6detail7generic6detail22compute_sequence_valueIivEElEElLj1EEEvT0_T1_SJ_
                                        ; -- End function
	.section	.AMDGPU.csdata,"",@progbits
; Kernel info:
; codeLenInByte = 168
; NumSgprs: 18
; NumVgprs: 5
; ScratchSize: 0
; MemoryBound: 0
; FloatMode: 240
; IeeeMode: 1
; LDSByteSize: 0 bytes/workgroup (compile time only)
; SGPRBlocks: 2
; VGPRBlocks: 0
; NumSGPRsForWavesPerEU: 18
; NumVGPRsForWavesPerEU: 5
; Occupancy: 16
; WaveLimiterHint : 0
; COMPUTE_PGM_RSRC2:SCRATCH_EN: 0
; COMPUTE_PGM_RSRC2:USER_SGPR: 15
; COMPUTE_PGM_RSRC2:TRAP_HANDLER: 0
; COMPUTE_PGM_RSRC2:TGID_X_EN: 1
; COMPUTE_PGM_RSRC2:TGID_Y_EN: 0
; COMPUTE_PGM_RSRC2:TGID_Z_EN: 0
; COMPUTE_PGM_RSRC2:TIDIG_COMP_CNT: 0
	.section	.text._ZN7rocprim17ROCPRIM_400000_NS6detail17trampoline_kernelINS0_14default_configENS1_27lower_bound_config_selectorIiiEEZNS1_14transform_implILb0ES3_S5_N6thrust23THRUST_200600_302600_NS6detail15normal_iteratorINS8_10device_ptrIiEEEESD_ZNS1_13binary_searchIS3_S5_SD_SD_SD_NS1_21lower_bound_search_opENS9_16wrapped_functionINS0_4lessIvEEbEEEE10hipError_tPvRmT1_T2_T3_mmT4_T5_P12ihipStream_tbEUlRKiE_EESK_SO_SP_mSQ_ST_bEUlT_E_NS1_11comp_targetILNS1_3genE0ELNS1_11target_archE4294967295ELNS1_3gpuE0ELNS1_3repE0EEENS1_30default_config_static_selectorELNS0_4arch9wavefront6targetE0EEEvSN_,"axG",@progbits,_ZN7rocprim17ROCPRIM_400000_NS6detail17trampoline_kernelINS0_14default_configENS1_27lower_bound_config_selectorIiiEEZNS1_14transform_implILb0ES3_S5_N6thrust23THRUST_200600_302600_NS6detail15normal_iteratorINS8_10device_ptrIiEEEESD_ZNS1_13binary_searchIS3_S5_SD_SD_SD_NS1_21lower_bound_search_opENS9_16wrapped_functionINS0_4lessIvEEbEEEE10hipError_tPvRmT1_T2_T3_mmT4_T5_P12ihipStream_tbEUlRKiE_EESK_SO_SP_mSQ_ST_bEUlT_E_NS1_11comp_targetILNS1_3genE0ELNS1_11target_archE4294967295ELNS1_3gpuE0ELNS1_3repE0EEENS1_30default_config_static_selectorELNS0_4arch9wavefront6targetE0EEEvSN_,comdat
	.protected	_ZN7rocprim17ROCPRIM_400000_NS6detail17trampoline_kernelINS0_14default_configENS1_27lower_bound_config_selectorIiiEEZNS1_14transform_implILb0ES3_S5_N6thrust23THRUST_200600_302600_NS6detail15normal_iteratorINS8_10device_ptrIiEEEESD_ZNS1_13binary_searchIS3_S5_SD_SD_SD_NS1_21lower_bound_search_opENS9_16wrapped_functionINS0_4lessIvEEbEEEE10hipError_tPvRmT1_T2_T3_mmT4_T5_P12ihipStream_tbEUlRKiE_EESK_SO_SP_mSQ_ST_bEUlT_E_NS1_11comp_targetILNS1_3genE0ELNS1_11target_archE4294967295ELNS1_3gpuE0ELNS1_3repE0EEENS1_30default_config_static_selectorELNS0_4arch9wavefront6targetE0EEEvSN_ ; -- Begin function _ZN7rocprim17ROCPRIM_400000_NS6detail17trampoline_kernelINS0_14default_configENS1_27lower_bound_config_selectorIiiEEZNS1_14transform_implILb0ES3_S5_N6thrust23THRUST_200600_302600_NS6detail15normal_iteratorINS8_10device_ptrIiEEEESD_ZNS1_13binary_searchIS3_S5_SD_SD_SD_NS1_21lower_bound_search_opENS9_16wrapped_functionINS0_4lessIvEEbEEEE10hipError_tPvRmT1_T2_T3_mmT4_T5_P12ihipStream_tbEUlRKiE_EESK_SO_SP_mSQ_ST_bEUlT_E_NS1_11comp_targetILNS1_3genE0ELNS1_11target_archE4294967295ELNS1_3gpuE0ELNS1_3repE0EEENS1_30default_config_static_selectorELNS0_4arch9wavefront6targetE0EEEvSN_
	.globl	_ZN7rocprim17ROCPRIM_400000_NS6detail17trampoline_kernelINS0_14default_configENS1_27lower_bound_config_selectorIiiEEZNS1_14transform_implILb0ES3_S5_N6thrust23THRUST_200600_302600_NS6detail15normal_iteratorINS8_10device_ptrIiEEEESD_ZNS1_13binary_searchIS3_S5_SD_SD_SD_NS1_21lower_bound_search_opENS9_16wrapped_functionINS0_4lessIvEEbEEEE10hipError_tPvRmT1_T2_T3_mmT4_T5_P12ihipStream_tbEUlRKiE_EESK_SO_SP_mSQ_ST_bEUlT_E_NS1_11comp_targetILNS1_3genE0ELNS1_11target_archE4294967295ELNS1_3gpuE0ELNS1_3repE0EEENS1_30default_config_static_selectorELNS0_4arch9wavefront6targetE0EEEvSN_
	.p2align	8
	.type	_ZN7rocprim17ROCPRIM_400000_NS6detail17trampoline_kernelINS0_14default_configENS1_27lower_bound_config_selectorIiiEEZNS1_14transform_implILb0ES3_S5_N6thrust23THRUST_200600_302600_NS6detail15normal_iteratorINS8_10device_ptrIiEEEESD_ZNS1_13binary_searchIS3_S5_SD_SD_SD_NS1_21lower_bound_search_opENS9_16wrapped_functionINS0_4lessIvEEbEEEE10hipError_tPvRmT1_T2_T3_mmT4_T5_P12ihipStream_tbEUlRKiE_EESK_SO_SP_mSQ_ST_bEUlT_E_NS1_11comp_targetILNS1_3genE0ELNS1_11target_archE4294967295ELNS1_3gpuE0ELNS1_3repE0EEENS1_30default_config_static_selectorELNS0_4arch9wavefront6targetE0EEEvSN_,@function
_ZN7rocprim17ROCPRIM_400000_NS6detail17trampoline_kernelINS0_14default_configENS1_27lower_bound_config_selectorIiiEEZNS1_14transform_implILb0ES3_S5_N6thrust23THRUST_200600_302600_NS6detail15normal_iteratorINS8_10device_ptrIiEEEESD_ZNS1_13binary_searchIS3_S5_SD_SD_SD_NS1_21lower_bound_search_opENS9_16wrapped_functionINS0_4lessIvEEbEEEE10hipError_tPvRmT1_T2_T3_mmT4_T5_P12ihipStream_tbEUlRKiE_EESK_SO_SP_mSQ_ST_bEUlT_E_NS1_11comp_targetILNS1_3genE0ELNS1_11target_archE4294967295ELNS1_3gpuE0ELNS1_3repE0EEENS1_30default_config_static_selectorELNS0_4arch9wavefront6targetE0EEEvSN_: ; @_ZN7rocprim17ROCPRIM_400000_NS6detail17trampoline_kernelINS0_14default_configENS1_27lower_bound_config_selectorIiiEEZNS1_14transform_implILb0ES3_S5_N6thrust23THRUST_200600_302600_NS6detail15normal_iteratorINS8_10device_ptrIiEEEESD_ZNS1_13binary_searchIS3_S5_SD_SD_SD_NS1_21lower_bound_search_opENS9_16wrapped_functionINS0_4lessIvEEbEEEE10hipError_tPvRmT1_T2_T3_mmT4_T5_P12ihipStream_tbEUlRKiE_EESK_SO_SP_mSQ_ST_bEUlT_E_NS1_11comp_targetILNS1_3genE0ELNS1_11target_archE4294967295ELNS1_3gpuE0ELNS1_3repE0EEENS1_30default_config_static_selectorELNS0_4arch9wavefront6targetE0EEEvSN_
; %bb.0:
	.section	.rodata,"a",@progbits
	.p2align	6, 0x0
	.amdhsa_kernel _ZN7rocprim17ROCPRIM_400000_NS6detail17trampoline_kernelINS0_14default_configENS1_27lower_bound_config_selectorIiiEEZNS1_14transform_implILb0ES3_S5_N6thrust23THRUST_200600_302600_NS6detail15normal_iteratorINS8_10device_ptrIiEEEESD_ZNS1_13binary_searchIS3_S5_SD_SD_SD_NS1_21lower_bound_search_opENS9_16wrapped_functionINS0_4lessIvEEbEEEE10hipError_tPvRmT1_T2_T3_mmT4_T5_P12ihipStream_tbEUlRKiE_EESK_SO_SP_mSQ_ST_bEUlT_E_NS1_11comp_targetILNS1_3genE0ELNS1_11target_archE4294967295ELNS1_3gpuE0ELNS1_3repE0EEENS1_30default_config_static_selectorELNS0_4arch9wavefront6targetE0EEEvSN_
		.amdhsa_group_segment_fixed_size 0
		.amdhsa_private_segment_fixed_size 0
		.amdhsa_kernarg_size 56
		.amdhsa_user_sgpr_count 15
		.amdhsa_user_sgpr_dispatch_ptr 0
		.amdhsa_user_sgpr_queue_ptr 0
		.amdhsa_user_sgpr_kernarg_segment_ptr 1
		.amdhsa_user_sgpr_dispatch_id 0
		.amdhsa_user_sgpr_private_segment_size 0
		.amdhsa_wavefront_size32 1
		.amdhsa_uses_dynamic_stack 0
		.amdhsa_enable_private_segment 0
		.amdhsa_system_sgpr_workgroup_id_x 1
		.amdhsa_system_sgpr_workgroup_id_y 0
		.amdhsa_system_sgpr_workgroup_id_z 0
		.amdhsa_system_sgpr_workgroup_info 0
		.amdhsa_system_vgpr_workitem_id 0
		.amdhsa_next_free_vgpr 1
		.amdhsa_next_free_sgpr 1
		.amdhsa_reserve_vcc 0
		.amdhsa_float_round_mode_32 0
		.amdhsa_float_round_mode_16_64 0
		.amdhsa_float_denorm_mode_32 3
		.amdhsa_float_denorm_mode_16_64 3
		.amdhsa_dx10_clamp 1
		.amdhsa_ieee_mode 1
		.amdhsa_fp16_overflow 0
		.amdhsa_workgroup_processor_mode 1
		.amdhsa_memory_ordered 1
		.amdhsa_forward_progress 0
		.amdhsa_shared_vgpr_count 0
		.amdhsa_exception_fp_ieee_invalid_op 0
		.amdhsa_exception_fp_denorm_src 0
		.amdhsa_exception_fp_ieee_div_zero 0
		.amdhsa_exception_fp_ieee_overflow 0
		.amdhsa_exception_fp_ieee_underflow 0
		.amdhsa_exception_fp_ieee_inexact 0
		.amdhsa_exception_int_div_zero 0
	.end_amdhsa_kernel
	.section	.text._ZN7rocprim17ROCPRIM_400000_NS6detail17trampoline_kernelINS0_14default_configENS1_27lower_bound_config_selectorIiiEEZNS1_14transform_implILb0ES3_S5_N6thrust23THRUST_200600_302600_NS6detail15normal_iteratorINS8_10device_ptrIiEEEESD_ZNS1_13binary_searchIS3_S5_SD_SD_SD_NS1_21lower_bound_search_opENS9_16wrapped_functionINS0_4lessIvEEbEEEE10hipError_tPvRmT1_T2_T3_mmT4_T5_P12ihipStream_tbEUlRKiE_EESK_SO_SP_mSQ_ST_bEUlT_E_NS1_11comp_targetILNS1_3genE0ELNS1_11target_archE4294967295ELNS1_3gpuE0ELNS1_3repE0EEENS1_30default_config_static_selectorELNS0_4arch9wavefront6targetE0EEEvSN_,"axG",@progbits,_ZN7rocprim17ROCPRIM_400000_NS6detail17trampoline_kernelINS0_14default_configENS1_27lower_bound_config_selectorIiiEEZNS1_14transform_implILb0ES3_S5_N6thrust23THRUST_200600_302600_NS6detail15normal_iteratorINS8_10device_ptrIiEEEESD_ZNS1_13binary_searchIS3_S5_SD_SD_SD_NS1_21lower_bound_search_opENS9_16wrapped_functionINS0_4lessIvEEbEEEE10hipError_tPvRmT1_T2_T3_mmT4_T5_P12ihipStream_tbEUlRKiE_EESK_SO_SP_mSQ_ST_bEUlT_E_NS1_11comp_targetILNS1_3genE0ELNS1_11target_archE4294967295ELNS1_3gpuE0ELNS1_3repE0EEENS1_30default_config_static_selectorELNS0_4arch9wavefront6targetE0EEEvSN_,comdat
.Lfunc_end311:
	.size	_ZN7rocprim17ROCPRIM_400000_NS6detail17trampoline_kernelINS0_14default_configENS1_27lower_bound_config_selectorIiiEEZNS1_14transform_implILb0ES3_S5_N6thrust23THRUST_200600_302600_NS6detail15normal_iteratorINS8_10device_ptrIiEEEESD_ZNS1_13binary_searchIS3_S5_SD_SD_SD_NS1_21lower_bound_search_opENS9_16wrapped_functionINS0_4lessIvEEbEEEE10hipError_tPvRmT1_T2_T3_mmT4_T5_P12ihipStream_tbEUlRKiE_EESK_SO_SP_mSQ_ST_bEUlT_E_NS1_11comp_targetILNS1_3genE0ELNS1_11target_archE4294967295ELNS1_3gpuE0ELNS1_3repE0EEENS1_30default_config_static_selectorELNS0_4arch9wavefront6targetE0EEEvSN_, .Lfunc_end311-_ZN7rocprim17ROCPRIM_400000_NS6detail17trampoline_kernelINS0_14default_configENS1_27lower_bound_config_selectorIiiEEZNS1_14transform_implILb0ES3_S5_N6thrust23THRUST_200600_302600_NS6detail15normal_iteratorINS8_10device_ptrIiEEEESD_ZNS1_13binary_searchIS3_S5_SD_SD_SD_NS1_21lower_bound_search_opENS9_16wrapped_functionINS0_4lessIvEEbEEEE10hipError_tPvRmT1_T2_T3_mmT4_T5_P12ihipStream_tbEUlRKiE_EESK_SO_SP_mSQ_ST_bEUlT_E_NS1_11comp_targetILNS1_3genE0ELNS1_11target_archE4294967295ELNS1_3gpuE0ELNS1_3repE0EEENS1_30default_config_static_selectorELNS0_4arch9wavefront6targetE0EEEvSN_
                                        ; -- End function
	.section	.AMDGPU.csdata,"",@progbits
; Kernel info:
; codeLenInByte = 0
; NumSgprs: 0
; NumVgprs: 0
; ScratchSize: 0
; MemoryBound: 0
; FloatMode: 240
; IeeeMode: 1
; LDSByteSize: 0 bytes/workgroup (compile time only)
; SGPRBlocks: 0
; VGPRBlocks: 0
; NumSGPRsForWavesPerEU: 1
; NumVGPRsForWavesPerEU: 1
; Occupancy: 16
; WaveLimiterHint : 0
; COMPUTE_PGM_RSRC2:SCRATCH_EN: 0
; COMPUTE_PGM_RSRC2:USER_SGPR: 15
; COMPUTE_PGM_RSRC2:TRAP_HANDLER: 0
; COMPUTE_PGM_RSRC2:TGID_X_EN: 1
; COMPUTE_PGM_RSRC2:TGID_Y_EN: 0
; COMPUTE_PGM_RSRC2:TGID_Z_EN: 0
; COMPUTE_PGM_RSRC2:TIDIG_COMP_CNT: 0
	.section	.text._ZN7rocprim17ROCPRIM_400000_NS6detail17trampoline_kernelINS0_14default_configENS1_27lower_bound_config_selectorIiiEEZNS1_14transform_implILb0ES3_S5_N6thrust23THRUST_200600_302600_NS6detail15normal_iteratorINS8_10device_ptrIiEEEESD_ZNS1_13binary_searchIS3_S5_SD_SD_SD_NS1_21lower_bound_search_opENS9_16wrapped_functionINS0_4lessIvEEbEEEE10hipError_tPvRmT1_T2_T3_mmT4_T5_P12ihipStream_tbEUlRKiE_EESK_SO_SP_mSQ_ST_bEUlT_E_NS1_11comp_targetILNS1_3genE5ELNS1_11target_archE942ELNS1_3gpuE9ELNS1_3repE0EEENS1_30default_config_static_selectorELNS0_4arch9wavefront6targetE0EEEvSN_,"axG",@progbits,_ZN7rocprim17ROCPRIM_400000_NS6detail17trampoline_kernelINS0_14default_configENS1_27lower_bound_config_selectorIiiEEZNS1_14transform_implILb0ES3_S5_N6thrust23THRUST_200600_302600_NS6detail15normal_iteratorINS8_10device_ptrIiEEEESD_ZNS1_13binary_searchIS3_S5_SD_SD_SD_NS1_21lower_bound_search_opENS9_16wrapped_functionINS0_4lessIvEEbEEEE10hipError_tPvRmT1_T2_T3_mmT4_T5_P12ihipStream_tbEUlRKiE_EESK_SO_SP_mSQ_ST_bEUlT_E_NS1_11comp_targetILNS1_3genE5ELNS1_11target_archE942ELNS1_3gpuE9ELNS1_3repE0EEENS1_30default_config_static_selectorELNS0_4arch9wavefront6targetE0EEEvSN_,comdat
	.protected	_ZN7rocprim17ROCPRIM_400000_NS6detail17trampoline_kernelINS0_14default_configENS1_27lower_bound_config_selectorIiiEEZNS1_14transform_implILb0ES3_S5_N6thrust23THRUST_200600_302600_NS6detail15normal_iteratorINS8_10device_ptrIiEEEESD_ZNS1_13binary_searchIS3_S5_SD_SD_SD_NS1_21lower_bound_search_opENS9_16wrapped_functionINS0_4lessIvEEbEEEE10hipError_tPvRmT1_T2_T3_mmT4_T5_P12ihipStream_tbEUlRKiE_EESK_SO_SP_mSQ_ST_bEUlT_E_NS1_11comp_targetILNS1_3genE5ELNS1_11target_archE942ELNS1_3gpuE9ELNS1_3repE0EEENS1_30default_config_static_selectorELNS0_4arch9wavefront6targetE0EEEvSN_ ; -- Begin function _ZN7rocprim17ROCPRIM_400000_NS6detail17trampoline_kernelINS0_14default_configENS1_27lower_bound_config_selectorIiiEEZNS1_14transform_implILb0ES3_S5_N6thrust23THRUST_200600_302600_NS6detail15normal_iteratorINS8_10device_ptrIiEEEESD_ZNS1_13binary_searchIS3_S5_SD_SD_SD_NS1_21lower_bound_search_opENS9_16wrapped_functionINS0_4lessIvEEbEEEE10hipError_tPvRmT1_T2_T3_mmT4_T5_P12ihipStream_tbEUlRKiE_EESK_SO_SP_mSQ_ST_bEUlT_E_NS1_11comp_targetILNS1_3genE5ELNS1_11target_archE942ELNS1_3gpuE9ELNS1_3repE0EEENS1_30default_config_static_selectorELNS0_4arch9wavefront6targetE0EEEvSN_
	.globl	_ZN7rocprim17ROCPRIM_400000_NS6detail17trampoline_kernelINS0_14default_configENS1_27lower_bound_config_selectorIiiEEZNS1_14transform_implILb0ES3_S5_N6thrust23THRUST_200600_302600_NS6detail15normal_iteratorINS8_10device_ptrIiEEEESD_ZNS1_13binary_searchIS3_S5_SD_SD_SD_NS1_21lower_bound_search_opENS9_16wrapped_functionINS0_4lessIvEEbEEEE10hipError_tPvRmT1_T2_T3_mmT4_T5_P12ihipStream_tbEUlRKiE_EESK_SO_SP_mSQ_ST_bEUlT_E_NS1_11comp_targetILNS1_3genE5ELNS1_11target_archE942ELNS1_3gpuE9ELNS1_3repE0EEENS1_30default_config_static_selectorELNS0_4arch9wavefront6targetE0EEEvSN_
	.p2align	8
	.type	_ZN7rocprim17ROCPRIM_400000_NS6detail17trampoline_kernelINS0_14default_configENS1_27lower_bound_config_selectorIiiEEZNS1_14transform_implILb0ES3_S5_N6thrust23THRUST_200600_302600_NS6detail15normal_iteratorINS8_10device_ptrIiEEEESD_ZNS1_13binary_searchIS3_S5_SD_SD_SD_NS1_21lower_bound_search_opENS9_16wrapped_functionINS0_4lessIvEEbEEEE10hipError_tPvRmT1_T2_T3_mmT4_T5_P12ihipStream_tbEUlRKiE_EESK_SO_SP_mSQ_ST_bEUlT_E_NS1_11comp_targetILNS1_3genE5ELNS1_11target_archE942ELNS1_3gpuE9ELNS1_3repE0EEENS1_30default_config_static_selectorELNS0_4arch9wavefront6targetE0EEEvSN_,@function
_ZN7rocprim17ROCPRIM_400000_NS6detail17trampoline_kernelINS0_14default_configENS1_27lower_bound_config_selectorIiiEEZNS1_14transform_implILb0ES3_S5_N6thrust23THRUST_200600_302600_NS6detail15normal_iteratorINS8_10device_ptrIiEEEESD_ZNS1_13binary_searchIS3_S5_SD_SD_SD_NS1_21lower_bound_search_opENS9_16wrapped_functionINS0_4lessIvEEbEEEE10hipError_tPvRmT1_T2_T3_mmT4_T5_P12ihipStream_tbEUlRKiE_EESK_SO_SP_mSQ_ST_bEUlT_E_NS1_11comp_targetILNS1_3genE5ELNS1_11target_archE942ELNS1_3gpuE9ELNS1_3repE0EEENS1_30default_config_static_selectorELNS0_4arch9wavefront6targetE0EEEvSN_: ; @_ZN7rocprim17ROCPRIM_400000_NS6detail17trampoline_kernelINS0_14default_configENS1_27lower_bound_config_selectorIiiEEZNS1_14transform_implILb0ES3_S5_N6thrust23THRUST_200600_302600_NS6detail15normal_iteratorINS8_10device_ptrIiEEEESD_ZNS1_13binary_searchIS3_S5_SD_SD_SD_NS1_21lower_bound_search_opENS9_16wrapped_functionINS0_4lessIvEEbEEEE10hipError_tPvRmT1_T2_T3_mmT4_T5_P12ihipStream_tbEUlRKiE_EESK_SO_SP_mSQ_ST_bEUlT_E_NS1_11comp_targetILNS1_3genE5ELNS1_11target_archE942ELNS1_3gpuE9ELNS1_3repE0EEENS1_30default_config_static_selectorELNS0_4arch9wavefront6targetE0EEEvSN_
; %bb.0:
	.section	.rodata,"a",@progbits
	.p2align	6, 0x0
	.amdhsa_kernel _ZN7rocprim17ROCPRIM_400000_NS6detail17trampoline_kernelINS0_14default_configENS1_27lower_bound_config_selectorIiiEEZNS1_14transform_implILb0ES3_S5_N6thrust23THRUST_200600_302600_NS6detail15normal_iteratorINS8_10device_ptrIiEEEESD_ZNS1_13binary_searchIS3_S5_SD_SD_SD_NS1_21lower_bound_search_opENS9_16wrapped_functionINS0_4lessIvEEbEEEE10hipError_tPvRmT1_T2_T3_mmT4_T5_P12ihipStream_tbEUlRKiE_EESK_SO_SP_mSQ_ST_bEUlT_E_NS1_11comp_targetILNS1_3genE5ELNS1_11target_archE942ELNS1_3gpuE9ELNS1_3repE0EEENS1_30default_config_static_selectorELNS0_4arch9wavefront6targetE0EEEvSN_
		.amdhsa_group_segment_fixed_size 0
		.amdhsa_private_segment_fixed_size 0
		.amdhsa_kernarg_size 56
		.amdhsa_user_sgpr_count 15
		.amdhsa_user_sgpr_dispatch_ptr 0
		.amdhsa_user_sgpr_queue_ptr 0
		.amdhsa_user_sgpr_kernarg_segment_ptr 1
		.amdhsa_user_sgpr_dispatch_id 0
		.amdhsa_user_sgpr_private_segment_size 0
		.amdhsa_wavefront_size32 1
		.amdhsa_uses_dynamic_stack 0
		.amdhsa_enable_private_segment 0
		.amdhsa_system_sgpr_workgroup_id_x 1
		.amdhsa_system_sgpr_workgroup_id_y 0
		.amdhsa_system_sgpr_workgroup_id_z 0
		.amdhsa_system_sgpr_workgroup_info 0
		.amdhsa_system_vgpr_workitem_id 0
		.amdhsa_next_free_vgpr 1
		.amdhsa_next_free_sgpr 1
		.amdhsa_reserve_vcc 0
		.amdhsa_float_round_mode_32 0
		.amdhsa_float_round_mode_16_64 0
		.amdhsa_float_denorm_mode_32 3
		.amdhsa_float_denorm_mode_16_64 3
		.amdhsa_dx10_clamp 1
		.amdhsa_ieee_mode 1
		.amdhsa_fp16_overflow 0
		.amdhsa_workgroup_processor_mode 1
		.amdhsa_memory_ordered 1
		.amdhsa_forward_progress 0
		.amdhsa_shared_vgpr_count 0
		.amdhsa_exception_fp_ieee_invalid_op 0
		.amdhsa_exception_fp_denorm_src 0
		.amdhsa_exception_fp_ieee_div_zero 0
		.amdhsa_exception_fp_ieee_overflow 0
		.amdhsa_exception_fp_ieee_underflow 0
		.amdhsa_exception_fp_ieee_inexact 0
		.amdhsa_exception_int_div_zero 0
	.end_amdhsa_kernel
	.section	.text._ZN7rocprim17ROCPRIM_400000_NS6detail17trampoline_kernelINS0_14default_configENS1_27lower_bound_config_selectorIiiEEZNS1_14transform_implILb0ES3_S5_N6thrust23THRUST_200600_302600_NS6detail15normal_iteratorINS8_10device_ptrIiEEEESD_ZNS1_13binary_searchIS3_S5_SD_SD_SD_NS1_21lower_bound_search_opENS9_16wrapped_functionINS0_4lessIvEEbEEEE10hipError_tPvRmT1_T2_T3_mmT4_T5_P12ihipStream_tbEUlRKiE_EESK_SO_SP_mSQ_ST_bEUlT_E_NS1_11comp_targetILNS1_3genE5ELNS1_11target_archE942ELNS1_3gpuE9ELNS1_3repE0EEENS1_30default_config_static_selectorELNS0_4arch9wavefront6targetE0EEEvSN_,"axG",@progbits,_ZN7rocprim17ROCPRIM_400000_NS6detail17trampoline_kernelINS0_14default_configENS1_27lower_bound_config_selectorIiiEEZNS1_14transform_implILb0ES3_S5_N6thrust23THRUST_200600_302600_NS6detail15normal_iteratorINS8_10device_ptrIiEEEESD_ZNS1_13binary_searchIS3_S5_SD_SD_SD_NS1_21lower_bound_search_opENS9_16wrapped_functionINS0_4lessIvEEbEEEE10hipError_tPvRmT1_T2_T3_mmT4_T5_P12ihipStream_tbEUlRKiE_EESK_SO_SP_mSQ_ST_bEUlT_E_NS1_11comp_targetILNS1_3genE5ELNS1_11target_archE942ELNS1_3gpuE9ELNS1_3repE0EEENS1_30default_config_static_selectorELNS0_4arch9wavefront6targetE0EEEvSN_,comdat
.Lfunc_end312:
	.size	_ZN7rocprim17ROCPRIM_400000_NS6detail17trampoline_kernelINS0_14default_configENS1_27lower_bound_config_selectorIiiEEZNS1_14transform_implILb0ES3_S5_N6thrust23THRUST_200600_302600_NS6detail15normal_iteratorINS8_10device_ptrIiEEEESD_ZNS1_13binary_searchIS3_S5_SD_SD_SD_NS1_21lower_bound_search_opENS9_16wrapped_functionINS0_4lessIvEEbEEEE10hipError_tPvRmT1_T2_T3_mmT4_T5_P12ihipStream_tbEUlRKiE_EESK_SO_SP_mSQ_ST_bEUlT_E_NS1_11comp_targetILNS1_3genE5ELNS1_11target_archE942ELNS1_3gpuE9ELNS1_3repE0EEENS1_30default_config_static_selectorELNS0_4arch9wavefront6targetE0EEEvSN_, .Lfunc_end312-_ZN7rocprim17ROCPRIM_400000_NS6detail17trampoline_kernelINS0_14default_configENS1_27lower_bound_config_selectorIiiEEZNS1_14transform_implILb0ES3_S5_N6thrust23THRUST_200600_302600_NS6detail15normal_iteratorINS8_10device_ptrIiEEEESD_ZNS1_13binary_searchIS3_S5_SD_SD_SD_NS1_21lower_bound_search_opENS9_16wrapped_functionINS0_4lessIvEEbEEEE10hipError_tPvRmT1_T2_T3_mmT4_T5_P12ihipStream_tbEUlRKiE_EESK_SO_SP_mSQ_ST_bEUlT_E_NS1_11comp_targetILNS1_3genE5ELNS1_11target_archE942ELNS1_3gpuE9ELNS1_3repE0EEENS1_30default_config_static_selectorELNS0_4arch9wavefront6targetE0EEEvSN_
                                        ; -- End function
	.section	.AMDGPU.csdata,"",@progbits
; Kernel info:
; codeLenInByte = 0
; NumSgprs: 0
; NumVgprs: 0
; ScratchSize: 0
; MemoryBound: 0
; FloatMode: 240
; IeeeMode: 1
; LDSByteSize: 0 bytes/workgroup (compile time only)
; SGPRBlocks: 0
; VGPRBlocks: 0
; NumSGPRsForWavesPerEU: 1
; NumVGPRsForWavesPerEU: 1
; Occupancy: 16
; WaveLimiterHint : 0
; COMPUTE_PGM_RSRC2:SCRATCH_EN: 0
; COMPUTE_PGM_RSRC2:USER_SGPR: 15
; COMPUTE_PGM_RSRC2:TRAP_HANDLER: 0
; COMPUTE_PGM_RSRC2:TGID_X_EN: 1
; COMPUTE_PGM_RSRC2:TGID_Y_EN: 0
; COMPUTE_PGM_RSRC2:TGID_Z_EN: 0
; COMPUTE_PGM_RSRC2:TIDIG_COMP_CNT: 0
	.section	.text._ZN7rocprim17ROCPRIM_400000_NS6detail17trampoline_kernelINS0_14default_configENS1_27lower_bound_config_selectorIiiEEZNS1_14transform_implILb0ES3_S5_N6thrust23THRUST_200600_302600_NS6detail15normal_iteratorINS8_10device_ptrIiEEEESD_ZNS1_13binary_searchIS3_S5_SD_SD_SD_NS1_21lower_bound_search_opENS9_16wrapped_functionINS0_4lessIvEEbEEEE10hipError_tPvRmT1_T2_T3_mmT4_T5_P12ihipStream_tbEUlRKiE_EESK_SO_SP_mSQ_ST_bEUlT_E_NS1_11comp_targetILNS1_3genE4ELNS1_11target_archE910ELNS1_3gpuE8ELNS1_3repE0EEENS1_30default_config_static_selectorELNS0_4arch9wavefront6targetE0EEEvSN_,"axG",@progbits,_ZN7rocprim17ROCPRIM_400000_NS6detail17trampoline_kernelINS0_14default_configENS1_27lower_bound_config_selectorIiiEEZNS1_14transform_implILb0ES3_S5_N6thrust23THRUST_200600_302600_NS6detail15normal_iteratorINS8_10device_ptrIiEEEESD_ZNS1_13binary_searchIS3_S5_SD_SD_SD_NS1_21lower_bound_search_opENS9_16wrapped_functionINS0_4lessIvEEbEEEE10hipError_tPvRmT1_T2_T3_mmT4_T5_P12ihipStream_tbEUlRKiE_EESK_SO_SP_mSQ_ST_bEUlT_E_NS1_11comp_targetILNS1_3genE4ELNS1_11target_archE910ELNS1_3gpuE8ELNS1_3repE0EEENS1_30default_config_static_selectorELNS0_4arch9wavefront6targetE0EEEvSN_,comdat
	.protected	_ZN7rocprim17ROCPRIM_400000_NS6detail17trampoline_kernelINS0_14default_configENS1_27lower_bound_config_selectorIiiEEZNS1_14transform_implILb0ES3_S5_N6thrust23THRUST_200600_302600_NS6detail15normal_iteratorINS8_10device_ptrIiEEEESD_ZNS1_13binary_searchIS3_S5_SD_SD_SD_NS1_21lower_bound_search_opENS9_16wrapped_functionINS0_4lessIvEEbEEEE10hipError_tPvRmT1_T2_T3_mmT4_T5_P12ihipStream_tbEUlRKiE_EESK_SO_SP_mSQ_ST_bEUlT_E_NS1_11comp_targetILNS1_3genE4ELNS1_11target_archE910ELNS1_3gpuE8ELNS1_3repE0EEENS1_30default_config_static_selectorELNS0_4arch9wavefront6targetE0EEEvSN_ ; -- Begin function _ZN7rocprim17ROCPRIM_400000_NS6detail17trampoline_kernelINS0_14default_configENS1_27lower_bound_config_selectorIiiEEZNS1_14transform_implILb0ES3_S5_N6thrust23THRUST_200600_302600_NS6detail15normal_iteratorINS8_10device_ptrIiEEEESD_ZNS1_13binary_searchIS3_S5_SD_SD_SD_NS1_21lower_bound_search_opENS9_16wrapped_functionINS0_4lessIvEEbEEEE10hipError_tPvRmT1_T2_T3_mmT4_T5_P12ihipStream_tbEUlRKiE_EESK_SO_SP_mSQ_ST_bEUlT_E_NS1_11comp_targetILNS1_3genE4ELNS1_11target_archE910ELNS1_3gpuE8ELNS1_3repE0EEENS1_30default_config_static_selectorELNS0_4arch9wavefront6targetE0EEEvSN_
	.globl	_ZN7rocprim17ROCPRIM_400000_NS6detail17trampoline_kernelINS0_14default_configENS1_27lower_bound_config_selectorIiiEEZNS1_14transform_implILb0ES3_S5_N6thrust23THRUST_200600_302600_NS6detail15normal_iteratorINS8_10device_ptrIiEEEESD_ZNS1_13binary_searchIS3_S5_SD_SD_SD_NS1_21lower_bound_search_opENS9_16wrapped_functionINS0_4lessIvEEbEEEE10hipError_tPvRmT1_T2_T3_mmT4_T5_P12ihipStream_tbEUlRKiE_EESK_SO_SP_mSQ_ST_bEUlT_E_NS1_11comp_targetILNS1_3genE4ELNS1_11target_archE910ELNS1_3gpuE8ELNS1_3repE0EEENS1_30default_config_static_selectorELNS0_4arch9wavefront6targetE0EEEvSN_
	.p2align	8
	.type	_ZN7rocprim17ROCPRIM_400000_NS6detail17trampoline_kernelINS0_14default_configENS1_27lower_bound_config_selectorIiiEEZNS1_14transform_implILb0ES3_S5_N6thrust23THRUST_200600_302600_NS6detail15normal_iteratorINS8_10device_ptrIiEEEESD_ZNS1_13binary_searchIS3_S5_SD_SD_SD_NS1_21lower_bound_search_opENS9_16wrapped_functionINS0_4lessIvEEbEEEE10hipError_tPvRmT1_T2_T3_mmT4_T5_P12ihipStream_tbEUlRKiE_EESK_SO_SP_mSQ_ST_bEUlT_E_NS1_11comp_targetILNS1_3genE4ELNS1_11target_archE910ELNS1_3gpuE8ELNS1_3repE0EEENS1_30default_config_static_selectorELNS0_4arch9wavefront6targetE0EEEvSN_,@function
_ZN7rocprim17ROCPRIM_400000_NS6detail17trampoline_kernelINS0_14default_configENS1_27lower_bound_config_selectorIiiEEZNS1_14transform_implILb0ES3_S5_N6thrust23THRUST_200600_302600_NS6detail15normal_iteratorINS8_10device_ptrIiEEEESD_ZNS1_13binary_searchIS3_S5_SD_SD_SD_NS1_21lower_bound_search_opENS9_16wrapped_functionINS0_4lessIvEEbEEEE10hipError_tPvRmT1_T2_T3_mmT4_T5_P12ihipStream_tbEUlRKiE_EESK_SO_SP_mSQ_ST_bEUlT_E_NS1_11comp_targetILNS1_3genE4ELNS1_11target_archE910ELNS1_3gpuE8ELNS1_3repE0EEENS1_30default_config_static_selectorELNS0_4arch9wavefront6targetE0EEEvSN_: ; @_ZN7rocprim17ROCPRIM_400000_NS6detail17trampoline_kernelINS0_14default_configENS1_27lower_bound_config_selectorIiiEEZNS1_14transform_implILb0ES3_S5_N6thrust23THRUST_200600_302600_NS6detail15normal_iteratorINS8_10device_ptrIiEEEESD_ZNS1_13binary_searchIS3_S5_SD_SD_SD_NS1_21lower_bound_search_opENS9_16wrapped_functionINS0_4lessIvEEbEEEE10hipError_tPvRmT1_T2_T3_mmT4_T5_P12ihipStream_tbEUlRKiE_EESK_SO_SP_mSQ_ST_bEUlT_E_NS1_11comp_targetILNS1_3genE4ELNS1_11target_archE910ELNS1_3gpuE8ELNS1_3repE0EEENS1_30default_config_static_selectorELNS0_4arch9wavefront6targetE0EEEvSN_
; %bb.0:
	.section	.rodata,"a",@progbits
	.p2align	6, 0x0
	.amdhsa_kernel _ZN7rocprim17ROCPRIM_400000_NS6detail17trampoline_kernelINS0_14default_configENS1_27lower_bound_config_selectorIiiEEZNS1_14transform_implILb0ES3_S5_N6thrust23THRUST_200600_302600_NS6detail15normal_iteratorINS8_10device_ptrIiEEEESD_ZNS1_13binary_searchIS3_S5_SD_SD_SD_NS1_21lower_bound_search_opENS9_16wrapped_functionINS0_4lessIvEEbEEEE10hipError_tPvRmT1_T2_T3_mmT4_T5_P12ihipStream_tbEUlRKiE_EESK_SO_SP_mSQ_ST_bEUlT_E_NS1_11comp_targetILNS1_3genE4ELNS1_11target_archE910ELNS1_3gpuE8ELNS1_3repE0EEENS1_30default_config_static_selectorELNS0_4arch9wavefront6targetE0EEEvSN_
		.amdhsa_group_segment_fixed_size 0
		.amdhsa_private_segment_fixed_size 0
		.amdhsa_kernarg_size 56
		.amdhsa_user_sgpr_count 15
		.amdhsa_user_sgpr_dispatch_ptr 0
		.amdhsa_user_sgpr_queue_ptr 0
		.amdhsa_user_sgpr_kernarg_segment_ptr 1
		.amdhsa_user_sgpr_dispatch_id 0
		.amdhsa_user_sgpr_private_segment_size 0
		.amdhsa_wavefront_size32 1
		.amdhsa_uses_dynamic_stack 0
		.amdhsa_enable_private_segment 0
		.amdhsa_system_sgpr_workgroup_id_x 1
		.amdhsa_system_sgpr_workgroup_id_y 0
		.amdhsa_system_sgpr_workgroup_id_z 0
		.amdhsa_system_sgpr_workgroup_info 0
		.amdhsa_system_vgpr_workitem_id 0
		.amdhsa_next_free_vgpr 1
		.amdhsa_next_free_sgpr 1
		.amdhsa_reserve_vcc 0
		.amdhsa_float_round_mode_32 0
		.amdhsa_float_round_mode_16_64 0
		.amdhsa_float_denorm_mode_32 3
		.amdhsa_float_denorm_mode_16_64 3
		.amdhsa_dx10_clamp 1
		.amdhsa_ieee_mode 1
		.amdhsa_fp16_overflow 0
		.amdhsa_workgroup_processor_mode 1
		.amdhsa_memory_ordered 1
		.amdhsa_forward_progress 0
		.amdhsa_shared_vgpr_count 0
		.amdhsa_exception_fp_ieee_invalid_op 0
		.amdhsa_exception_fp_denorm_src 0
		.amdhsa_exception_fp_ieee_div_zero 0
		.amdhsa_exception_fp_ieee_overflow 0
		.amdhsa_exception_fp_ieee_underflow 0
		.amdhsa_exception_fp_ieee_inexact 0
		.amdhsa_exception_int_div_zero 0
	.end_amdhsa_kernel
	.section	.text._ZN7rocprim17ROCPRIM_400000_NS6detail17trampoline_kernelINS0_14default_configENS1_27lower_bound_config_selectorIiiEEZNS1_14transform_implILb0ES3_S5_N6thrust23THRUST_200600_302600_NS6detail15normal_iteratorINS8_10device_ptrIiEEEESD_ZNS1_13binary_searchIS3_S5_SD_SD_SD_NS1_21lower_bound_search_opENS9_16wrapped_functionINS0_4lessIvEEbEEEE10hipError_tPvRmT1_T2_T3_mmT4_T5_P12ihipStream_tbEUlRKiE_EESK_SO_SP_mSQ_ST_bEUlT_E_NS1_11comp_targetILNS1_3genE4ELNS1_11target_archE910ELNS1_3gpuE8ELNS1_3repE0EEENS1_30default_config_static_selectorELNS0_4arch9wavefront6targetE0EEEvSN_,"axG",@progbits,_ZN7rocprim17ROCPRIM_400000_NS6detail17trampoline_kernelINS0_14default_configENS1_27lower_bound_config_selectorIiiEEZNS1_14transform_implILb0ES3_S5_N6thrust23THRUST_200600_302600_NS6detail15normal_iteratorINS8_10device_ptrIiEEEESD_ZNS1_13binary_searchIS3_S5_SD_SD_SD_NS1_21lower_bound_search_opENS9_16wrapped_functionINS0_4lessIvEEbEEEE10hipError_tPvRmT1_T2_T3_mmT4_T5_P12ihipStream_tbEUlRKiE_EESK_SO_SP_mSQ_ST_bEUlT_E_NS1_11comp_targetILNS1_3genE4ELNS1_11target_archE910ELNS1_3gpuE8ELNS1_3repE0EEENS1_30default_config_static_selectorELNS0_4arch9wavefront6targetE0EEEvSN_,comdat
.Lfunc_end313:
	.size	_ZN7rocprim17ROCPRIM_400000_NS6detail17trampoline_kernelINS0_14default_configENS1_27lower_bound_config_selectorIiiEEZNS1_14transform_implILb0ES3_S5_N6thrust23THRUST_200600_302600_NS6detail15normal_iteratorINS8_10device_ptrIiEEEESD_ZNS1_13binary_searchIS3_S5_SD_SD_SD_NS1_21lower_bound_search_opENS9_16wrapped_functionINS0_4lessIvEEbEEEE10hipError_tPvRmT1_T2_T3_mmT4_T5_P12ihipStream_tbEUlRKiE_EESK_SO_SP_mSQ_ST_bEUlT_E_NS1_11comp_targetILNS1_3genE4ELNS1_11target_archE910ELNS1_3gpuE8ELNS1_3repE0EEENS1_30default_config_static_selectorELNS0_4arch9wavefront6targetE0EEEvSN_, .Lfunc_end313-_ZN7rocprim17ROCPRIM_400000_NS6detail17trampoline_kernelINS0_14default_configENS1_27lower_bound_config_selectorIiiEEZNS1_14transform_implILb0ES3_S5_N6thrust23THRUST_200600_302600_NS6detail15normal_iteratorINS8_10device_ptrIiEEEESD_ZNS1_13binary_searchIS3_S5_SD_SD_SD_NS1_21lower_bound_search_opENS9_16wrapped_functionINS0_4lessIvEEbEEEE10hipError_tPvRmT1_T2_T3_mmT4_T5_P12ihipStream_tbEUlRKiE_EESK_SO_SP_mSQ_ST_bEUlT_E_NS1_11comp_targetILNS1_3genE4ELNS1_11target_archE910ELNS1_3gpuE8ELNS1_3repE0EEENS1_30default_config_static_selectorELNS0_4arch9wavefront6targetE0EEEvSN_
                                        ; -- End function
	.section	.AMDGPU.csdata,"",@progbits
; Kernel info:
; codeLenInByte = 0
; NumSgprs: 0
; NumVgprs: 0
; ScratchSize: 0
; MemoryBound: 0
; FloatMode: 240
; IeeeMode: 1
; LDSByteSize: 0 bytes/workgroup (compile time only)
; SGPRBlocks: 0
; VGPRBlocks: 0
; NumSGPRsForWavesPerEU: 1
; NumVGPRsForWavesPerEU: 1
; Occupancy: 16
; WaveLimiterHint : 0
; COMPUTE_PGM_RSRC2:SCRATCH_EN: 0
; COMPUTE_PGM_RSRC2:USER_SGPR: 15
; COMPUTE_PGM_RSRC2:TRAP_HANDLER: 0
; COMPUTE_PGM_RSRC2:TGID_X_EN: 1
; COMPUTE_PGM_RSRC2:TGID_Y_EN: 0
; COMPUTE_PGM_RSRC2:TGID_Z_EN: 0
; COMPUTE_PGM_RSRC2:TIDIG_COMP_CNT: 0
	.section	.text._ZN7rocprim17ROCPRIM_400000_NS6detail17trampoline_kernelINS0_14default_configENS1_27lower_bound_config_selectorIiiEEZNS1_14transform_implILb0ES3_S5_N6thrust23THRUST_200600_302600_NS6detail15normal_iteratorINS8_10device_ptrIiEEEESD_ZNS1_13binary_searchIS3_S5_SD_SD_SD_NS1_21lower_bound_search_opENS9_16wrapped_functionINS0_4lessIvEEbEEEE10hipError_tPvRmT1_T2_T3_mmT4_T5_P12ihipStream_tbEUlRKiE_EESK_SO_SP_mSQ_ST_bEUlT_E_NS1_11comp_targetILNS1_3genE3ELNS1_11target_archE908ELNS1_3gpuE7ELNS1_3repE0EEENS1_30default_config_static_selectorELNS0_4arch9wavefront6targetE0EEEvSN_,"axG",@progbits,_ZN7rocprim17ROCPRIM_400000_NS6detail17trampoline_kernelINS0_14default_configENS1_27lower_bound_config_selectorIiiEEZNS1_14transform_implILb0ES3_S5_N6thrust23THRUST_200600_302600_NS6detail15normal_iteratorINS8_10device_ptrIiEEEESD_ZNS1_13binary_searchIS3_S5_SD_SD_SD_NS1_21lower_bound_search_opENS9_16wrapped_functionINS0_4lessIvEEbEEEE10hipError_tPvRmT1_T2_T3_mmT4_T5_P12ihipStream_tbEUlRKiE_EESK_SO_SP_mSQ_ST_bEUlT_E_NS1_11comp_targetILNS1_3genE3ELNS1_11target_archE908ELNS1_3gpuE7ELNS1_3repE0EEENS1_30default_config_static_selectorELNS0_4arch9wavefront6targetE0EEEvSN_,comdat
	.protected	_ZN7rocprim17ROCPRIM_400000_NS6detail17trampoline_kernelINS0_14default_configENS1_27lower_bound_config_selectorIiiEEZNS1_14transform_implILb0ES3_S5_N6thrust23THRUST_200600_302600_NS6detail15normal_iteratorINS8_10device_ptrIiEEEESD_ZNS1_13binary_searchIS3_S5_SD_SD_SD_NS1_21lower_bound_search_opENS9_16wrapped_functionINS0_4lessIvEEbEEEE10hipError_tPvRmT1_T2_T3_mmT4_T5_P12ihipStream_tbEUlRKiE_EESK_SO_SP_mSQ_ST_bEUlT_E_NS1_11comp_targetILNS1_3genE3ELNS1_11target_archE908ELNS1_3gpuE7ELNS1_3repE0EEENS1_30default_config_static_selectorELNS0_4arch9wavefront6targetE0EEEvSN_ ; -- Begin function _ZN7rocprim17ROCPRIM_400000_NS6detail17trampoline_kernelINS0_14default_configENS1_27lower_bound_config_selectorIiiEEZNS1_14transform_implILb0ES3_S5_N6thrust23THRUST_200600_302600_NS6detail15normal_iteratorINS8_10device_ptrIiEEEESD_ZNS1_13binary_searchIS3_S5_SD_SD_SD_NS1_21lower_bound_search_opENS9_16wrapped_functionINS0_4lessIvEEbEEEE10hipError_tPvRmT1_T2_T3_mmT4_T5_P12ihipStream_tbEUlRKiE_EESK_SO_SP_mSQ_ST_bEUlT_E_NS1_11comp_targetILNS1_3genE3ELNS1_11target_archE908ELNS1_3gpuE7ELNS1_3repE0EEENS1_30default_config_static_selectorELNS0_4arch9wavefront6targetE0EEEvSN_
	.globl	_ZN7rocprim17ROCPRIM_400000_NS6detail17trampoline_kernelINS0_14default_configENS1_27lower_bound_config_selectorIiiEEZNS1_14transform_implILb0ES3_S5_N6thrust23THRUST_200600_302600_NS6detail15normal_iteratorINS8_10device_ptrIiEEEESD_ZNS1_13binary_searchIS3_S5_SD_SD_SD_NS1_21lower_bound_search_opENS9_16wrapped_functionINS0_4lessIvEEbEEEE10hipError_tPvRmT1_T2_T3_mmT4_T5_P12ihipStream_tbEUlRKiE_EESK_SO_SP_mSQ_ST_bEUlT_E_NS1_11comp_targetILNS1_3genE3ELNS1_11target_archE908ELNS1_3gpuE7ELNS1_3repE0EEENS1_30default_config_static_selectorELNS0_4arch9wavefront6targetE0EEEvSN_
	.p2align	8
	.type	_ZN7rocprim17ROCPRIM_400000_NS6detail17trampoline_kernelINS0_14default_configENS1_27lower_bound_config_selectorIiiEEZNS1_14transform_implILb0ES3_S5_N6thrust23THRUST_200600_302600_NS6detail15normal_iteratorINS8_10device_ptrIiEEEESD_ZNS1_13binary_searchIS3_S5_SD_SD_SD_NS1_21lower_bound_search_opENS9_16wrapped_functionINS0_4lessIvEEbEEEE10hipError_tPvRmT1_T2_T3_mmT4_T5_P12ihipStream_tbEUlRKiE_EESK_SO_SP_mSQ_ST_bEUlT_E_NS1_11comp_targetILNS1_3genE3ELNS1_11target_archE908ELNS1_3gpuE7ELNS1_3repE0EEENS1_30default_config_static_selectorELNS0_4arch9wavefront6targetE0EEEvSN_,@function
_ZN7rocprim17ROCPRIM_400000_NS6detail17trampoline_kernelINS0_14default_configENS1_27lower_bound_config_selectorIiiEEZNS1_14transform_implILb0ES3_S5_N6thrust23THRUST_200600_302600_NS6detail15normal_iteratorINS8_10device_ptrIiEEEESD_ZNS1_13binary_searchIS3_S5_SD_SD_SD_NS1_21lower_bound_search_opENS9_16wrapped_functionINS0_4lessIvEEbEEEE10hipError_tPvRmT1_T2_T3_mmT4_T5_P12ihipStream_tbEUlRKiE_EESK_SO_SP_mSQ_ST_bEUlT_E_NS1_11comp_targetILNS1_3genE3ELNS1_11target_archE908ELNS1_3gpuE7ELNS1_3repE0EEENS1_30default_config_static_selectorELNS0_4arch9wavefront6targetE0EEEvSN_: ; @_ZN7rocprim17ROCPRIM_400000_NS6detail17trampoline_kernelINS0_14default_configENS1_27lower_bound_config_selectorIiiEEZNS1_14transform_implILb0ES3_S5_N6thrust23THRUST_200600_302600_NS6detail15normal_iteratorINS8_10device_ptrIiEEEESD_ZNS1_13binary_searchIS3_S5_SD_SD_SD_NS1_21lower_bound_search_opENS9_16wrapped_functionINS0_4lessIvEEbEEEE10hipError_tPvRmT1_T2_T3_mmT4_T5_P12ihipStream_tbEUlRKiE_EESK_SO_SP_mSQ_ST_bEUlT_E_NS1_11comp_targetILNS1_3genE3ELNS1_11target_archE908ELNS1_3gpuE7ELNS1_3repE0EEENS1_30default_config_static_selectorELNS0_4arch9wavefront6targetE0EEEvSN_
; %bb.0:
	.section	.rodata,"a",@progbits
	.p2align	6, 0x0
	.amdhsa_kernel _ZN7rocprim17ROCPRIM_400000_NS6detail17trampoline_kernelINS0_14default_configENS1_27lower_bound_config_selectorIiiEEZNS1_14transform_implILb0ES3_S5_N6thrust23THRUST_200600_302600_NS6detail15normal_iteratorINS8_10device_ptrIiEEEESD_ZNS1_13binary_searchIS3_S5_SD_SD_SD_NS1_21lower_bound_search_opENS9_16wrapped_functionINS0_4lessIvEEbEEEE10hipError_tPvRmT1_T2_T3_mmT4_T5_P12ihipStream_tbEUlRKiE_EESK_SO_SP_mSQ_ST_bEUlT_E_NS1_11comp_targetILNS1_3genE3ELNS1_11target_archE908ELNS1_3gpuE7ELNS1_3repE0EEENS1_30default_config_static_selectorELNS0_4arch9wavefront6targetE0EEEvSN_
		.amdhsa_group_segment_fixed_size 0
		.amdhsa_private_segment_fixed_size 0
		.amdhsa_kernarg_size 56
		.amdhsa_user_sgpr_count 15
		.amdhsa_user_sgpr_dispatch_ptr 0
		.amdhsa_user_sgpr_queue_ptr 0
		.amdhsa_user_sgpr_kernarg_segment_ptr 1
		.amdhsa_user_sgpr_dispatch_id 0
		.amdhsa_user_sgpr_private_segment_size 0
		.amdhsa_wavefront_size32 1
		.amdhsa_uses_dynamic_stack 0
		.amdhsa_enable_private_segment 0
		.amdhsa_system_sgpr_workgroup_id_x 1
		.amdhsa_system_sgpr_workgroup_id_y 0
		.amdhsa_system_sgpr_workgroup_id_z 0
		.amdhsa_system_sgpr_workgroup_info 0
		.amdhsa_system_vgpr_workitem_id 0
		.amdhsa_next_free_vgpr 1
		.amdhsa_next_free_sgpr 1
		.amdhsa_reserve_vcc 0
		.amdhsa_float_round_mode_32 0
		.amdhsa_float_round_mode_16_64 0
		.amdhsa_float_denorm_mode_32 3
		.amdhsa_float_denorm_mode_16_64 3
		.amdhsa_dx10_clamp 1
		.amdhsa_ieee_mode 1
		.amdhsa_fp16_overflow 0
		.amdhsa_workgroup_processor_mode 1
		.amdhsa_memory_ordered 1
		.amdhsa_forward_progress 0
		.amdhsa_shared_vgpr_count 0
		.amdhsa_exception_fp_ieee_invalid_op 0
		.amdhsa_exception_fp_denorm_src 0
		.amdhsa_exception_fp_ieee_div_zero 0
		.amdhsa_exception_fp_ieee_overflow 0
		.amdhsa_exception_fp_ieee_underflow 0
		.amdhsa_exception_fp_ieee_inexact 0
		.amdhsa_exception_int_div_zero 0
	.end_amdhsa_kernel
	.section	.text._ZN7rocprim17ROCPRIM_400000_NS6detail17trampoline_kernelINS0_14default_configENS1_27lower_bound_config_selectorIiiEEZNS1_14transform_implILb0ES3_S5_N6thrust23THRUST_200600_302600_NS6detail15normal_iteratorINS8_10device_ptrIiEEEESD_ZNS1_13binary_searchIS3_S5_SD_SD_SD_NS1_21lower_bound_search_opENS9_16wrapped_functionINS0_4lessIvEEbEEEE10hipError_tPvRmT1_T2_T3_mmT4_T5_P12ihipStream_tbEUlRKiE_EESK_SO_SP_mSQ_ST_bEUlT_E_NS1_11comp_targetILNS1_3genE3ELNS1_11target_archE908ELNS1_3gpuE7ELNS1_3repE0EEENS1_30default_config_static_selectorELNS0_4arch9wavefront6targetE0EEEvSN_,"axG",@progbits,_ZN7rocprim17ROCPRIM_400000_NS6detail17trampoline_kernelINS0_14default_configENS1_27lower_bound_config_selectorIiiEEZNS1_14transform_implILb0ES3_S5_N6thrust23THRUST_200600_302600_NS6detail15normal_iteratorINS8_10device_ptrIiEEEESD_ZNS1_13binary_searchIS3_S5_SD_SD_SD_NS1_21lower_bound_search_opENS9_16wrapped_functionINS0_4lessIvEEbEEEE10hipError_tPvRmT1_T2_T3_mmT4_T5_P12ihipStream_tbEUlRKiE_EESK_SO_SP_mSQ_ST_bEUlT_E_NS1_11comp_targetILNS1_3genE3ELNS1_11target_archE908ELNS1_3gpuE7ELNS1_3repE0EEENS1_30default_config_static_selectorELNS0_4arch9wavefront6targetE0EEEvSN_,comdat
.Lfunc_end314:
	.size	_ZN7rocprim17ROCPRIM_400000_NS6detail17trampoline_kernelINS0_14default_configENS1_27lower_bound_config_selectorIiiEEZNS1_14transform_implILb0ES3_S5_N6thrust23THRUST_200600_302600_NS6detail15normal_iteratorINS8_10device_ptrIiEEEESD_ZNS1_13binary_searchIS3_S5_SD_SD_SD_NS1_21lower_bound_search_opENS9_16wrapped_functionINS0_4lessIvEEbEEEE10hipError_tPvRmT1_T2_T3_mmT4_T5_P12ihipStream_tbEUlRKiE_EESK_SO_SP_mSQ_ST_bEUlT_E_NS1_11comp_targetILNS1_3genE3ELNS1_11target_archE908ELNS1_3gpuE7ELNS1_3repE0EEENS1_30default_config_static_selectorELNS0_4arch9wavefront6targetE0EEEvSN_, .Lfunc_end314-_ZN7rocprim17ROCPRIM_400000_NS6detail17trampoline_kernelINS0_14default_configENS1_27lower_bound_config_selectorIiiEEZNS1_14transform_implILb0ES3_S5_N6thrust23THRUST_200600_302600_NS6detail15normal_iteratorINS8_10device_ptrIiEEEESD_ZNS1_13binary_searchIS3_S5_SD_SD_SD_NS1_21lower_bound_search_opENS9_16wrapped_functionINS0_4lessIvEEbEEEE10hipError_tPvRmT1_T2_T3_mmT4_T5_P12ihipStream_tbEUlRKiE_EESK_SO_SP_mSQ_ST_bEUlT_E_NS1_11comp_targetILNS1_3genE3ELNS1_11target_archE908ELNS1_3gpuE7ELNS1_3repE0EEENS1_30default_config_static_selectorELNS0_4arch9wavefront6targetE0EEEvSN_
                                        ; -- End function
	.section	.AMDGPU.csdata,"",@progbits
; Kernel info:
; codeLenInByte = 0
; NumSgprs: 0
; NumVgprs: 0
; ScratchSize: 0
; MemoryBound: 0
; FloatMode: 240
; IeeeMode: 1
; LDSByteSize: 0 bytes/workgroup (compile time only)
; SGPRBlocks: 0
; VGPRBlocks: 0
; NumSGPRsForWavesPerEU: 1
; NumVGPRsForWavesPerEU: 1
; Occupancy: 16
; WaveLimiterHint : 0
; COMPUTE_PGM_RSRC2:SCRATCH_EN: 0
; COMPUTE_PGM_RSRC2:USER_SGPR: 15
; COMPUTE_PGM_RSRC2:TRAP_HANDLER: 0
; COMPUTE_PGM_RSRC2:TGID_X_EN: 1
; COMPUTE_PGM_RSRC2:TGID_Y_EN: 0
; COMPUTE_PGM_RSRC2:TGID_Z_EN: 0
; COMPUTE_PGM_RSRC2:TIDIG_COMP_CNT: 0
	.section	.text._ZN7rocprim17ROCPRIM_400000_NS6detail17trampoline_kernelINS0_14default_configENS1_27lower_bound_config_selectorIiiEEZNS1_14transform_implILb0ES3_S5_N6thrust23THRUST_200600_302600_NS6detail15normal_iteratorINS8_10device_ptrIiEEEESD_ZNS1_13binary_searchIS3_S5_SD_SD_SD_NS1_21lower_bound_search_opENS9_16wrapped_functionINS0_4lessIvEEbEEEE10hipError_tPvRmT1_T2_T3_mmT4_T5_P12ihipStream_tbEUlRKiE_EESK_SO_SP_mSQ_ST_bEUlT_E_NS1_11comp_targetILNS1_3genE2ELNS1_11target_archE906ELNS1_3gpuE6ELNS1_3repE0EEENS1_30default_config_static_selectorELNS0_4arch9wavefront6targetE0EEEvSN_,"axG",@progbits,_ZN7rocprim17ROCPRIM_400000_NS6detail17trampoline_kernelINS0_14default_configENS1_27lower_bound_config_selectorIiiEEZNS1_14transform_implILb0ES3_S5_N6thrust23THRUST_200600_302600_NS6detail15normal_iteratorINS8_10device_ptrIiEEEESD_ZNS1_13binary_searchIS3_S5_SD_SD_SD_NS1_21lower_bound_search_opENS9_16wrapped_functionINS0_4lessIvEEbEEEE10hipError_tPvRmT1_T2_T3_mmT4_T5_P12ihipStream_tbEUlRKiE_EESK_SO_SP_mSQ_ST_bEUlT_E_NS1_11comp_targetILNS1_3genE2ELNS1_11target_archE906ELNS1_3gpuE6ELNS1_3repE0EEENS1_30default_config_static_selectorELNS0_4arch9wavefront6targetE0EEEvSN_,comdat
	.protected	_ZN7rocprim17ROCPRIM_400000_NS6detail17trampoline_kernelINS0_14default_configENS1_27lower_bound_config_selectorIiiEEZNS1_14transform_implILb0ES3_S5_N6thrust23THRUST_200600_302600_NS6detail15normal_iteratorINS8_10device_ptrIiEEEESD_ZNS1_13binary_searchIS3_S5_SD_SD_SD_NS1_21lower_bound_search_opENS9_16wrapped_functionINS0_4lessIvEEbEEEE10hipError_tPvRmT1_T2_T3_mmT4_T5_P12ihipStream_tbEUlRKiE_EESK_SO_SP_mSQ_ST_bEUlT_E_NS1_11comp_targetILNS1_3genE2ELNS1_11target_archE906ELNS1_3gpuE6ELNS1_3repE0EEENS1_30default_config_static_selectorELNS0_4arch9wavefront6targetE0EEEvSN_ ; -- Begin function _ZN7rocprim17ROCPRIM_400000_NS6detail17trampoline_kernelINS0_14default_configENS1_27lower_bound_config_selectorIiiEEZNS1_14transform_implILb0ES3_S5_N6thrust23THRUST_200600_302600_NS6detail15normal_iteratorINS8_10device_ptrIiEEEESD_ZNS1_13binary_searchIS3_S5_SD_SD_SD_NS1_21lower_bound_search_opENS9_16wrapped_functionINS0_4lessIvEEbEEEE10hipError_tPvRmT1_T2_T3_mmT4_T5_P12ihipStream_tbEUlRKiE_EESK_SO_SP_mSQ_ST_bEUlT_E_NS1_11comp_targetILNS1_3genE2ELNS1_11target_archE906ELNS1_3gpuE6ELNS1_3repE0EEENS1_30default_config_static_selectorELNS0_4arch9wavefront6targetE0EEEvSN_
	.globl	_ZN7rocprim17ROCPRIM_400000_NS6detail17trampoline_kernelINS0_14default_configENS1_27lower_bound_config_selectorIiiEEZNS1_14transform_implILb0ES3_S5_N6thrust23THRUST_200600_302600_NS6detail15normal_iteratorINS8_10device_ptrIiEEEESD_ZNS1_13binary_searchIS3_S5_SD_SD_SD_NS1_21lower_bound_search_opENS9_16wrapped_functionINS0_4lessIvEEbEEEE10hipError_tPvRmT1_T2_T3_mmT4_T5_P12ihipStream_tbEUlRKiE_EESK_SO_SP_mSQ_ST_bEUlT_E_NS1_11comp_targetILNS1_3genE2ELNS1_11target_archE906ELNS1_3gpuE6ELNS1_3repE0EEENS1_30default_config_static_selectorELNS0_4arch9wavefront6targetE0EEEvSN_
	.p2align	8
	.type	_ZN7rocprim17ROCPRIM_400000_NS6detail17trampoline_kernelINS0_14default_configENS1_27lower_bound_config_selectorIiiEEZNS1_14transform_implILb0ES3_S5_N6thrust23THRUST_200600_302600_NS6detail15normal_iteratorINS8_10device_ptrIiEEEESD_ZNS1_13binary_searchIS3_S5_SD_SD_SD_NS1_21lower_bound_search_opENS9_16wrapped_functionINS0_4lessIvEEbEEEE10hipError_tPvRmT1_T2_T3_mmT4_T5_P12ihipStream_tbEUlRKiE_EESK_SO_SP_mSQ_ST_bEUlT_E_NS1_11comp_targetILNS1_3genE2ELNS1_11target_archE906ELNS1_3gpuE6ELNS1_3repE0EEENS1_30default_config_static_selectorELNS0_4arch9wavefront6targetE0EEEvSN_,@function
_ZN7rocprim17ROCPRIM_400000_NS6detail17trampoline_kernelINS0_14default_configENS1_27lower_bound_config_selectorIiiEEZNS1_14transform_implILb0ES3_S5_N6thrust23THRUST_200600_302600_NS6detail15normal_iteratorINS8_10device_ptrIiEEEESD_ZNS1_13binary_searchIS3_S5_SD_SD_SD_NS1_21lower_bound_search_opENS9_16wrapped_functionINS0_4lessIvEEbEEEE10hipError_tPvRmT1_T2_T3_mmT4_T5_P12ihipStream_tbEUlRKiE_EESK_SO_SP_mSQ_ST_bEUlT_E_NS1_11comp_targetILNS1_3genE2ELNS1_11target_archE906ELNS1_3gpuE6ELNS1_3repE0EEENS1_30default_config_static_selectorELNS0_4arch9wavefront6targetE0EEEvSN_: ; @_ZN7rocprim17ROCPRIM_400000_NS6detail17trampoline_kernelINS0_14default_configENS1_27lower_bound_config_selectorIiiEEZNS1_14transform_implILb0ES3_S5_N6thrust23THRUST_200600_302600_NS6detail15normal_iteratorINS8_10device_ptrIiEEEESD_ZNS1_13binary_searchIS3_S5_SD_SD_SD_NS1_21lower_bound_search_opENS9_16wrapped_functionINS0_4lessIvEEbEEEE10hipError_tPvRmT1_T2_T3_mmT4_T5_P12ihipStream_tbEUlRKiE_EESK_SO_SP_mSQ_ST_bEUlT_E_NS1_11comp_targetILNS1_3genE2ELNS1_11target_archE906ELNS1_3gpuE6ELNS1_3repE0EEENS1_30default_config_static_selectorELNS0_4arch9wavefront6targetE0EEEvSN_
; %bb.0:
	.section	.rodata,"a",@progbits
	.p2align	6, 0x0
	.amdhsa_kernel _ZN7rocprim17ROCPRIM_400000_NS6detail17trampoline_kernelINS0_14default_configENS1_27lower_bound_config_selectorIiiEEZNS1_14transform_implILb0ES3_S5_N6thrust23THRUST_200600_302600_NS6detail15normal_iteratorINS8_10device_ptrIiEEEESD_ZNS1_13binary_searchIS3_S5_SD_SD_SD_NS1_21lower_bound_search_opENS9_16wrapped_functionINS0_4lessIvEEbEEEE10hipError_tPvRmT1_T2_T3_mmT4_T5_P12ihipStream_tbEUlRKiE_EESK_SO_SP_mSQ_ST_bEUlT_E_NS1_11comp_targetILNS1_3genE2ELNS1_11target_archE906ELNS1_3gpuE6ELNS1_3repE0EEENS1_30default_config_static_selectorELNS0_4arch9wavefront6targetE0EEEvSN_
		.amdhsa_group_segment_fixed_size 0
		.amdhsa_private_segment_fixed_size 0
		.amdhsa_kernarg_size 56
		.amdhsa_user_sgpr_count 15
		.amdhsa_user_sgpr_dispatch_ptr 0
		.amdhsa_user_sgpr_queue_ptr 0
		.amdhsa_user_sgpr_kernarg_segment_ptr 1
		.amdhsa_user_sgpr_dispatch_id 0
		.amdhsa_user_sgpr_private_segment_size 0
		.amdhsa_wavefront_size32 1
		.amdhsa_uses_dynamic_stack 0
		.amdhsa_enable_private_segment 0
		.amdhsa_system_sgpr_workgroup_id_x 1
		.amdhsa_system_sgpr_workgroup_id_y 0
		.amdhsa_system_sgpr_workgroup_id_z 0
		.amdhsa_system_sgpr_workgroup_info 0
		.amdhsa_system_vgpr_workitem_id 0
		.amdhsa_next_free_vgpr 1
		.amdhsa_next_free_sgpr 1
		.amdhsa_reserve_vcc 0
		.amdhsa_float_round_mode_32 0
		.amdhsa_float_round_mode_16_64 0
		.amdhsa_float_denorm_mode_32 3
		.amdhsa_float_denorm_mode_16_64 3
		.amdhsa_dx10_clamp 1
		.amdhsa_ieee_mode 1
		.amdhsa_fp16_overflow 0
		.amdhsa_workgroup_processor_mode 1
		.amdhsa_memory_ordered 1
		.amdhsa_forward_progress 0
		.amdhsa_shared_vgpr_count 0
		.amdhsa_exception_fp_ieee_invalid_op 0
		.amdhsa_exception_fp_denorm_src 0
		.amdhsa_exception_fp_ieee_div_zero 0
		.amdhsa_exception_fp_ieee_overflow 0
		.amdhsa_exception_fp_ieee_underflow 0
		.amdhsa_exception_fp_ieee_inexact 0
		.amdhsa_exception_int_div_zero 0
	.end_amdhsa_kernel
	.section	.text._ZN7rocprim17ROCPRIM_400000_NS6detail17trampoline_kernelINS0_14default_configENS1_27lower_bound_config_selectorIiiEEZNS1_14transform_implILb0ES3_S5_N6thrust23THRUST_200600_302600_NS6detail15normal_iteratorINS8_10device_ptrIiEEEESD_ZNS1_13binary_searchIS3_S5_SD_SD_SD_NS1_21lower_bound_search_opENS9_16wrapped_functionINS0_4lessIvEEbEEEE10hipError_tPvRmT1_T2_T3_mmT4_T5_P12ihipStream_tbEUlRKiE_EESK_SO_SP_mSQ_ST_bEUlT_E_NS1_11comp_targetILNS1_3genE2ELNS1_11target_archE906ELNS1_3gpuE6ELNS1_3repE0EEENS1_30default_config_static_selectorELNS0_4arch9wavefront6targetE0EEEvSN_,"axG",@progbits,_ZN7rocprim17ROCPRIM_400000_NS6detail17trampoline_kernelINS0_14default_configENS1_27lower_bound_config_selectorIiiEEZNS1_14transform_implILb0ES3_S5_N6thrust23THRUST_200600_302600_NS6detail15normal_iteratorINS8_10device_ptrIiEEEESD_ZNS1_13binary_searchIS3_S5_SD_SD_SD_NS1_21lower_bound_search_opENS9_16wrapped_functionINS0_4lessIvEEbEEEE10hipError_tPvRmT1_T2_T3_mmT4_T5_P12ihipStream_tbEUlRKiE_EESK_SO_SP_mSQ_ST_bEUlT_E_NS1_11comp_targetILNS1_3genE2ELNS1_11target_archE906ELNS1_3gpuE6ELNS1_3repE0EEENS1_30default_config_static_selectorELNS0_4arch9wavefront6targetE0EEEvSN_,comdat
.Lfunc_end315:
	.size	_ZN7rocprim17ROCPRIM_400000_NS6detail17trampoline_kernelINS0_14default_configENS1_27lower_bound_config_selectorIiiEEZNS1_14transform_implILb0ES3_S5_N6thrust23THRUST_200600_302600_NS6detail15normal_iteratorINS8_10device_ptrIiEEEESD_ZNS1_13binary_searchIS3_S5_SD_SD_SD_NS1_21lower_bound_search_opENS9_16wrapped_functionINS0_4lessIvEEbEEEE10hipError_tPvRmT1_T2_T3_mmT4_T5_P12ihipStream_tbEUlRKiE_EESK_SO_SP_mSQ_ST_bEUlT_E_NS1_11comp_targetILNS1_3genE2ELNS1_11target_archE906ELNS1_3gpuE6ELNS1_3repE0EEENS1_30default_config_static_selectorELNS0_4arch9wavefront6targetE0EEEvSN_, .Lfunc_end315-_ZN7rocprim17ROCPRIM_400000_NS6detail17trampoline_kernelINS0_14default_configENS1_27lower_bound_config_selectorIiiEEZNS1_14transform_implILb0ES3_S5_N6thrust23THRUST_200600_302600_NS6detail15normal_iteratorINS8_10device_ptrIiEEEESD_ZNS1_13binary_searchIS3_S5_SD_SD_SD_NS1_21lower_bound_search_opENS9_16wrapped_functionINS0_4lessIvEEbEEEE10hipError_tPvRmT1_T2_T3_mmT4_T5_P12ihipStream_tbEUlRKiE_EESK_SO_SP_mSQ_ST_bEUlT_E_NS1_11comp_targetILNS1_3genE2ELNS1_11target_archE906ELNS1_3gpuE6ELNS1_3repE0EEENS1_30default_config_static_selectorELNS0_4arch9wavefront6targetE0EEEvSN_
                                        ; -- End function
	.section	.AMDGPU.csdata,"",@progbits
; Kernel info:
; codeLenInByte = 0
; NumSgprs: 0
; NumVgprs: 0
; ScratchSize: 0
; MemoryBound: 0
; FloatMode: 240
; IeeeMode: 1
; LDSByteSize: 0 bytes/workgroup (compile time only)
; SGPRBlocks: 0
; VGPRBlocks: 0
; NumSGPRsForWavesPerEU: 1
; NumVGPRsForWavesPerEU: 1
; Occupancy: 16
; WaveLimiterHint : 0
; COMPUTE_PGM_RSRC2:SCRATCH_EN: 0
; COMPUTE_PGM_RSRC2:USER_SGPR: 15
; COMPUTE_PGM_RSRC2:TRAP_HANDLER: 0
; COMPUTE_PGM_RSRC2:TGID_X_EN: 1
; COMPUTE_PGM_RSRC2:TGID_Y_EN: 0
; COMPUTE_PGM_RSRC2:TGID_Z_EN: 0
; COMPUTE_PGM_RSRC2:TIDIG_COMP_CNT: 0
	.section	.text._ZN7rocprim17ROCPRIM_400000_NS6detail17trampoline_kernelINS0_14default_configENS1_27lower_bound_config_selectorIiiEEZNS1_14transform_implILb0ES3_S5_N6thrust23THRUST_200600_302600_NS6detail15normal_iteratorINS8_10device_ptrIiEEEESD_ZNS1_13binary_searchIS3_S5_SD_SD_SD_NS1_21lower_bound_search_opENS9_16wrapped_functionINS0_4lessIvEEbEEEE10hipError_tPvRmT1_T2_T3_mmT4_T5_P12ihipStream_tbEUlRKiE_EESK_SO_SP_mSQ_ST_bEUlT_E_NS1_11comp_targetILNS1_3genE10ELNS1_11target_archE1201ELNS1_3gpuE5ELNS1_3repE0EEENS1_30default_config_static_selectorELNS0_4arch9wavefront6targetE0EEEvSN_,"axG",@progbits,_ZN7rocprim17ROCPRIM_400000_NS6detail17trampoline_kernelINS0_14default_configENS1_27lower_bound_config_selectorIiiEEZNS1_14transform_implILb0ES3_S5_N6thrust23THRUST_200600_302600_NS6detail15normal_iteratorINS8_10device_ptrIiEEEESD_ZNS1_13binary_searchIS3_S5_SD_SD_SD_NS1_21lower_bound_search_opENS9_16wrapped_functionINS0_4lessIvEEbEEEE10hipError_tPvRmT1_T2_T3_mmT4_T5_P12ihipStream_tbEUlRKiE_EESK_SO_SP_mSQ_ST_bEUlT_E_NS1_11comp_targetILNS1_3genE10ELNS1_11target_archE1201ELNS1_3gpuE5ELNS1_3repE0EEENS1_30default_config_static_selectorELNS0_4arch9wavefront6targetE0EEEvSN_,comdat
	.protected	_ZN7rocprim17ROCPRIM_400000_NS6detail17trampoline_kernelINS0_14default_configENS1_27lower_bound_config_selectorIiiEEZNS1_14transform_implILb0ES3_S5_N6thrust23THRUST_200600_302600_NS6detail15normal_iteratorINS8_10device_ptrIiEEEESD_ZNS1_13binary_searchIS3_S5_SD_SD_SD_NS1_21lower_bound_search_opENS9_16wrapped_functionINS0_4lessIvEEbEEEE10hipError_tPvRmT1_T2_T3_mmT4_T5_P12ihipStream_tbEUlRKiE_EESK_SO_SP_mSQ_ST_bEUlT_E_NS1_11comp_targetILNS1_3genE10ELNS1_11target_archE1201ELNS1_3gpuE5ELNS1_3repE0EEENS1_30default_config_static_selectorELNS0_4arch9wavefront6targetE0EEEvSN_ ; -- Begin function _ZN7rocprim17ROCPRIM_400000_NS6detail17trampoline_kernelINS0_14default_configENS1_27lower_bound_config_selectorIiiEEZNS1_14transform_implILb0ES3_S5_N6thrust23THRUST_200600_302600_NS6detail15normal_iteratorINS8_10device_ptrIiEEEESD_ZNS1_13binary_searchIS3_S5_SD_SD_SD_NS1_21lower_bound_search_opENS9_16wrapped_functionINS0_4lessIvEEbEEEE10hipError_tPvRmT1_T2_T3_mmT4_T5_P12ihipStream_tbEUlRKiE_EESK_SO_SP_mSQ_ST_bEUlT_E_NS1_11comp_targetILNS1_3genE10ELNS1_11target_archE1201ELNS1_3gpuE5ELNS1_3repE0EEENS1_30default_config_static_selectorELNS0_4arch9wavefront6targetE0EEEvSN_
	.globl	_ZN7rocprim17ROCPRIM_400000_NS6detail17trampoline_kernelINS0_14default_configENS1_27lower_bound_config_selectorIiiEEZNS1_14transform_implILb0ES3_S5_N6thrust23THRUST_200600_302600_NS6detail15normal_iteratorINS8_10device_ptrIiEEEESD_ZNS1_13binary_searchIS3_S5_SD_SD_SD_NS1_21lower_bound_search_opENS9_16wrapped_functionINS0_4lessIvEEbEEEE10hipError_tPvRmT1_T2_T3_mmT4_T5_P12ihipStream_tbEUlRKiE_EESK_SO_SP_mSQ_ST_bEUlT_E_NS1_11comp_targetILNS1_3genE10ELNS1_11target_archE1201ELNS1_3gpuE5ELNS1_3repE0EEENS1_30default_config_static_selectorELNS0_4arch9wavefront6targetE0EEEvSN_
	.p2align	8
	.type	_ZN7rocprim17ROCPRIM_400000_NS6detail17trampoline_kernelINS0_14default_configENS1_27lower_bound_config_selectorIiiEEZNS1_14transform_implILb0ES3_S5_N6thrust23THRUST_200600_302600_NS6detail15normal_iteratorINS8_10device_ptrIiEEEESD_ZNS1_13binary_searchIS3_S5_SD_SD_SD_NS1_21lower_bound_search_opENS9_16wrapped_functionINS0_4lessIvEEbEEEE10hipError_tPvRmT1_T2_T3_mmT4_T5_P12ihipStream_tbEUlRKiE_EESK_SO_SP_mSQ_ST_bEUlT_E_NS1_11comp_targetILNS1_3genE10ELNS1_11target_archE1201ELNS1_3gpuE5ELNS1_3repE0EEENS1_30default_config_static_selectorELNS0_4arch9wavefront6targetE0EEEvSN_,@function
_ZN7rocprim17ROCPRIM_400000_NS6detail17trampoline_kernelINS0_14default_configENS1_27lower_bound_config_selectorIiiEEZNS1_14transform_implILb0ES3_S5_N6thrust23THRUST_200600_302600_NS6detail15normal_iteratorINS8_10device_ptrIiEEEESD_ZNS1_13binary_searchIS3_S5_SD_SD_SD_NS1_21lower_bound_search_opENS9_16wrapped_functionINS0_4lessIvEEbEEEE10hipError_tPvRmT1_T2_T3_mmT4_T5_P12ihipStream_tbEUlRKiE_EESK_SO_SP_mSQ_ST_bEUlT_E_NS1_11comp_targetILNS1_3genE10ELNS1_11target_archE1201ELNS1_3gpuE5ELNS1_3repE0EEENS1_30default_config_static_selectorELNS0_4arch9wavefront6targetE0EEEvSN_: ; @_ZN7rocprim17ROCPRIM_400000_NS6detail17trampoline_kernelINS0_14default_configENS1_27lower_bound_config_selectorIiiEEZNS1_14transform_implILb0ES3_S5_N6thrust23THRUST_200600_302600_NS6detail15normal_iteratorINS8_10device_ptrIiEEEESD_ZNS1_13binary_searchIS3_S5_SD_SD_SD_NS1_21lower_bound_search_opENS9_16wrapped_functionINS0_4lessIvEEbEEEE10hipError_tPvRmT1_T2_T3_mmT4_T5_P12ihipStream_tbEUlRKiE_EESK_SO_SP_mSQ_ST_bEUlT_E_NS1_11comp_targetILNS1_3genE10ELNS1_11target_archE1201ELNS1_3gpuE5ELNS1_3repE0EEENS1_30default_config_static_selectorELNS0_4arch9wavefront6targetE0EEEvSN_
; %bb.0:
	.section	.rodata,"a",@progbits
	.p2align	6, 0x0
	.amdhsa_kernel _ZN7rocprim17ROCPRIM_400000_NS6detail17trampoline_kernelINS0_14default_configENS1_27lower_bound_config_selectorIiiEEZNS1_14transform_implILb0ES3_S5_N6thrust23THRUST_200600_302600_NS6detail15normal_iteratorINS8_10device_ptrIiEEEESD_ZNS1_13binary_searchIS3_S5_SD_SD_SD_NS1_21lower_bound_search_opENS9_16wrapped_functionINS0_4lessIvEEbEEEE10hipError_tPvRmT1_T2_T3_mmT4_T5_P12ihipStream_tbEUlRKiE_EESK_SO_SP_mSQ_ST_bEUlT_E_NS1_11comp_targetILNS1_3genE10ELNS1_11target_archE1201ELNS1_3gpuE5ELNS1_3repE0EEENS1_30default_config_static_selectorELNS0_4arch9wavefront6targetE0EEEvSN_
		.amdhsa_group_segment_fixed_size 0
		.amdhsa_private_segment_fixed_size 0
		.amdhsa_kernarg_size 56
		.amdhsa_user_sgpr_count 15
		.amdhsa_user_sgpr_dispatch_ptr 0
		.amdhsa_user_sgpr_queue_ptr 0
		.amdhsa_user_sgpr_kernarg_segment_ptr 1
		.amdhsa_user_sgpr_dispatch_id 0
		.amdhsa_user_sgpr_private_segment_size 0
		.amdhsa_wavefront_size32 1
		.amdhsa_uses_dynamic_stack 0
		.amdhsa_enable_private_segment 0
		.amdhsa_system_sgpr_workgroup_id_x 1
		.amdhsa_system_sgpr_workgroup_id_y 0
		.amdhsa_system_sgpr_workgroup_id_z 0
		.amdhsa_system_sgpr_workgroup_info 0
		.amdhsa_system_vgpr_workitem_id 0
		.amdhsa_next_free_vgpr 1
		.amdhsa_next_free_sgpr 1
		.amdhsa_reserve_vcc 0
		.amdhsa_float_round_mode_32 0
		.amdhsa_float_round_mode_16_64 0
		.amdhsa_float_denorm_mode_32 3
		.amdhsa_float_denorm_mode_16_64 3
		.amdhsa_dx10_clamp 1
		.amdhsa_ieee_mode 1
		.amdhsa_fp16_overflow 0
		.amdhsa_workgroup_processor_mode 1
		.amdhsa_memory_ordered 1
		.amdhsa_forward_progress 0
		.amdhsa_shared_vgpr_count 0
		.amdhsa_exception_fp_ieee_invalid_op 0
		.amdhsa_exception_fp_denorm_src 0
		.amdhsa_exception_fp_ieee_div_zero 0
		.amdhsa_exception_fp_ieee_overflow 0
		.amdhsa_exception_fp_ieee_underflow 0
		.amdhsa_exception_fp_ieee_inexact 0
		.amdhsa_exception_int_div_zero 0
	.end_amdhsa_kernel
	.section	.text._ZN7rocprim17ROCPRIM_400000_NS6detail17trampoline_kernelINS0_14default_configENS1_27lower_bound_config_selectorIiiEEZNS1_14transform_implILb0ES3_S5_N6thrust23THRUST_200600_302600_NS6detail15normal_iteratorINS8_10device_ptrIiEEEESD_ZNS1_13binary_searchIS3_S5_SD_SD_SD_NS1_21lower_bound_search_opENS9_16wrapped_functionINS0_4lessIvEEbEEEE10hipError_tPvRmT1_T2_T3_mmT4_T5_P12ihipStream_tbEUlRKiE_EESK_SO_SP_mSQ_ST_bEUlT_E_NS1_11comp_targetILNS1_3genE10ELNS1_11target_archE1201ELNS1_3gpuE5ELNS1_3repE0EEENS1_30default_config_static_selectorELNS0_4arch9wavefront6targetE0EEEvSN_,"axG",@progbits,_ZN7rocprim17ROCPRIM_400000_NS6detail17trampoline_kernelINS0_14default_configENS1_27lower_bound_config_selectorIiiEEZNS1_14transform_implILb0ES3_S5_N6thrust23THRUST_200600_302600_NS6detail15normal_iteratorINS8_10device_ptrIiEEEESD_ZNS1_13binary_searchIS3_S5_SD_SD_SD_NS1_21lower_bound_search_opENS9_16wrapped_functionINS0_4lessIvEEbEEEE10hipError_tPvRmT1_T2_T3_mmT4_T5_P12ihipStream_tbEUlRKiE_EESK_SO_SP_mSQ_ST_bEUlT_E_NS1_11comp_targetILNS1_3genE10ELNS1_11target_archE1201ELNS1_3gpuE5ELNS1_3repE0EEENS1_30default_config_static_selectorELNS0_4arch9wavefront6targetE0EEEvSN_,comdat
.Lfunc_end316:
	.size	_ZN7rocprim17ROCPRIM_400000_NS6detail17trampoline_kernelINS0_14default_configENS1_27lower_bound_config_selectorIiiEEZNS1_14transform_implILb0ES3_S5_N6thrust23THRUST_200600_302600_NS6detail15normal_iteratorINS8_10device_ptrIiEEEESD_ZNS1_13binary_searchIS3_S5_SD_SD_SD_NS1_21lower_bound_search_opENS9_16wrapped_functionINS0_4lessIvEEbEEEE10hipError_tPvRmT1_T2_T3_mmT4_T5_P12ihipStream_tbEUlRKiE_EESK_SO_SP_mSQ_ST_bEUlT_E_NS1_11comp_targetILNS1_3genE10ELNS1_11target_archE1201ELNS1_3gpuE5ELNS1_3repE0EEENS1_30default_config_static_selectorELNS0_4arch9wavefront6targetE0EEEvSN_, .Lfunc_end316-_ZN7rocprim17ROCPRIM_400000_NS6detail17trampoline_kernelINS0_14default_configENS1_27lower_bound_config_selectorIiiEEZNS1_14transform_implILb0ES3_S5_N6thrust23THRUST_200600_302600_NS6detail15normal_iteratorINS8_10device_ptrIiEEEESD_ZNS1_13binary_searchIS3_S5_SD_SD_SD_NS1_21lower_bound_search_opENS9_16wrapped_functionINS0_4lessIvEEbEEEE10hipError_tPvRmT1_T2_T3_mmT4_T5_P12ihipStream_tbEUlRKiE_EESK_SO_SP_mSQ_ST_bEUlT_E_NS1_11comp_targetILNS1_3genE10ELNS1_11target_archE1201ELNS1_3gpuE5ELNS1_3repE0EEENS1_30default_config_static_selectorELNS0_4arch9wavefront6targetE0EEEvSN_
                                        ; -- End function
	.section	.AMDGPU.csdata,"",@progbits
; Kernel info:
; codeLenInByte = 0
; NumSgprs: 0
; NumVgprs: 0
; ScratchSize: 0
; MemoryBound: 0
; FloatMode: 240
; IeeeMode: 1
; LDSByteSize: 0 bytes/workgroup (compile time only)
; SGPRBlocks: 0
; VGPRBlocks: 0
; NumSGPRsForWavesPerEU: 1
; NumVGPRsForWavesPerEU: 1
; Occupancy: 16
; WaveLimiterHint : 0
; COMPUTE_PGM_RSRC2:SCRATCH_EN: 0
; COMPUTE_PGM_RSRC2:USER_SGPR: 15
; COMPUTE_PGM_RSRC2:TRAP_HANDLER: 0
; COMPUTE_PGM_RSRC2:TGID_X_EN: 1
; COMPUTE_PGM_RSRC2:TGID_Y_EN: 0
; COMPUTE_PGM_RSRC2:TGID_Z_EN: 0
; COMPUTE_PGM_RSRC2:TIDIG_COMP_CNT: 0
	.section	.text._ZN7rocprim17ROCPRIM_400000_NS6detail17trampoline_kernelINS0_14default_configENS1_27lower_bound_config_selectorIiiEEZNS1_14transform_implILb0ES3_S5_N6thrust23THRUST_200600_302600_NS6detail15normal_iteratorINS8_10device_ptrIiEEEESD_ZNS1_13binary_searchIS3_S5_SD_SD_SD_NS1_21lower_bound_search_opENS9_16wrapped_functionINS0_4lessIvEEbEEEE10hipError_tPvRmT1_T2_T3_mmT4_T5_P12ihipStream_tbEUlRKiE_EESK_SO_SP_mSQ_ST_bEUlT_E_NS1_11comp_targetILNS1_3genE10ELNS1_11target_archE1200ELNS1_3gpuE4ELNS1_3repE0EEENS1_30default_config_static_selectorELNS0_4arch9wavefront6targetE0EEEvSN_,"axG",@progbits,_ZN7rocprim17ROCPRIM_400000_NS6detail17trampoline_kernelINS0_14default_configENS1_27lower_bound_config_selectorIiiEEZNS1_14transform_implILb0ES3_S5_N6thrust23THRUST_200600_302600_NS6detail15normal_iteratorINS8_10device_ptrIiEEEESD_ZNS1_13binary_searchIS3_S5_SD_SD_SD_NS1_21lower_bound_search_opENS9_16wrapped_functionINS0_4lessIvEEbEEEE10hipError_tPvRmT1_T2_T3_mmT4_T5_P12ihipStream_tbEUlRKiE_EESK_SO_SP_mSQ_ST_bEUlT_E_NS1_11comp_targetILNS1_3genE10ELNS1_11target_archE1200ELNS1_3gpuE4ELNS1_3repE0EEENS1_30default_config_static_selectorELNS0_4arch9wavefront6targetE0EEEvSN_,comdat
	.protected	_ZN7rocprim17ROCPRIM_400000_NS6detail17trampoline_kernelINS0_14default_configENS1_27lower_bound_config_selectorIiiEEZNS1_14transform_implILb0ES3_S5_N6thrust23THRUST_200600_302600_NS6detail15normal_iteratorINS8_10device_ptrIiEEEESD_ZNS1_13binary_searchIS3_S5_SD_SD_SD_NS1_21lower_bound_search_opENS9_16wrapped_functionINS0_4lessIvEEbEEEE10hipError_tPvRmT1_T2_T3_mmT4_T5_P12ihipStream_tbEUlRKiE_EESK_SO_SP_mSQ_ST_bEUlT_E_NS1_11comp_targetILNS1_3genE10ELNS1_11target_archE1200ELNS1_3gpuE4ELNS1_3repE0EEENS1_30default_config_static_selectorELNS0_4arch9wavefront6targetE0EEEvSN_ ; -- Begin function _ZN7rocprim17ROCPRIM_400000_NS6detail17trampoline_kernelINS0_14default_configENS1_27lower_bound_config_selectorIiiEEZNS1_14transform_implILb0ES3_S5_N6thrust23THRUST_200600_302600_NS6detail15normal_iteratorINS8_10device_ptrIiEEEESD_ZNS1_13binary_searchIS3_S5_SD_SD_SD_NS1_21lower_bound_search_opENS9_16wrapped_functionINS0_4lessIvEEbEEEE10hipError_tPvRmT1_T2_T3_mmT4_T5_P12ihipStream_tbEUlRKiE_EESK_SO_SP_mSQ_ST_bEUlT_E_NS1_11comp_targetILNS1_3genE10ELNS1_11target_archE1200ELNS1_3gpuE4ELNS1_3repE0EEENS1_30default_config_static_selectorELNS0_4arch9wavefront6targetE0EEEvSN_
	.globl	_ZN7rocprim17ROCPRIM_400000_NS6detail17trampoline_kernelINS0_14default_configENS1_27lower_bound_config_selectorIiiEEZNS1_14transform_implILb0ES3_S5_N6thrust23THRUST_200600_302600_NS6detail15normal_iteratorINS8_10device_ptrIiEEEESD_ZNS1_13binary_searchIS3_S5_SD_SD_SD_NS1_21lower_bound_search_opENS9_16wrapped_functionINS0_4lessIvEEbEEEE10hipError_tPvRmT1_T2_T3_mmT4_T5_P12ihipStream_tbEUlRKiE_EESK_SO_SP_mSQ_ST_bEUlT_E_NS1_11comp_targetILNS1_3genE10ELNS1_11target_archE1200ELNS1_3gpuE4ELNS1_3repE0EEENS1_30default_config_static_selectorELNS0_4arch9wavefront6targetE0EEEvSN_
	.p2align	8
	.type	_ZN7rocprim17ROCPRIM_400000_NS6detail17trampoline_kernelINS0_14default_configENS1_27lower_bound_config_selectorIiiEEZNS1_14transform_implILb0ES3_S5_N6thrust23THRUST_200600_302600_NS6detail15normal_iteratorINS8_10device_ptrIiEEEESD_ZNS1_13binary_searchIS3_S5_SD_SD_SD_NS1_21lower_bound_search_opENS9_16wrapped_functionINS0_4lessIvEEbEEEE10hipError_tPvRmT1_T2_T3_mmT4_T5_P12ihipStream_tbEUlRKiE_EESK_SO_SP_mSQ_ST_bEUlT_E_NS1_11comp_targetILNS1_3genE10ELNS1_11target_archE1200ELNS1_3gpuE4ELNS1_3repE0EEENS1_30default_config_static_selectorELNS0_4arch9wavefront6targetE0EEEvSN_,@function
_ZN7rocprim17ROCPRIM_400000_NS6detail17trampoline_kernelINS0_14default_configENS1_27lower_bound_config_selectorIiiEEZNS1_14transform_implILb0ES3_S5_N6thrust23THRUST_200600_302600_NS6detail15normal_iteratorINS8_10device_ptrIiEEEESD_ZNS1_13binary_searchIS3_S5_SD_SD_SD_NS1_21lower_bound_search_opENS9_16wrapped_functionINS0_4lessIvEEbEEEE10hipError_tPvRmT1_T2_T3_mmT4_T5_P12ihipStream_tbEUlRKiE_EESK_SO_SP_mSQ_ST_bEUlT_E_NS1_11comp_targetILNS1_3genE10ELNS1_11target_archE1200ELNS1_3gpuE4ELNS1_3repE0EEENS1_30default_config_static_selectorELNS0_4arch9wavefront6targetE0EEEvSN_: ; @_ZN7rocprim17ROCPRIM_400000_NS6detail17trampoline_kernelINS0_14default_configENS1_27lower_bound_config_selectorIiiEEZNS1_14transform_implILb0ES3_S5_N6thrust23THRUST_200600_302600_NS6detail15normal_iteratorINS8_10device_ptrIiEEEESD_ZNS1_13binary_searchIS3_S5_SD_SD_SD_NS1_21lower_bound_search_opENS9_16wrapped_functionINS0_4lessIvEEbEEEE10hipError_tPvRmT1_T2_T3_mmT4_T5_P12ihipStream_tbEUlRKiE_EESK_SO_SP_mSQ_ST_bEUlT_E_NS1_11comp_targetILNS1_3genE10ELNS1_11target_archE1200ELNS1_3gpuE4ELNS1_3repE0EEENS1_30default_config_static_selectorELNS0_4arch9wavefront6targetE0EEEvSN_
; %bb.0:
	.section	.rodata,"a",@progbits
	.p2align	6, 0x0
	.amdhsa_kernel _ZN7rocprim17ROCPRIM_400000_NS6detail17trampoline_kernelINS0_14default_configENS1_27lower_bound_config_selectorIiiEEZNS1_14transform_implILb0ES3_S5_N6thrust23THRUST_200600_302600_NS6detail15normal_iteratorINS8_10device_ptrIiEEEESD_ZNS1_13binary_searchIS3_S5_SD_SD_SD_NS1_21lower_bound_search_opENS9_16wrapped_functionINS0_4lessIvEEbEEEE10hipError_tPvRmT1_T2_T3_mmT4_T5_P12ihipStream_tbEUlRKiE_EESK_SO_SP_mSQ_ST_bEUlT_E_NS1_11comp_targetILNS1_3genE10ELNS1_11target_archE1200ELNS1_3gpuE4ELNS1_3repE0EEENS1_30default_config_static_selectorELNS0_4arch9wavefront6targetE0EEEvSN_
		.amdhsa_group_segment_fixed_size 0
		.amdhsa_private_segment_fixed_size 0
		.amdhsa_kernarg_size 56
		.amdhsa_user_sgpr_count 15
		.amdhsa_user_sgpr_dispatch_ptr 0
		.amdhsa_user_sgpr_queue_ptr 0
		.amdhsa_user_sgpr_kernarg_segment_ptr 1
		.amdhsa_user_sgpr_dispatch_id 0
		.amdhsa_user_sgpr_private_segment_size 0
		.amdhsa_wavefront_size32 1
		.amdhsa_uses_dynamic_stack 0
		.amdhsa_enable_private_segment 0
		.amdhsa_system_sgpr_workgroup_id_x 1
		.amdhsa_system_sgpr_workgroup_id_y 0
		.amdhsa_system_sgpr_workgroup_id_z 0
		.amdhsa_system_sgpr_workgroup_info 0
		.amdhsa_system_vgpr_workitem_id 0
		.amdhsa_next_free_vgpr 1
		.amdhsa_next_free_sgpr 1
		.amdhsa_reserve_vcc 0
		.amdhsa_float_round_mode_32 0
		.amdhsa_float_round_mode_16_64 0
		.amdhsa_float_denorm_mode_32 3
		.amdhsa_float_denorm_mode_16_64 3
		.amdhsa_dx10_clamp 1
		.amdhsa_ieee_mode 1
		.amdhsa_fp16_overflow 0
		.amdhsa_workgroup_processor_mode 1
		.amdhsa_memory_ordered 1
		.amdhsa_forward_progress 0
		.amdhsa_shared_vgpr_count 0
		.amdhsa_exception_fp_ieee_invalid_op 0
		.amdhsa_exception_fp_denorm_src 0
		.amdhsa_exception_fp_ieee_div_zero 0
		.amdhsa_exception_fp_ieee_overflow 0
		.amdhsa_exception_fp_ieee_underflow 0
		.amdhsa_exception_fp_ieee_inexact 0
		.amdhsa_exception_int_div_zero 0
	.end_amdhsa_kernel
	.section	.text._ZN7rocprim17ROCPRIM_400000_NS6detail17trampoline_kernelINS0_14default_configENS1_27lower_bound_config_selectorIiiEEZNS1_14transform_implILb0ES3_S5_N6thrust23THRUST_200600_302600_NS6detail15normal_iteratorINS8_10device_ptrIiEEEESD_ZNS1_13binary_searchIS3_S5_SD_SD_SD_NS1_21lower_bound_search_opENS9_16wrapped_functionINS0_4lessIvEEbEEEE10hipError_tPvRmT1_T2_T3_mmT4_T5_P12ihipStream_tbEUlRKiE_EESK_SO_SP_mSQ_ST_bEUlT_E_NS1_11comp_targetILNS1_3genE10ELNS1_11target_archE1200ELNS1_3gpuE4ELNS1_3repE0EEENS1_30default_config_static_selectorELNS0_4arch9wavefront6targetE0EEEvSN_,"axG",@progbits,_ZN7rocprim17ROCPRIM_400000_NS6detail17trampoline_kernelINS0_14default_configENS1_27lower_bound_config_selectorIiiEEZNS1_14transform_implILb0ES3_S5_N6thrust23THRUST_200600_302600_NS6detail15normal_iteratorINS8_10device_ptrIiEEEESD_ZNS1_13binary_searchIS3_S5_SD_SD_SD_NS1_21lower_bound_search_opENS9_16wrapped_functionINS0_4lessIvEEbEEEE10hipError_tPvRmT1_T2_T3_mmT4_T5_P12ihipStream_tbEUlRKiE_EESK_SO_SP_mSQ_ST_bEUlT_E_NS1_11comp_targetILNS1_3genE10ELNS1_11target_archE1200ELNS1_3gpuE4ELNS1_3repE0EEENS1_30default_config_static_selectorELNS0_4arch9wavefront6targetE0EEEvSN_,comdat
.Lfunc_end317:
	.size	_ZN7rocprim17ROCPRIM_400000_NS6detail17trampoline_kernelINS0_14default_configENS1_27lower_bound_config_selectorIiiEEZNS1_14transform_implILb0ES3_S5_N6thrust23THRUST_200600_302600_NS6detail15normal_iteratorINS8_10device_ptrIiEEEESD_ZNS1_13binary_searchIS3_S5_SD_SD_SD_NS1_21lower_bound_search_opENS9_16wrapped_functionINS0_4lessIvEEbEEEE10hipError_tPvRmT1_T2_T3_mmT4_T5_P12ihipStream_tbEUlRKiE_EESK_SO_SP_mSQ_ST_bEUlT_E_NS1_11comp_targetILNS1_3genE10ELNS1_11target_archE1200ELNS1_3gpuE4ELNS1_3repE0EEENS1_30default_config_static_selectorELNS0_4arch9wavefront6targetE0EEEvSN_, .Lfunc_end317-_ZN7rocprim17ROCPRIM_400000_NS6detail17trampoline_kernelINS0_14default_configENS1_27lower_bound_config_selectorIiiEEZNS1_14transform_implILb0ES3_S5_N6thrust23THRUST_200600_302600_NS6detail15normal_iteratorINS8_10device_ptrIiEEEESD_ZNS1_13binary_searchIS3_S5_SD_SD_SD_NS1_21lower_bound_search_opENS9_16wrapped_functionINS0_4lessIvEEbEEEE10hipError_tPvRmT1_T2_T3_mmT4_T5_P12ihipStream_tbEUlRKiE_EESK_SO_SP_mSQ_ST_bEUlT_E_NS1_11comp_targetILNS1_3genE10ELNS1_11target_archE1200ELNS1_3gpuE4ELNS1_3repE0EEENS1_30default_config_static_selectorELNS0_4arch9wavefront6targetE0EEEvSN_
                                        ; -- End function
	.section	.AMDGPU.csdata,"",@progbits
; Kernel info:
; codeLenInByte = 0
; NumSgprs: 0
; NumVgprs: 0
; ScratchSize: 0
; MemoryBound: 0
; FloatMode: 240
; IeeeMode: 1
; LDSByteSize: 0 bytes/workgroup (compile time only)
; SGPRBlocks: 0
; VGPRBlocks: 0
; NumSGPRsForWavesPerEU: 1
; NumVGPRsForWavesPerEU: 1
; Occupancy: 16
; WaveLimiterHint : 0
; COMPUTE_PGM_RSRC2:SCRATCH_EN: 0
; COMPUTE_PGM_RSRC2:USER_SGPR: 15
; COMPUTE_PGM_RSRC2:TRAP_HANDLER: 0
; COMPUTE_PGM_RSRC2:TGID_X_EN: 1
; COMPUTE_PGM_RSRC2:TGID_Y_EN: 0
; COMPUTE_PGM_RSRC2:TGID_Z_EN: 0
; COMPUTE_PGM_RSRC2:TIDIG_COMP_CNT: 0
	.section	.text._ZN7rocprim17ROCPRIM_400000_NS6detail17trampoline_kernelINS0_14default_configENS1_27lower_bound_config_selectorIiiEEZNS1_14transform_implILb0ES3_S5_N6thrust23THRUST_200600_302600_NS6detail15normal_iteratorINS8_10device_ptrIiEEEESD_ZNS1_13binary_searchIS3_S5_SD_SD_SD_NS1_21lower_bound_search_opENS9_16wrapped_functionINS0_4lessIvEEbEEEE10hipError_tPvRmT1_T2_T3_mmT4_T5_P12ihipStream_tbEUlRKiE_EESK_SO_SP_mSQ_ST_bEUlT_E_NS1_11comp_targetILNS1_3genE9ELNS1_11target_archE1100ELNS1_3gpuE3ELNS1_3repE0EEENS1_30default_config_static_selectorELNS0_4arch9wavefront6targetE0EEEvSN_,"axG",@progbits,_ZN7rocprim17ROCPRIM_400000_NS6detail17trampoline_kernelINS0_14default_configENS1_27lower_bound_config_selectorIiiEEZNS1_14transform_implILb0ES3_S5_N6thrust23THRUST_200600_302600_NS6detail15normal_iteratorINS8_10device_ptrIiEEEESD_ZNS1_13binary_searchIS3_S5_SD_SD_SD_NS1_21lower_bound_search_opENS9_16wrapped_functionINS0_4lessIvEEbEEEE10hipError_tPvRmT1_T2_T3_mmT4_T5_P12ihipStream_tbEUlRKiE_EESK_SO_SP_mSQ_ST_bEUlT_E_NS1_11comp_targetILNS1_3genE9ELNS1_11target_archE1100ELNS1_3gpuE3ELNS1_3repE0EEENS1_30default_config_static_selectorELNS0_4arch9wavefront6targetE0EEEvSN_,comdat
	.protected	_ZN7rocprim17ROCPRIM_400000_NS6detail17trampoline_kernelINS0_14default_configENS1_27lower_bound_config_selectorIiiEEZNS1_14transform_implILb0ES3_S5_N6thrust23THRUST_200600_302600_NS6detail15normal_iteratorINS8_10device_ptrIiEEEESD_ZNS1_13binary_searchIS3_S5_SD_SD_SD_NS1_21lower_bound_search_opENS9_16wrapped_functionINS0_4lessIvEEbEEEE10hipError_tPvRmT1_T2_T3_mmT4_T5_P12ihipStream_tbEUlRKiE_EESK_SO_SP_mSQ_ST_bEUlT_E_NS1_11comp_targetILNS1_3genE9ELNS1_11target_archE1100ELNS1_3gpuE3ELNS1_3repE0EEENS1_30default_config_static_selectorELNS0_4arch9wavefront6targetE0EEEvSN_ ; -- Begin function _ZN7rocprim17ROCPRIM_400000_NS6detail17trampoline_kernelINS0_14default_configENS1_27lower_bound_config_selectorIiiEEZNS1_14transform_implILb0ES3_S5_N6thrust23THRUST_200600_302600_NS6detail15normal_iteratorINS8_10device_ptrIiEEEESD_ZNS1_13binary_searchIS3_S5_SD_SD_SD_NS1_21lower_bound_search_opENS9_16wrapped_functionINS0_4lessIvEEbEEEE10hipError_tPvRmT1_T2_T3_mmT4_T5_P12ihipStream_tbEUlRKiE_EESK_SO_SP_mSQ_ST_bEUlT_E_NS1_11comp_targetILNS1_3genE9ELNS1_11target_archE1100ELNS1_3gpuE3ELNS1_3repE0EEENS1_30default_config_static_selectorELNS0_4arch9wavefront6targetE0EEEvSN_
	.globl	_ZN7rocprim17ROCPRIM_400000_NS6detail17trampoline_kernelINS0_14default_configENS1_27lower_bound_config_selectorIiiEEZNS1_14transform_implILb0ES3_S5_N6thrust23THRUST_200600_302600_NS6detail15normal_iteratorINS8_10device_ptrIiEEEESD_ZNS1_13binary_searchIS3_S5_SD_SD_SD_NS1_21lower_bound_search_opENS9_16wrapped_functionINS0_4lessIvEEbEEEE10hipError_tPvRmT1_T2_T3_mmT4_T5_P12ihipStream_tbEUlRKiE_EESK_SO_SP_mSQ_ST_bEUlT_E_NS1_11comp_targetILNS1_3genE9ELNS1_11target_archE1100ELNS1_3gpuE3ELNS1_3repE0EEENS1_30default_config_static_selectorELNS0_4arch9wavefront6targetE0EEEvSN_
	.p2align	8
	.type	_ZN7rocprim17ROCPRIM_400000_NS6detail17trampoline_kernelINS0_14default_configENS1_27lower_bound_config_selectorIiiEEZNS1_14transform_implILb0ES3_S5_N6thrust23THRUST_200600_302600_NS6detail15normal_iteratorINS8_10device_ptrIiEEEESD_ZNS1_13binary_searchIS3_S5_SD_SD_SD_NS1_21lower_bound_search_opENS9_16wrapped_functionINS0_4lessIvEEbEEEE10hipError_tPvRmT1_T2_T3_mmT4_T5_P12ihipStream_tbEUlRKiE_EESK_SO_SP_mSQ_ST_bEUlT_E_NS1_11comp_targetILNS1_3genE9ELNS1_11target_archE1100ELNS1_3gpuE3ELNS1_3repE0EEENS1_30default_config_static_selectorELNS0_4arch9wavefront6targetE0EEEvSN_,@function
_ZN7rocprim17ROCPRIM_400000_NS6detail17trampoline_kernelINS0_14default_configENS1_27lower_bound_config_selectorIiiEEZNS1_14transform_implILb0ES3_S5_N6thrust23THRUST_200600_302600_NS6detail15normal_iteratorINS8_10device_ptrIiEEEESD_ZNS1_13binary_searchIS3_S5_SD_SD_SD_NS1_21lower_bound_search_opENS9_16wrapped_functionINS0_4lessIvEEbEEEE10hipError_tPvRmT1_T2_T3_mmT4_T5_P12ihipStream_tbEUlRKiE_EESK_SO_SP_mSQ_ST_bEUlT_E_NS1_11comp_targetILNS1_3genE9ELNS1_11target_archE1100ELNS1_3gpuE3ELNS1_3repE0EEENS1_30default_config_static_selectorELNS0_4arch9wavefront6targetE0EEEvSN_: ; @_ZN7rocprim17ROCPRIM_400000_NS6detail17trampoline_kernelINS0_14default_configENS1_27lower_bound_config_selectorIiiEEZNS1_14transform_implILb0ES3_S5_N6thrust23THRUST_200600_302600_NS6detail15normal_iteratorINS8_10device_ptrIiEEEESD_ZNS1_13binary_searchIS3_S5_SD_SD_SD_NS1_21lower_bound_search_opENS9_16wrapped_functionINS0_4lessIvEEbEEEE10hipError_tPvRmT1_T2_T3_mmT4_T5_P12ihipStream_tbEUlRKiE_EESK_SO_SP_mSQ_ST_bEUlT_E_NS1_11comp_targetILNS1_3genE9ELNS1_11target_archE1100ELNS1_3gpuE3ELNS1_3repE0EEENS1_30default_config_static_selectorELNS0_4arch9wavefront6targetE0EEEvSN_
; %bb.0:
	s_clause 0x3
	s_load_b128 s[16:19], s[0:1], 0x0
	s_load_b128 s[4:7], s[0:1], 0x18
	s_load_b32 s12, s[0:1], 0x38
	s_load_b64 s[8:9], s[0:1], 0x28
	s_waitcnt lgkmcnt(0)
	s_lshl_b64 s[2:3], s[18:19], 2
	s_delay_alu instid0(SALU_CYCLE_1)
	s_add_u32 s10, s16, s2
	s_addc_u32 s11, s17, s3
	s_add_u32 s4, s4, s2
	s_addc_u32 s5, s5, s3
	s_add_i32 s12, s12, -1
	s_lshl_b32 s2, s15, 7
	s_mov_b32 s3, 0
	s_cmp_lg_u32 s15, s12
	s_mov_b32 s12, -1
	s_cbranch_scc0 .LBB318_6
; %bb.1:
	v_mov_b32_e32 v1, 0
	s_cmp_eq_u64 s[8:9], 0
	s_cbranch_scc1 .LBB318_5
; %bb.2:
	v_lshlrev_b32_e32 v1, 2, v0
	s_lshl_b64 s[12:13], s[2:3], 2
	v_dual_mov_b32 v3, s8 :: v_dual_mov_b32 v4, s9
	s_add_u32 s12, s10, s12
	s_addc_u32 s13, s11, s13
	v_add_co_u32 v1, s12, s12, v1
	s_delay_alu instid0(VALU_DEP_1)
	v_add_co_ci_u32_e64 v2, null, s13, 0, s12
	s_mov_b32 s12, 0
	flat_load_b32 v5, v[1:2]
	v_mov_b32_e32 v1, 0
	v_mov_b32_e32 v2, 0
	.p2align	6
.LBB318_3:                              ; =>This Inner Loop Header: Depth=1
	s_delay_alu instid0(VALU_DEP_2) | instskip(NEXT) | instid1(VALU_DEP_2)
	v_sub_co_u32 v6, vcc_lo, v3, v1
	v_sub_co_ci_u32_e32 v7, vcc_lo, v4, v2, vcc_lo
	s_delay_alu instid0(VALU_DEP_1) | instskip(SKIP_1) | instid1(VALU_DEP_2)
	v_lshrrev_b64 v[8:9], 1, v[6:7]
	v_lshrrev_b64 v[6:7], 6, v[6:7]
	v_add_co_u32 v8, vcc_lo, v8, v1
	s_delay_alu instid0(VALU_DEP_3) | instskip(NEXT) | instid1(VALU_DEP_2)
	v_add_co_ci_u32_e32 v9, vcc_lo, v9, v2, vcc_lo
	v_add_co_u32 v6, vcc_lo, v8, v6
	s_delay_alu instid0(VALU_DEP_2) | instskip(NEXT) | instid1(VALU_DEP_1)
	v_add_co_ci_u32_e32 v7, vcc_lo, v9, v7, vcc_lo
	v_lshlrev_b64 v[8:9], 2, v[6:7]
	s_delay_alu instid0(VALU_DEP_1) | instskip(NEXT) | instid1(VALU_DEP_2)
	v_add_co_u32 v8, vcc_lo, s6, v8
	v_add_co_ci_u32_e32 v9, vcc_lo, s7, v9, vcc_lo
	global_load_b32 v8, v[8:9], off
	v_add_co_u32 v9, vcc_lo, v6, 1
	v_add_co_ci_u32_e32 v10, vcc_lo, 0, v7, vcc_lo
	s_waitcnt vmcnt(0) lgkmcnt(0)
	v_cmp_lt_i32_e32 vcc_lo, v8, v5
	v_dual_cndmask_b32 v4, v7, v4 :: v_dual_cndmask_b32 v3, v6, v3
	s_delay_alu instid0(VALU_DEP_3) | instskip(NEXT) | instid1(VALU_DEP_1)
	v_dual_cndmask_b32 v2, v2, v10 :: v_dual_cndmask_b32 v1, v1, v9
	v_cmp_ge_u64_e32 vcc_lo, v[1:2], v[3:4]
	s_or_b32 s12, vcc_lo, s12
	s_delay_alu instid0(SALU_CYCLE_1)
	s_and_not1_b32 exec_lo, exec_lo, s12
	s_cbranch_execnz .LBB318_3
; %bb.4:
	s_or_b32 exec_lo, exec_lo, s12
.LBB318_5:
	v_lshlrev_b32_e32 v2, 2, v0
	s_lshl_b64 s[12:13], s[2:3], 2
	s_delay_alu instid0(SALU_CYCLE_1) | instskip(SKIP_1) | instid1(VALU_DEP_1)
	s_add_u32 s12, s4, s12
	s_addc_u32 s13, s5, s13
	v_add_co_u32 v2, s12, s12, v2
	s_delay_alu instid0(VALU_DEP_1)
	v_add_co_ci_u32_e64 v3, null, s13, 0, s12
	s_mov_b32 s12, 0
	flat_store_b32 v[2:3], v1
.LBB318_6:
	s_and_b32 vcc_lo, exec_lo, s12
	s_cbranch_vccz .LBB318_11
; %bb.7:
	s_load_b32 s0, s[0:1], 0x10
                                        ; implicit-def: $vgpr5
	s_waitcnt lgkmcnt(0)
	s_sub_i32 s0, s0, s2
	s_delay_alu instid0(SALU_CYCLE_1)
	v_cmp_gt_u32_e32 vcc_lo, s0, v0
	s_and_saveexec_b32 s0, vcc_lo
	s_cbranch_execnz .LBB318_12
; %bb.8:
	s_or_b32 exec_lo, exec_lo, s0
                                        ; implicit-def: $vgpr1
	s_and_saveexec_b32 s1, vcc_lo
	s_cbranch_execnz .LBB318_13
.LBB318_9:
	s_or_b32 exec_lo, exec_lo, s1
	s_and_saveexec_b32 s0, vcc_lo
	s_cbranch_execz .LBB318_11
.LBB318_10:
	v_lshlrev_b32_e32 v0, 2, v0
	s_lshl_b64 s[0:1], s[2:3], 2
	s_delay_alu instid0(SALU_CYCLE_1) | instskip(SKIP_1) | instid1(VALU_DEP_1)
	s_add_u32 s0, s4, s0
	s_addc_u32 s1, s5, s1
	v_add_co_u32 v2, s0, s0, v0
	s_delay_alu instid0(VALU_DEP_1)
	v_add_co_ci_u32_e64 v3, null, s1, 0, s0
	flat_store_b32 v[2:3], v1
.LBB318_11:
	s_endpgm
.LBB318_12:
	v_lshlrev_b32_e32 v1, 2, v0
	s_lshl_b64 s[12:13], s[2:3], 2
	s_delay_alu instid0(SALU_CYCLE_1) | instskip(SKIP_1) | instid1(VALU_DEP_1)
	s_add_u32 s1, s10, s12
	s_addc_u32 s10, s11, s13
	v_add_co_u32 v1, s1, s1, v1
	s_delay_alu instid0(VALU_DEP_1)
	v_add_co_ci_u32_e64 v2, null, s10, 0, s1
	flat_load_b32 v5, v[1:2]
	s_or_b32 exec_lo, exec_lo, s0
                                        ; implicit-def: $vgpr1
	s_and_saveexec_b32 s1, vcc_lo
	s_cbranch_execz .LBB318_9
.LBB318_13:
	s_cmp_eq_u64 s[8:9], 0
	s_cbranch_scc1 .LBB318_17
; %bb.14:
	v_mov_b32_e32 v1, 0
	v_dual_mov_b32 v2, 0 :: v_dual_mov_b32 v3, s8
	v_mov_b32_e32 v4, s9
	s_mov_b32 s8, 0
	s_set_inst_prefetch_distance 0x1
	.p2align	6
.LBB318_15:                             ; =>This Inner Loop Header: Depth=1
	s_delay_alu instid0(VALU_DEP_2) | instskip(NEXT) | instid1(VALU_DEP_1)
	v_sub_co_u32 v6, s0, v3, v1
	v_sub_co_ci_u32_e64 v7, s0, v4, v2, s0
	s_delay_alu instid0(VALU_DEP_1) | instskip(SKIP_1) | instid1(VALU_DEP_2)
	v_lshrrev_b64 v[8:9], 1, v[6:7]
	v_lshrrev_b64 v[6:7], 6, v[6:7]
	v_add_co_u32 v8, s0, v8, v1
	s_delay_alu instid0(VALU_DEP_1) | instskip(NEXT) | instid1(VALU_DEP_2)
	v_add_co_ci_u32_e64 v9, s0, v9, v2, s0
	v_add_co_u32 v6, s0, v8, v6
	s_delay_alu instid0(VALU_DEP_1) | instskip(NEXT) | instid1(VALU_DEP_1)
	v_add_co_ci_u32_e64 v7, s0, v9, v7, s0
	v_lshlrev_b64 v[8:9], 2, v[6:7]
	s_delay_alu instid0(VALU_DEP_1) | instskip(NEXT) | instid1(VALU_DEP_1)
	v_add_co_u32 v8, s0, s6, v8
	v_add_co_ci_u32_e64 v9, s0, s7, v9, s0
	global_load_b32 v8, v[8:9], off
	v_add_co_u32 v9, s0, v6, 1
	s_delay_alu instid0(VALU_DEP_1) | instskip(SKIP_2) | instid1(VALU_DEP_1)
	v_add_co_ci_u32_e64 v10, s0, 0, v7, s0
	s_waitcnt vmcnt(0) lgkmcnt(0)
	v_cmp_lt_i32_e64 s0, v8, v5
	v_cndmask_b32_e64 v4, v7, v4, s0
	v_cndmask_b32_e64 v3, v6, v3, s0
	;; [unrolled: 1-line block ×4, first 2 shown]
	s_delay_alu instid0(VALU_DEP_1) | instskip(NEXT) | instid1(VALU_DEP_1)
	v_cmp_ge_u64_e64 s0, v[1:2], v[3:4]
	s_or_b32 s8, s0, s8
	s_delay_alu instid0(SALU_CYCLE_1)
	s_and_not1_b32 exec_lo, exec_lo, s8
	s_cbranch_execnz .LBB318_15
; %bb.16:
	s_set_inst_prefetch_distance 0x2
	s_or_b32 exec_lo, exec_lo, s8
	s_delay_alu instid0(SALU_CYCLE_1)
	s_or_b32 exec_lo, exec_lo, s1
	s_and_saveexec_b32 s0, vcc_lo
	s_cbranch_execnz .LBB318_10
	s_branch .LBB318_11
.LBB318_17:
	v_mov_b32_e32 v1, 0
	s_or_b32 exec_lo, exec_lo, s1
	s_and_saveexec_b32 s0, vcc_lo
	s_cbranch_execnz .LBB318_10
	s_branch .LBB318_11
	.section	.rodata,"a",@progbits
	.p2align	6, 0x0
	.amdhsa_kernel _ZN7rocprim17ROCPRIM_400000_NS6detail17trampoline_kernelINS0_14default_configENS1_27lower_bound_config_selectorIiiEEZNS1_14transform_implILb0ES3_S5_N6thrust23THRUST_200600_302600_NS6detail15normal_iteratorINS8_10device_ptrIiEEEESD_ZNS1_13binary_searchIS3_S5_SD_SD_SD_NS1_21lower_bound_search_opENS9_16wrapped_functionINS0_4lessIvEEbEEEE10hipError_tPvRmT1_T2_T3_mmT4_T5_P12ihipStream_tbEUlRKiE_EESK_SO_SP_mSQ_ST_bEUlT_E_NS1_11comp_targetILNS1_3genE9ELNS1_11target_archE1100ELNS1_3gpuE3ELNS1_3repE0EEENS1_30default_config_static_selectorELNS0_4arch9wavefront6targetE0EEEvSN_
		.amdhsa_group_segment_fixed_size 0
		.amdhsa_private_segment_fixed_size 0
		.amdhsa_kernarg_size 312
		.amdhsa_user_sgpr_count 15
		.amdhsa_user_sgpr_dispatch_ptr 0
		.amdhsa_user_sgpr_queue_ptr 0
		.amdhsa_user_sgpr_kernarg_segment_ptr 1
		.amdhsa_user_sgpr_dispatch_id 0
		.amdhsa_user_sgpr_private_segment_size 0
		.amdhsa_wavefront_size32 1
		.amdhsa_uses_dynamic_stack 0
		.amdhsa_enable_private_segment 0
		.amdhsa_system_sgpr_workgroup_id_x 1
		.amdhsa_system_sgpr_workgroup_id_y 0
		.amdhsa_system_sgpr_workgroup_id_z 0
		.amdhsa_system_sgpr_workgroup_info 0
		.amdhsa_system_vgpr_workitem_id 0
		.amdhsa_next_free_vgpr 11
		.amdhsa_next_free_sgpr 20
		.amdhsa_reserve_vcc 1
		.amdhsa_float_round_mode_32 0
		.amdhsa_float_round_mode_16_64 0
		.amdhsa_float_denorm_mode_32 3
		.amdhsa_float_denorm_mode_16_64 3
		.amdhsa_dx10_clamp 1
		.amdhsa_ieee_mode 1
		.amdhsa_fp16_overflow 0
		.amdhsa_workgroup_processor_mode 1
		.amdhsa_memory_ordered 1
		.amdhsa_forward_progress 0
		.amdhsa_shared_vgpr_count 0
		.amdhsa_exception_fp_ieee_invalid_op 0
		.amdhsa_exception_fp_denorm_src 0
		.amdhsa_exception_fp_ieee_div_zero 0
		.amdhsa_exception_fp_ieee_overflow 0
		.amdhsa_exception_fp_ieee_underflow 0
		.amdhsa_exception_fp_ieee_inexact 0
		.amdhsa_exception_int_div_zero 0
	.end_amdhsa_kernel
	.section	.text._ZN7rocprim17ROCPRIM_400000_NS6detail17trampoline_kernelINS0_14default_configENS1_27lower_bound_config_selectorIiiEEZNS1_14transform_implILb0ES3_S5_N6thrust23THRUST_200600_302600_NS6detail15normal_iteratorINS8_10device_ptrIiEEEESD_ZNS1_13binary_searchIS3_S5_SD_SD_SD_NS1_21lower_bound_search_opENS9_16wrapped_functionINS0_4lessIvEEbEEEE10hipError_tPvRmT1_T2_T3_mmT4_T5_P12ihipStream_tbEUlRKiE_EESK_SO_SP_mSQ_ST_bEUlT_E_NS1_11comp_targetILNS1_3genE9ELNS1_11target_archE1100ELNS1_3gpuE3ELNS1_3repE0EEENS1_30default_config_static_selectorELNS0_4arch9wavefront6targetE0EEEvSN_,"axG",@progbits,_ZN7rocprim17ROCPRIM_400000_NS6detail17trampoline_kernelINS0_14default_configENS1_27lower_bound_config_selectorIiiEEZNS1_14transform_implILb0ES3_S5_N6thrust23THRUST_200600_302600_NS6detail15normal_iteratorINS8_10device_ptrIiEEEESD_ZNS1_13binary_searchIS3_S5_SD_SD_SD_NS1_21lower_bound_search_opENS9_16wrapped_functionINS0_4lessIvEEbEEEE10hipError_tPvRmT1_T2_T3_mmT4_T5_P12ihipStream_tbEUlRKiE_EESK_SO_SP_mSQ_ST_bEUlT_E_NS1_11comp_targetILNS1_3genE9ELNS1_11target_archE1100ELNS1_3gpuE3ELNS1_3repE0EEENS1_30default_config_static_selectorELNS0_4arch9wavefront6targetE0EEEvSN_,comdat
.Lfunc_end318:
	.size	_ZN7rocprim17ROCPRIM_400000_NS6detail17trampoline_kernelINS0_14default_configENS1_27lower_bound_config_selectorIiiEEZNS1_14transform_implILb0ES3_S5_N6thrust23THRUST_200600_302600_NS6detail15normal_iteratorINS8_10device_ptrIiEEEESD_ZNS1_13binary_searchIS3_S5_SD_SD_SD_NS1_21lower_bound_search_opENS9_16wrapped_functionINS0_4lessIvEEbEEEE10hipError_tPvRmT1_T2_T3_mmT4_T5_P12ihipStream_tbEUlRKiE_EESK_SO_SP_mSQ_ST_bEUlT_E_NS1_11comp_targetILNS1_3genE9ELNS1_11target_archE1100ELNS1_3gpuE3ELNS1_3repE0EEENS1_30default_config_static_selectorELNS0_4arch9wavefront6targetE0EEEvSN_, .Lfunc_end318-_ZN7rocprim17ROCPRIM_400000_NS6detail17trampoline_kernelINS0_14default_configENS1_27lower_bound_config_selectorIiiEEZNS1_14transform_implILb0ES3_S5_N6thrust23THRUST_200600_302600_NS6detail15normal_iteratorINS8_10device_ptrIiEEEESD_ZNS1_13binary_searchIS3_S5_SD_SD_SD_NS1_21lower_bound_search_opENS9_16wrapped_functionINS0_4lessIvEEbEEEE10hipError_tPvRmT1_T2_T3_mmT4_T5_P12ihipStream_tbEUlRKiE_EESK_SO_SP_mSQ_ST_bEUlT_E_NS1_11comp_targetILNS1_3genE9ELNS1_11target_archE1100ELNS1_3gpuE3ELNS1_3repE0EEENS1_30default_config_static_selectorELNS0_4arch9wavefront6targetE0EEEvSN_
                                        ; -- End function
	.section	.AMDGPU.csdata,"",@progbits
; Kernel info:
; codeLenInByte = 844
; NumSgprs: 22
; NumVgprs: 11
; ScratchSize: 0
; MemoryBound: 0
; FloatMode: 240
; IeeeMode: 1
; LDSByteSize: 0 bytes/workgroup (compile time only)
; SGPRBlocks: 2
; VGPRBlocks: 1
; NumSGPRsForWavesPerEU: 22
; NumVGPRsForWavesPerEU: 11
; Occupancy: 16
; WaveLimiterHint : 0
; COMPUTE_PGM_RSRC2:SCRATCH_EN: 0
; COMPUTE_PGM_RSRC2:USER_SGPR: 15
; COMPUTE_PGM_RSRC2:TRAP_HANDLER: 0
; COMPUTE_PGM_RSRC2:TGID_X_EN: 1
; COMPUTE_PGM_RSRC2:TGID_Y_EN: 0
; COMPUTE_PGM_RSRC2:TGID_Z_EN: 0
; COMPUTE_PGM_RSRC2:TIDIG_COMP_CNT: 0
	.section	.text._ZN7rocprim17ROCPRIM_400000_NS6detail17trampoline_kernelINS0_14default_configENS1_27lower_bound_config_selectorIiiEEZNS1_14transform_implILb0ES3_S5_N6thrust23THRUST_200600_302600_NS6detail15normal_iteratorINS8_10device_ptrIiEEEESD_ZNS1_13binary_searchIS3_S5_SD_SD_SD_NS1_21lower_bound_search_opENS9_16wrapped_functionINS0_4lessIvEEbEEEE10hipError_tPvRmT1_T2_T3_mmT4_T5_P12ihipStream_tbEUlRKiE_EESK_SO_SP_mSQ_ST_bEUlT_E_NS1_11comp_targetILNS1_3genE8ELNS1_11target_archE1030ELNS1_3gpuE2ELNS1_3repE0EEENS1_30default_config_static_selectorELNS0_4arch9wavefront6targetE0EEEvSN_,"axG",@progbits,_ZN7rocprim17ROCPRIM_400000_NS6detail17trampoline_kernelINS0_14default_configENS1_27lower_bound_config_selectorIiiEEZNS1_14transform_implILb0ES3_S5_N6thrust23THRUST_200600_302600_NS6detail15normal_iteratorINS8_10device_ptrIiEEEESD_ZNS1_13binary_searchIS3_S5_SD_SD_SD_NS1_21lower_bound_search_opENS9_16wrapped_functionINS0_4lessIvEEbEEEE10hipError_tPvRmT1_T2_T3_mmT4_T5_P12ihipStream_tbEUlRKiE_EESK_SO_SP_mSQ_ST_bEUlT_E_NS1_11comp_targetILNS1_3genE8ELNS1_11target_archE1030ELNS1_3gpuE2ELNS1_3repE0EEENS1_30default_config_static_selectorELNS0_4arch9wavefront6targetE0EEEvSN_,comdat
	.protected	_ZN7rocprim17ROCPRIM_400000_NS6detail17trampoline_kernelINS0_14default_configENS1_27lower_bound_config_selectorIiiEEZNS1_14transform_implILb0ES3_S5_N6thrust23THRUST_200600_302600_NS6detail15normal_iteratorINS8_10device_ptrIiEEEESD_ZNS1_13binary_searchIS3_S5_SD_SD_SD_NS1_21lower_bound_search_opENS9_16wrapped_functionINS0_4lessIvEEbEEEE10hipError_tPvRmT1_T2_T3_mmT4_T5_P12ihipStream_tbEUlRKiE_EESK_SO_SP_mSQ_ST_bEUlT_E_NS1_11comp_targetILNS1_3genE8ELNS1_11target_archE1030ELNS1_3gpuE2ELNS1_3repE0EEENS1_30default_config_static_selectorELNS0_4arch9wavefront6targetE0EEEvSN_ ; -- Begin function _ZN7rocprim17ROCPRIM_400000_NS6detail17trampoline_kernelINS0_14default_configENS1_27lower_bound_config_selectorIiiEEZNS1_14transform_implILb0ES3_S5_N6thrust23THRUST_200600_302600_NS6detail15normal_iteratorINS8_10device_ptrIiEEEESD_ZNS1_13binary_searchIS3_S5_SD_SD_SD_NS1_21lower_bound_search_opENS9_16wrapped_functionINS0_4lessIvEEbEEEE10hipError_tPvRmT1_T2_T3_mmT4_T5_P12ihipStream_tbEUlRKiE_EESK_SO_SP_mSQ_ST_bEUlT_E_NS1_11comp_targetILNS1_3genE8ELNS1_11target_archE1030ELNS1_3gpuE2ELNS1_3repE0EEENS1_30default_config_static_selectorELNS0_4arch9wavefront6targetE0EEEvSN_
	.globl	_ZN7rocprim17ROCPRIM_400000_NS6detail17trampoline_kernelINS0_14default_configENS1_27lower_bound_config_selectorIiiEEZNS1_14transform_implILb0ES3_S5_N6thrust23THRUST_200600_302600_NS6detail15normal_iteratorINS8_10device_ptrIiEEEESD_ZNS1_13binary_searchIS3_S5_SD_SD_SD_NS1_21lower_bound_search_opENS9_16wrapped_functionINS0_4lessIvEEbEEEE10hipError_tPvRmT1_T2_T3_mmT4_T5_P12ihipStream_tbEUlRKiE_EESK_SO_SP_mSQ_ST_bEUlT_E_NS1_11comp_targetILNS1_3genE8ELNS1_11target_archE1030ELNS1_3gpuE2ELNS1_3repE0EEENS1_30default_config_static_selectorELNS0_4arch9wavefront6targetE0EEEvSN_
	.p2align	8
	.type	_ZN7rocprim17ROCPRIM_400000_NS6detail17trampoline_kernelINS0_14default_configENS1_27lower_bound_config_selectorIiiEEZNS1_14transform_implILb0ES3_S5_N6thrust23THRUST_200600_302600_NS6detail15normal_iteratorINS8_10device_ptrIiEEEESD_ZNS1_13binary_searchIS3_S5_SD_SD_SD_NS1_21lower_bound_search_opENS9_16wrapped_functionINS0_4lessIvEEbEEEE10hipError_tPvRmT1_T2_T3_mmT4_T5_P12ihipStream_tbEUlRKiE_EESK_SO_SP_mSQ_ST_bEUlT_E_NS1_11comp_targetILNS1_3genE8ELNS1_11target_archE1030ELNS1_3gpuE2ELNS1_3repE0EEENS1_30default_config_static_selectorELNS0_4arch9wavefront6targetE0EEEvSN_,@function
_ZN7rocprim17ROCPRIM_400000_NS6detail17trampoline_kernelINS0_14default_configENS1_27lower_bound_config_selectorIiiEEZNS1_14transform_implILb0ES3_S5_N6thrust23THRUST_200600_302600_NS6detail15normal_iteratorINS8_10device_ptrIiEEEESD_ZNS1_13binary_searchIS3_S5_SD_SD_SD_NS1_21lower_bound_search_opENS9_16wrapped_functionINS0_4lessIvEEbEEEE10hipError_tPvRmT1_T2_T3_mmT4_T5_P12ihipStream_tbEUlRKiE_EESK_SO_SP_mSQ_ST_bEUlT_E_NS1_11comp_targetILNS1_3genE8ELNS1_11target_archE1030ELNS1_3gpuE2ELNS1_3repE0EEENS1_30default_config_static_selectorELNS0_4arch9wavefront6targetE0EEEvSN_: ; @_ZN7rocprim17ROCPRIM_400000_NS6detail17trampoline_kernelINS0_14default_configENS1_27lower_bound_config_selectorIiiEEZNS1_14transform_implILb0ES3_S5_N6thrust23THRUST_200600_302600_NS6detail15normal_iteratorINS8_10device_ptrIiEEEESD_ZNS1_13binary_searchIS3_S5_SD_SD_SD_NS1_21lower_bound_search_opENS9_16wrapped_functionINS0_4lessIvEEbEEEE10hipError_tPvRmT1_T2_T3_mmT4_T5_P12ihipStream_tbEUlRKiE_EESK_SO_SP_mSQ_ST_bEUlT_E_NS1_11comp_targetILNS1_3genE8ELNS1_11target_archE1030ELNS1_3gpuE2ELNS1_3repE0EEENS1_30default_config_static_selectorELNS0_4arch9wavefront6targetE0EEEvSN_
; %bb.0:
	.section	.rodata,"a",@progbits
	.p2align	6, 0x0
	.amdhsa_kernel _ZN7rocprim17ROCPRIM_400000_NS6detail17trampoline_kernelINS0_14default_configENS1_27lower_bound_config_selectorIiiEEZNS1_14transform_implILb0ES3_S5_N6thrust23THRUST_200600_302600_NS6detail15normal_iteratorINS8_10device_ptrIiEEEESD_ZNS1_13binary_searchIS3_S5_SD_SD_SD_NS1_21lower_bound_search_opENS9_16wrapped_functionINS0_4lessIvEEbEEEE10hipError_tPvRmT1_T2_T3_mmT4_T5_P12ihipStream_tbEUlRKiE_EESK_SO_SP_mSQ_ST_bEUlT_E_NS1_11comp_targetILNS1_3genE8ELNS1_11target_archE1030ELNS1_3gpuE2ELNS1_3repE0EEENS1_30default_config_static_selectorELNS0_4arch9wavefront6targetE0EEEvSN_
		.amdhsa_group_segment_fixed_size 0
		.amdhsa_private_segment_fixed_size 0
		.amdhsa_kernarg_size 56
		.amdhsa_user_sgpr_count 15
		.amdhsa_user_sgpr_dispatch_ptr 0
		.amdhsa_user_sgpr_queue_ptr 0
		.amdhsa_user_sgpr_kernarg_segment_ptr 1
		.amdhsa_user_sgpr_dispatch_id 0
		.amdhsa_user_sgpr_private_segment_size 0
		.amdhsa_wavefront_size32 1
		.amdhsa_uses_dynamic_stack 0
		.amdhsa_enable_private_segment 0
		.amdhsa_system_sgpr_workgroup_id_x 1
		.amdhsa_system_sgpr_workgroup_id_y 0
		.amdhsa_system_sgpr_workgroup_id_z 0
		.amdhsa_system_sgpr_workgroup_info 0
		.amdhsa_system_vgpr_workitem_id 0
		.amdhsa_next_free_vgpr 1
		.amdhsa_next_free_sgpr 1
		.amdhsa_reserve_vcc 0
		.amdhsa_float_round_mode_32 0
		.amdhsa_float_round_mode_16_64 0
		.amdhsa_float_denorm_mode_32 3
		.amdhsa_float_denorm_mode_16_64 3
		.amdhsa_dx10_clamp 1
		.amdhsa_ieee_mode 1
		.amdhsa_fp16_overflow 0
		.amdhsa_workgroup_processor_mode 1
		.amdhsa_memory_ordered 1
		.amdhsa_forward_progress 0
		.amdhsa_shared_vgpr_count 0
		.amdhsa_exception_fp_ieee_invalid_op 0
		.amdhsa_exception_fp_denorm_src 0
		.amdhsa_exception_fp_ieee_div_zero 0
		.amdhsa_exception_fp_ieee_overflow 0
		.amdhsa_exception_fp_ieee_underflow 0
		.amdhsa_exception_fp_ieee_inexact 0
		.amdhsa_exception_int_div_zero 0
	.end_amdhsa_kernel
	.section	.text._ZN7rocprim17ROCPRIM_400000_NS6detail17trampoline_kernelINS0_14default_configENS1_27lower_bound_config_selectorIiiEEZNS1_14transform_implILb0ES3_S5_N6thrust23THRUST_200600_302600_NS6detail15normal_iteratorINS8_10device_ptrIiEEEESD_ZNS1_13binary_searchIS3_S5_SD_SD_SD_NS1_21lower_bound_search_opENS9_16wrapped_functionINS0_4lessIvEEbEEEE10hipError_tPvRmT1_T2_T3_mmT4_T5_P12ihipStream_tbEUlRKiE_EESK_SO_SP_mSQ_ST_bEUlT_E_NS1_11comp_targetILNS1_3genE8ELNS1_11target_archE1030ELNS1_3gpuE2ELNS1_3repE0EEENS1_30default_config_static_selectorELNS0_4arch9wavefront6targetE0EEEvSN_,"axG",@progbits,_ZN7rocprim17ROCPRIM_400000_NS6detail17trampoline_kernelINS0_14default_configENS1_27lower_bound_config_selectorIiiEEZNS1_14transform_implILb0ES3_S5_N6thrust23THRUST_200600_302600_NS6detail15normal_iteratorINS8_10device_ptrIiEEEESD_ZNS1_13binary_searchIS3_S5_SD_SD_SD_NS1_21lower_bound_search_opENS9_16wrapped_functionINS0_4lessIvEEbEEEE10hipError_tPvRmT1_T2_T3_mmT4_T5_P12ihipStream_tbEUlRKiE_EESK_SO_SP_mSQ_ST_bEUlT_E_NS1_11comp_targetILNS1_3genE8ELNS1_11target_archE1030ELNS1_3gpuE2ELNS1_3repE0EEENS1_30default_config_static_selectorELNS0_4arch9wavefront6targetE0EEEvSN_,comdat
.Lfunc_end319:
	.size	_ZN7rocprim17ROCPRIM_400000_NS6detail17trampoline_kernelINS0_14default_configENS1_27lower_bound_config_selectorIiiEEZNS1_14transform_implILb0ES3_S5_N6thrust23THRUST_200600_302600_NS6detail15normal_iteratorINS8_10device_ptrIiEEEESD_ZNS1_13binary_searchIS3_S5_SD_SD_SD_NS1_21lower_bound_search_opENS9_16wrapped_functionINS0_4lessIvEEbEEEE10hipError_tPvRmT1_T2_T3_mmT4_T5_P12ihipStream_tbEUlRKiE_EESK_SO_SP_mSQ_ST_bEUlT_E_NS1_11comp_targetILNS1_3genE8ELNS1_11target_archE1030ELNS1_3gpuE2ELNS1_3repE0EEENS1_30default_config_static_selectorELNS0_4arch9wavefront6targetE0EEEvSN_, .Lfunc_end319-_ZN7rocprim17ROCPRIM_400000_NS6detail17trampoline_kernelINS0_14default_configENS1_27lower_bound_config_selectorIiiEEZNS1_14transform_implILb0ES3_S5_N6thrust23THRUST_200600_302600_NS6detail15normal_iteratorINS8_10device_ptrIiEEEESD_ZNS1_13binary_searchIS3_S5_SD_SD_SD_NS1_21lower_bound_search_opENS9_16wrapped_functionINS0_4lessIvEEbEEEE10hipError_tPvRmT1_T2_T3_mmT4_T5_P12ihipStream_tbEUlRKiE_EESK_SO_SP_mSQ_ST_bEUlT_E_NS1_11comp_targetILNS1_3genE8ELNS1_11target_archE1030ELNS1_3gpuE2ELNS1_3repE0EEENS1_30default_config_static_selectorELNS0_4arch9wavefront6targetE0EEEvSN_
                                        ; -- End function
	.section	.AMDGPU.csdata,"",@progbits
; Kernel info:
; codeLenInByte = 0
; NumSgprs: 0
; NumVgprs: 0
; ScratchSize: 0
; MemoryBound: 0
; FloatMode: 240
; IeeeMode: 1
; LDSByteSize: 0 bytes/workgroup (compile time only)
; SGPRBlocks: 0
; VGPRBlocks: 0
; NumSGPRsForWavesPerEU: 1
; NumVGPRsForWavesPerEU: 1
; Occupancy: 16
; WaveLimiterHint : 0
; COMPUTE_PGM_RSRC2:SCRATCH_EN: 0
; COMPUTE_PGM_RSRC2:USER_SGPR: 15
; COMPUTE_PGM_RSRC2:TRAP_HANDLER: 0
; COMPUTE_PGM_RSRC2:TGID_X_EN: 1
; COMPUTE_PGM_RSRC2:TGID_Y_EN: 0
; COMPUTE_PGM_RSRC2:TGID_Z_EN: 0
; COMPUTE_PGM_RSRC2:TIDIG_COMP_CNT: 0
	.section	.text._ZN6thrust23THRUST_200600_302600_NS11hip_rocprim14__parallel_for6kernelILj256ENS1_10__tabulate7functorINS0_6detail15normal_iteratorINS0_10device_ptrIsEEEENS0_6system6detail7generic6detail22compute_sequence_valueIsvEElEElLj1EEEvT0_T1_SJ_,"axG",@progbits,_ZN6thrust23THRUST_200600_302600_NS11hip_rocprim14__parallel_for6kernelILj256ENS1_10__tabulate7functorINS0_6detail15normal_iteratorINS0_10device_ptrIsEEEENS0_6system6detail7generic6detail22compute_sequence_valueIsvEElEElLj1EEEvT0_T1_SJ_,comdat
	.protected	_ZN6thrust23THRUST_200600_302600_NS11hip_rocprim14__parallel_for6kernelILj256ENS1_10__tabulate7functorINS0_6detail15normal_iteratorINS0_10device_ptrIsEEEENS0_6system6detail7generic6detail22compute_sequence_valueIsvEElEElLj1EEEvT0_T1_SJ_ ; -- Begin function _ZN6thrust23THRUST_200600_302600_NS11hip_rocprim14__parallel_for6kernelILj256ENS1_10__tabulate7functorINS0_6detail15normal_iteratorINS0_10device_ptrIsEEEENS0_6system6detail7generic6detail22compute_sequence_valueIsvEElEElLj1EEEvT0_T1_SJ_
	.globl	_ZN6thrust23THRUST_200600_302600_NS11hip_rocprim14__parallel_for6kernelILj256ENS1_10__tabulate7functorINS0_6detail15normal_iteratorINS0_10device_ptrIsEEEENS0_6system6detail7generic6detail22compute_sequence_valueIsvEElEElLj1EEEvT0_T1_SJ_
	.p2align	8
	.type	_ZN6thrust23THRUST_200600_302600_NS11hip_rocprim14__parallel_for6kernelILj256ENS1_10__tabulate7functorINS0_6detail15normal_iteratorINS0_10device_ptrIsEEEENS0_6system6detail7generic6detail22compute_sequence_valueIsvEElEElLj1EEEvT0_T1_SJ_,@function
_ZN6thrust23THRUST_200600_302600_NS11hip_rocprim14__parallel_for6kernelILj256ENS1_10__tabulate7functorINS0_6detail15normal_iteratorINS0_10device_ptrIsEEEENS0_6system6detail7generic6detail22compute_sequence_valueIsvEElEElLj1EEEvT0_T1_SJ_: ; @_ZN6thrust23THRUST_200600_302600_NS11hip_rocprim14__parallel_for6kernelILj256ENS1_10__tabulate7functorINS0_6detail15normal_iteratorINS0_10device_ptrIsEEEENS0_6system6detail7generic6detail22compute_sequence_valueIsvEElEElLj1EEEvT0_T1_SJ_
; %bb.0:
	s_load_b128 s[4:7], s[0:1], 0x10
	s_lshl_b32 s2, s15, 8
	s_waitcnt lgkmcnt(0)
	s_add_u32 s2, s2, s6
	s_addc_u32 s3, 0, s7
	s_sub_u32 s4, s4, s2
	s_subb_u32 s5, s5, s3
	s_delay_alu instid0(SALU_CYCLE_1) | instskip(NEXT) | instid1(VALU_DEP_1)
	v_cmp_gt_i64_e64 s5, 0x100, s[4:5]
	s_and_b32 s5, s5, exec_lo
	s_cselect_b32 s4, s4, 0x100
	s_delay_alu instid0(SALU_CYCLE_1) | instskip(SKIP_2) | instid1(SALU_CYCLE_1)
	v_cmp_gt_u32_e32 vcc_lo, s4, v0
	s_cmpk_eq_i32 s4, 0x100
	s_cselect_b32 s4, -1, 0
	s_or_b32 s4, s4, vcc_lo
	s_delay_alu instid0(SALU_CYCLE_1)
	s_and_saveexec_b32 s5, s4
	s_cbranch_execz .LBB320_2
; %bb.1:
	s_clause 0x1
	s_load_b32 s4, s[0:1], 0x8
	s_load_b64 s[0:1], s[0:1], 0x0
	v_add_co_u32 v0, s2, s2, v0
	s_delay_alu instid0(VALU_DEP_1) | instskip(NEXT) | instid1(VALU_DEP_1)
	v_add_co_ci_u32_e64 v1, null, s3, 0, s2
	v_lshlrev_b64 v[1:2], 1, v[0:1]
	s_waitcnt lgkmcnt(0)
	s_lshr_b32 s2, s4, 16
	s_delay_alu instid0(SALU_CYCLE_1) | instskip(NEXT) | instid1(VALU_DEP_2)
	v_mad_u16 v3, s2, v0, s4
	v_add_co_u32 v0, vcc_lo, s0, v1
	s_delay_alu instid0(VALU_DEP_3)
	v_add_co_ci_u32_e32 v1, vcc_lo, s1, v2, vcc_lo
	flat_store_b16 v[0:1], v3
.LBB320_2:
	s_endpgm
	.section	.rodata,"a",@progbits
	.p2align	6, 0x0
	.amdhsa_kernel _ZN6thrust23THRUST_200600_302600_NS11hip_rocprim14__parallel_for6kernelILj256ENS1_10__tabulate7functorINS0_6detail15normal_iteratorINS0_10device_ptrIsEEEENS0_6system6detail7generic6detail22compute_sequence_valueIsvEElEElLj1EEEvT0_T1_SJ_
		.amdhsa_group_segment_fixed_size 0
		.amdhsa_private_segment_fixed_size 0
		.amdhsa_kernarg_size 32
		.amdhsa_user_sgpr_count 15
		.amdhsa_user_sgpr_dispatch_ptr 0
		.amdhsa_user_sgpr_queue_ptr 0
		.amdhsa_user_sgpr_kernarg_segment_ptr 1
		.amdhsa_user_sgpr_dispatch_id 0
		.amdhsa_user_sgpr_private_segment_size 0
		.amdhsa_wavefront_size32 1
		.amdhsa_uses_dynamic_stack 0
		.amdhsa_enable_private_segment 0
		.amdhsa_system_sgpr_workgroup_id_x 1
		.amdhsa_system_sgpr_workgroup_id_y 0
		.amdhsa_system_sgpr_workgroup_id_z 0
		.amdhsa_system_sgpr_workgroup_info 0
		.amdhsa_system_vgpr_workitem_id 0
		.amdhsa_next_free_vgpr 4
		.amdhsa_next_free_sgpr 16
		.amdhsa_reserve_vcc 1
		.amdhsa_float_round_mode_32 0
		.amdhsa_float_round_mode_16_64 0
		.amdhsa_float_denorm_mode_32 3
		.amdhsa_float_denorm_mode_16_64 3
		.amdhsa_dx10_clamp 1
		.amdhsa_ieee_mode 1
		.amdhsa_fp16_overflow 0
		.amdhsa_workgroup_processor_mode 1
		.amdhsa_memory_ordered 1
		.amdhsa_forward_progress 0
		.amdhsa_shared_vgpr_count 0
		.amdhsa_exception_fp_ieee_invalid_op 0
		.amdhsa_exception_fp_denorm_src 0
		.amdhsa_exception_fp_ieee_div_zero 0
		.amdhsa_exception_fp_ieee_overflow 0
		.amdhsa_exception_fp_ieee_underflow 0
		.amdhsa_exception_fp_ieee_inexact 0
		.amdhsa_exception_int_div_zero 0
	.end_amdhsa_kernel
	.section	.text._ZN6thrust23THRUST_200600_302600_NS11hip_rocprim14__parallel_for6kernelILj256ENS1_10__tabulate7functorINS0_6detail15normal_iteratorINS0_10device_ptrIsEEEENS0_6system6detail7generic6detail22compute_sequence_valueIsvEElEElLj1EEEvT0_T1_SJ_,"axG",@progbits,_ZN6thrust23THRUST_200600_302600_NS11hip_rocprim14__parallel_for6kernelILj256ENS1_10__tabulate7functorINS0_6detail15normal_iteratorINS0_10device_ptrIsEEEENS0_6system6detail7generic6detail22compute_sequence_valueIsvEElEElLj1EEEvT0_T1_SJ_,comdat
.Lfunc_end320:
	.size	_ZN6thrust23THRUST_200600_302600_NS11hip_rocprim14__parallel_for6kernelILj256ENS1_10__tabulate7functorINS0_6detail15normal_iteratorINS0_10device_ptrIsEEEENS0_6system6detail7generic6detail22compute_sequence_valueIsvEElEElLj1EEEvT0_T1_SJ_, .Lfunc_end320-_ZN6thrust23THRUST_200600_302600_NS11hip_rocprim14__parallel_for6kernelILj256ENS1_10__tabulate7functorINS0_6detail15normal_iteratorINS0_10device_ptrIsEEEENS0_6system6detail7generic6detail22compute_sequence_valueIsvEElEElLj1EEEvT0_T1_SJ_
                                        ; -- End function
	.section	.AMDGPU.csdata,"",@progbits
; Kernel info:
; codeLenInByte = 188
; NumSgprs: 18
; NumVgprs: 4
; ScratchSize: 0
; MemoryBound: 0
; FloatMode: 240
; IeeeMode: 1
; LDSByteSize: 0 bytes/workgroup (compile time only)
; SGPRBlocks: 2
; VGPRBlocks: 0
; NumSGPRsForWavesPerEU: 18
; NumVGPRsForWavesPerEU: 4
; Occupancy: 16
; WaveLimiterHint : 0
; COMPUTE_PGM_RSRC2:SCRATCH_EN: 0
; COMPUTE_PGM_RSRC2:USER_SGPR: 15
; COMPUTE_PGM_RSRC2:TRAP_HANDLER: 0
; COMPUTE_PGM_RSRC2:TGID_X_EN: 1
; COMPUTE_PGM_RSRC2:TGID_Y_EN: 0
; COMPUTE_PGM_RSRC2:TGID_Z_EN: 0
; COMPUTE_PGM_RSRC2:TIDIG_COMP_CNT: 0
	.section	.text._ZN7rocprim17ROCPRIM_400000_NS6detail17trampoline_kernelINS0_14default_configENS1_27lower_bound_config_selectorIsiEEZNS1_14transform_implILb0ES3_S5_N6thrust23THRUST_200600_302600_NS6detail15normal_iteratorINS8_10device_ptrIsEEEENSA_INSB_IiEEEEZNS1_13binary_searchIS3_S5_SD_SD_SF_NS1_21lower_bound_search_opENS9_16wrapped_functionINS0_4lessIvEEbEEEE10hipError_tPvRmT1_T2_T3_mmT4_T5_P12ihipStream_tbEUlRKsE_EESM_SQ_SR_mSS_SV_bEUlT_E_NS1_11comp_targetILNS1_3genE0ELNS1_11target_archE4294967295ELNS1_3gpuE0ELNS1_3repE0EEENS1_30default_config_static_selectorELNS0_4arch9wavefront6targetE0EEEvSP_,"axG",@progbits,_ZN7rocprim17ROCPRIM_400000_NS6detail17trampoline_kernelINS0_14default_configENS1_27lower_bound_config_selectorIsiEEZNS1_14transform_implILb0ES3_S5_N6thrust23THRUST_200600_302600_NS6detail15normal_iteratorINS8_10device_ptrIsEEEENSA_INSB_IiEEEEZNS1_13binary_searchIS3_S5_SD_SD_SF_NS1_21lower_bound_search_opENS9_16wrapped_functionINS0_4lessIvEEbEEEE10hipError_tPvRmT1_T2_T3_mmT4_T5_P12ihipStream_tbEUlRKsE_EESM_SQ_SR_mSS_SV_bEUlT_E_NS1_11comp_targetILNS1_3genE0ELNS1_11target_archE4294967295ELNS1_3gpuE0ELNS1_3repE0EEENS1_30default_config_static_selectorELNS0_4arch9wavefront6targetE0EEEvSP_,comdat
	.protected	_ZN7rocprim17ROCPRIM_400000_NS6detail17trampoline_kernelINS0_14default_configENS1_27lower_bound_config_selectorIsiEEZNS1_14transform_implILb0ES3_S5_N6thrust23THRUST_200600_302600_NS6detail15normal_iteratorINS8_10device_ptrIsEEEENSA_INSB_IiEEEEZNS1_13binary_searchIS3_S5_SD_SD_SF_NS1_21lower_bound_search_opENS9_16wrapped_functionINS0_4lessIvEEbEEEE10hipError_tPvRmT1_T2_T3_mmT4_T5_P12ihipStream_tbEUlRKsE_EESM_SQ_SR_mSS_SV_bEUlT_E_NS1_11comp_targetILNS1_3genE0ELNS1_11target_archE4294967295ELNS1_3gpuE0ELNS1_3repE0EEENS1_30default_config_static_selectorELNS0_4arch9wavefront6targetE0EEEvSP_ ; -- Begin function _ZN7rocprim17ROCPRIM_400000_NS6detail17trampoline_kernelINS0_14default_configENS1_27lower_bound_config_selectorIsiEEZNS1_14transform_implILb0ES3_S5_N6thrust23THRUST_200600_302600_NS6detail15normal_iteratorINS8_10device_ptrIsEEEENSA_INSB_IiEEEEZNS1_13binary_searchIS3_S5_SD_SD_SF_NS1_21lower_bound_search_opENS9_16wrapped_functionINS0_4lessIvEEbEEEE10hipError_tPvRmT1_T2_T3_mmT4_T5_P12ihipStream_tbEUlRKsE_EESM_SQ_SR_mSS_SV_bEUlT_E_NS1_11comp_targetILNS1_3genE0ELNS1_11target_archE4294967295ELNS1_3gpuE0ELNS1_3repE0EEENS1_30default_config_static_selectorELNS0_4arch9wavefront6targetE0EEEvSP_
	.globl	_ZN7rocprim17ROCPRIM_400000_NS6detail17trampoline_kernelINS0_14default_configENS1_27lower_bound_config_selectorIsiEEZNS1_14transform_implILb0ES3_S5_N6thrust23THRUST_200600_302600_NS6detail15normal_iteratorINS8_10device_ptrIsEEEENSA_INSB_IiEEEEZNS1_13binary_searchIS3_S5_SD_SD_SF_NS1_21lower_bound_search_opENS9_16wrapped_functionINS0_4lessIvEEbEEEE10hipError_tPvRmT1_T2_T3_mmT4_T5_P12ihipStream_tbEUlRKsE_EESM_SQ_SR_mSS_SV_bEUlT_E_NS1_11comp_targetILNS1_3genE0ELNS1_11target_archE4294967295ELNS1_3gpuE0ELNS1_3repE0EEENS1_30default_config_static_selectorELNS0_4arch9wavefront6targetE0EEEvSP_
	.p2align	8
	.type	_ZN7rocprim17ROCPRIM_400000_NS6detail17trampoline_kernelINS0_14default_configENS1_27lower_bound_config_selectorIsiEEZNS1_14transform_implILb0ES3_S5_N6thrust23THRUST_200600_302600_NS6detail15normal_iteratorINS8_10device_ptrIsEEEENSA_INSB_IiEEEEZNS1_13binary_searchIS3_S5_SD_SD_SF_NS1_21lower_bound_search_opENS9_16wrapped_functionINS0_4lessIvEEbEEEE10hipError_tPvRmT1_T2_T3_mmT4_T5_P12ihipStream_tbEUlRKsE_EESM_SQ_SR_mSS_SV_bEUlT_E_NS1_11comp_targetILNS1_3genE0ELNS1_11target_archE4294967295ELNS1_3gpuE0ELNS1_3repE0EEENS1_30default_config_static_selectorELNS0_4arch9wavefront6targetE0EEEvSP_,@function
_ZN7rocprim17ROCPRIM_400000_NS6detail17trampoline_kernelINS0_14default_configENS1_27lower_bound_config_selectorIsiEEZNS1_14transform_implILb0ES3_S5_N6thrust23THRUST_200600_302600_NS6detail15normal_iteratorINS8_10device_ptrIsEEEENSA_INSB_IiEEEEZNS1_13binary_searchIS3_S5_SD_SD_SF_NS1_21lower_bound_search_opENS9_16wrapped_functionINS0_4lessIvEEbEEEE10hipError_tPvRmT1_T2_T3_mmT4_T5_P12ihipStream_tbEUlRKsE_EESM_SQ_SR_mSS_SV_bEUlT_E_NS1_11comp_targetILNS1_3genE0ELNS1_11target_archE4294967295ELNS1_3gpuE0ELNS1_3repE0EEENS1_30default_config_static_selectorELNS0_4arch9wavefront6targetE0EEEvSP_: ; @_ZN7rocprim17ROCPRIM_400000_NS6detail17trampoline_kernelINS0_14default_configENS1_27lower_bound_config_selectorIsiEEZNS1_14transform_implILb0ES3_S5_N6thrust23THRUST_200600_302600_NS6detail15normal_iteratorINS8_10device_ptrIsEEEENSA_INSB_IiEEEEZNS1_13binary_searchIS3_S5_SD_SD_SF_NS1_21lower_bound_search_opENS9_16wrapped_functionINS0_4lessIvEEbEEEE10hipError_tPvRmT1_T2_T3_mmT4_T5_P12ihipStream_tbEUlRKsE_EESM_SQ_SR_mSS_SV_bEUlT_E_NS1_11comp_targetILNS1_3genE0ELNS1_11target_archE4294967295ELNS1_3gpuE0ELNS1_3repE0EEENS1_30default_config_static_selectorELNS0_4arch9wavefront6targetE0EEEvSP_
; %bb.0:
	.section	.rodata,"a",@progbits
	.p2align	6, 0x0
	.amdhsa_kernel _ZN7rocprim17ROCPRIM_400000_NS6detail17trampoline_kernelINS0_14default_configENS1_27lower_bound_config_selectorIsiEEZNS1_14transform_implILb0ES3_S5_N6thrust23THRUST_200600_302600_NS6detail15normal_iteratorINS8_10device_ptrIsEEEENSA_INSB_IiEEEEZNS1_13binary_searchIS3_S5_SD_SD_SF_NS1_21lower_bound_search_opENS9_16wrapped_functionINS0_4lessIvEEbEEEE10hipError_tPvRmT1_T2_T3_mmT4_T5_P12ihipStream_tbEUlRKsE_EESM_SQ_SR_mSS_SV_bEUlT_E_NS1_11comp_targetILNS1_3genE0ELNS1_11target_archE4294967295ELNS1_3gpuE0ELNS1_3repE0EEENS1_30default_config_static_selectorELNS0_4arch9wavefront6targetE0EEEvSP_
		.amdhsa_group_segment_fixed_size 0
		.amdhsa_private_segment_fixed_size 0
		.amdhsa_kernarg_size 56
		.amdhsa_user_sgpr_count 15
		.amdhsa_user_sgpr_dispatch_ptr 0
		.amdhsa_user_sgpr_queue_ptr 0
		.amdhsa_user_sgpr_kernarg_segment_ptr 1
		.amdhsa_user_sgpr_dispatch_id 0
		.amdhsa_user_sgpr_private_segment_size 0
		.amdhsa_wavefront_size32 1
		.amdhsa_uses_dynamic_stack 0
		.amdhsa_enable_private_segment 0
		.amdhsa_system_sgpr_workgroup_id_x 1
		.amdhsa_system_sgpr_workgroup_id_y 0
		.amdhsa_system_sgpr_workgroup_id_z 0
		.amdhsa_system_sgpr_workgroup_info 0
		.amdhsa_system_vgpr_workitem_id 0
		.amdhsa_next_free_vgpr 1
		.amdhsa_next_free_sgpr 1
		.amdhsa_reserve_vcc 0
		.amdhsa_float_round_mode_32 0
		.amdhsa_float_round_mode_16_64 0
		.amdhsa_float_denorm_mode_32 3
		.amdhsa_float_denorm_mode_16_64 3
		.amdhsa_dx10_clamp 1
		.amdhsa_ieee_mode 1
		.amdhsa_fp16_overflow 0
		.amdhsa_workgroup_processor_mode 1
		.amdhsa_memory_ordered 1
		.amdhsa_forward_progress 0
		.amdhsa_shared_vgpr_count 0
		.amdhsa_exception_fp_ieee_invalid_op 0
		.amdhsa_exception_fp_denorm_src 0
		.amdhsa_exception_fp_ieee_div_zero 0
		.amdhsa_exception_fp_ieee_overflow 0
		.amdhsa_exception_fp_ieee_underflow 0
		.amdhsa_exception_fp_ieee_inexact 0
		.amdhsa_exception_int_div_zero 0
	.end_amdhsa_kernel
	.section	.text._ZN7rocprim17ROCPRIM_400000_NS6detail17trampoline_kernelINS0_14default_configENS1_27lower_bound_config_selectorIsiEEZNS1_14transform_implILb0ES3_S5_N6thrust23THRUST_200600_302600_NS6detail15normal_iteratorINS8_10device_ptrIsEEEENSA_INSB_IiEEEEZNS1_13binary_searchIS3_S5_SD_SD_SF_NS1_21lower_bound_search_opENS9_16wrapped_functionINS0_4lessIvEEbEEEE10hipError_tPvRmT1_T2_T3_mmT4_T5_P12ihipStream_tbEUlRKsE_EESM_SQ_SR_mSS_SV_bEUlT_E_NS1_11comp_targetILNS1_3genE0ELNS1_11target_archE4294967295ELNS1_3gpuE0ELNS1_3repE0EEENS1_30default_config_static_selectorELNS0_4arch9wavefront6targetE0EEEvSP_,"axG",@progbits,_ZN7rocprim17ROCPRIM_400000_NS6detail17trampoline_kernelINS0_14default_configENS1_27lower_bound_config_selectorIsiEEZNS1_14transform_implILb0ES3_S5_N6thrust23THRUST_200600_302600_NS6detail15normal_iteratorINS8_10device_ptrIsEEEENSA_INSB_IiEEEEZNS1_13binary_searchIS3_S5_SD_SD_SF_NS1_21lower_bound_search_opENS9_16wrapped_functionINS0_4lessIvEEbEEEE10hipError_tPvRmT1_T2_T3_mmT4_T5_P12ihipStream_tbEUlRKsE_EESM_SQ_SR_mSS_SV_bEUlT_E_NS1_11comp_targetILNS1_3genE0ELNS1_11target_archE4294967295ELNS1_3gpuE0ELNS1_3repE0EEENS1_30default_config_static_selectorELNS0_4arch9wavefront6targetE0EEEvSP_,comdat
.Lfunc_end321:
	.size	_ZN7rocprim17ROCPRIM_400000_NS6detail17trampoline_kernelINS0_14default_configENS1_27lower_bound_config_selectorIsiEEZNS1_14transform_implILb0ES3_S5_N6thrust23THRUST_200600_302600_NS6detail15normal_iteratorINS8_10device_ptrIsEEEENSA_INSB_IiEEEEZNS1_13binary_searchIS3_S5_SD_SD_SF_NS1_21lower_bound_search_opENS9_16wrapped_functionINS0_4lessIvEEbEEEE10hipError_tPvRmT1_T2_T3_mmT4_T5_P12ihipStream_tbEUlRKsE_EESM_SQ_SR_mSS_SV_bEUlT_E_NS1_11comp_targetILNS1_3genE0ELNS1_11target_archE4294967295ELNS1_3gpuE0ELNS1_3repE0EEENS1_30default_config_static_selectorELNS0_4arch9wavefront6targetE0EEEvSP_, .Lfunc_end321-_ZN7rocprim17ROCPRIM_400000_NS6detail17trampoline_kernelINS0_14default_configENS1_27lower_bound_config_selectorIsiEEZNS1_14transform_implILb0ES3_S5_N6thrust23THRUST_200600_302600_NS6detail15normal_iteratorINS8_10device_ptrIsEEEENSA_INSB_IiEEEEZNS1_13binary_searchIS3_S5_SD_SD_SF_NS1_21lower_bound_search_opENS9_16wrapped_functionINS0_4lessIvEEbEEEE10hipError_tPvRmT1_T2_T3_mmT4_T5_P12ihipStream_tbEUlRKsE_EESM_SQ_SR_mSS_SV_bEUlT_E_NS1_11comp_targetILNS1_3genE0ELNS1_11target_archE4294967295ELNS1_3gpuE0ELNS1_3repE0EEENS1_30default_config_static_selectorELNS0_4arch9wavefront6targetE0EEEvSP_
                                        ; -- End function
	.section	.AMDGPU.csdata,"",@progbits
; Kernel info:
; codeLenInByte = 0
; NumSgprs: 0
; NumVgprs: 0
; ScratchSize: 0
; MemoryBound: 0
; FloatMode: 240
; IeeeMode: 1
; LDSByteSize: 0 bytes/workgroup (compile time only)
; SGPRBlocks: 0
; VGPRBlocks: 0
; NumSGPRsForWavesPerEU: 1
; NumVGPRsForWavesPerEU: 1
; Occupancy: 16
; WaveLimiterHint : 0
; COMPUTE_PGM_RSRC2:SCRATCH_EN: 0
; COMPUTE_PGM_RSRC2:USER_SGPR: 15
; COMPUTE_PGM_RSRC2:TRAP_HANDLER: 0
; COMPUTE_PGM_RSRC2:TGID_X_EN: 1
; COMPUTE_PGM_RSRC2:TGID_Y_EN: 0
; COMPUTE_PGM_RSRC2:TGID_Z_EN: 0
; COMPUTE_PGM_RSRC2:TIDIG_COMP_CNT: 0
	.section	.text._ZN7rocprim17ROCPRIM_400000_NS6detail17trampoline_kernelINS0_14default_configENS1_27lower_bound_config_selectorIsiEEZNS1_14transform_implILb0ES3_S5_N6thrust23THRUST_200600_302600_NS6detail15normal_iteratorINS8_10device_ptrIsEEEENSA_INSB_IiEEEEZNS1_13binary_searchIS3_S5_SD_SD_SF_NS1_21lower_bound_search_opENS9_16wrapped_functionINS0_4lessIvEEbEEEE10hipError_tPvRmT1_T2_T3_mmT4_T5_P12ihipStream_tbEUlRKsE_EESM_SQ_SR_mSS_SV_bEUlT_E_NS1_11comp_targetILNS1_3genE5ELNS1_11target_archE942ELNS1_3gpuE9ELNS1_3repE0EEENS1_30default_config_static_selectorELNS0_4arch9wavefront6targetE0EEEvSP_,"axG",@progbits,_ZN7rocprim17ROCPRIM_400000_NS6detail17trampoline_kernelINS0_14default_configENS1_27lower_bound_config_selectorIsiEEZNS1_14transform_implILb0ES3_S5_N6thrust23THRUST_200600_302600_NS6detail15normal_iteratorINS8_10device_ptrIsEEEENSA_INSB_IiEEEEZNS1_13binary_searchIS3_S5_SD_SD_SF_NS1_21lower_bound_search_opENS9_16wrapped_functionINS0_4lessIvEEbEEEE10hipError_tPvRmT1_T2_T3_mmT4_T5_P12ihipStream_tbEUlRKsE_EESM_SQ_SR_mSS_SV_bEUlT_E_NS1_11comp_targetILNS1_3genE5ELNS1_11target_archE942ELNS1_3gpuE9ELNS1_3repE0EEENS1_30default_config_static_selectorELNS0_4arch9wavefront6targetE0EEEvSP_,comdat
	.protected	_ZN7rocprim17ROCPRIM_400000_NS6detail17trampoline_kernelINS0_14default_configENS1_27lower_bound_config_selectorIsiEEZNS1_14transform_implILb0ES3_S5_N6thrust23THRUST_200600_302600_NS6detail15normal_iteratorINS8_10device_ptrIsEEEENSA_INSB_IiEEEEZNS1_13binary_searchIS3_S5_SD_SD_SF_NS1_21lower_bound_search_opENS9_16wrapped_functionINS0_4lessIvEEbEEEE10hipError_tPvRmT1_T2_T3_mmT4_T5_P12ihipStream_tbEUlRKsE_EESM_SQ_SR_mSS_SV_bEUlT_E_NS1_11comp_targetILNS1_3genE5ELNS1_11target_archE942ELNS1_3gpuE9ELNS1_3repE0EEENS1_30default_config_static_selectorELNS0_4arch9wavefront6targetE0EEEvSP_ ; -- Begin function _ZN7rocprim17ROCPRIM_400000_NS6detail17trampoline_kernelINS0_14default_configENS1_27lower_bound_config_selectorIsiEEZNS1_14transform_implILb0ES3_S5_N6thrust23THRUST_200600_302600_NS6detail15normal_iteratorINS8_10device_ptrIsEEEENSA_INSB_IiEEEEZNS1_13binary_searchIS3_S5_SD_SD_SF_NS1_21lower_bound_search_opENS9_16wrapped_functionINS0_4lessIvEEbEEEE10hipError_tPvRmT1_T2_T3_mmT4_T5_P12ihipStream_tbEUlRKsE_EESM_SQ_SR_mSS_SV_bEUlT_E_NS1_11comp_targetILNS1_3genE5ELNS1_11target_archE942ELNS1_3gpuE9ELNS1_3repE0EEENS1_30default_config_static_selectorELNS0_4arch9wavefront6targetE0EEEvSP_
	.globl	_ZN7rocprim17ROCPRIM_400000_NS6detail17trampoline_kernelINS0_14default_configENS1_27lower_bound_config_selectorIsiEEZNS1_14transform_implILb0ES3_S5_N6thrust23THRUST_200600_302600_NS6detail15normal_iteratorINS8_10device_ptrIsEEEENSA_INSB_IiEEEEZNS1_13binary_searchIS3_S5_SD_SD_SF_NS1_21lower_bound_search_opENS9_16wrapped_functionINS0_4lessIvEEbEEEE10hipError_tPvRmT1_T2_T3_mmT4_T5_P12ihipStream_tbEUlRKsE_EESM_SQ_SR_mSS_SV_bEUlT_E_NS1_11comp_targetILNS1_3genE5ELNS1_11target_archE942ELNS1_3gpuE9ELNS1_3repE0EEENS1_30default_config_static_selectorELNS0_4arch9wavefront6targetE0EEEvSP_
	.p2align	8
	.type	_ZN7rocprim17ROCPRIM_400000_NS6detail17trampoline_kernelINS0_14default_configENS1_27lower_bound_config_selectorIsiEEZNS1_14transform_implILb0ES3_S5_N6thrust23THRUST_200600_302600_NS6detail15normal_iteratorINS8_10device_ptrIsEEEENSA_INSB_IiEEEEZNS1_13binary_searchIS3_S5_SD_SD_SF_NS1_21lower_bound_search_opENS9_16wrapped_functionINS0_4lessIvEEbEEEE10hipError_tPvRmT1_T2_T3_mmT4_T5_P12ihipStream_tbEUlRKsE_EESM_SQ_SR_mSS_SV_bEUlT_E_NS1_11comp_targetILNS1_3genE5ELNS1_11target_archE942ELNS1_3gpuE9ELNS1_3repE0EEENS1_30default_config_static_selectorELNS0_4arch9wavefront6targetE0EEEvSP_,@function
_ZN7rocprim17ROCPRIM_400000_NS6detail17trampoline_kernelINS0_14default_configENS1_27lower_bound_config_selectorIsiEEZNS1_14transform_implILb0ES3_S5_N6thrust23THRUST_200600_302600_NS6detail15normal_iteratorINS8_10device_ptrIsEEEENSA_INSB_IiEEEEZNS1_13binary_searchIS3_S5_SD_SD_SF_NS1_21lower_bound_search_opENS9_16wrapped_functionINS0_4lessIvEEbEEEE10hipError_tPvRmT1_T2_T3_mmT4_T5_P12ihipStream_tbEUlRKsE_EESM_SQ_SR_mSS_SV_bEUlT_E_NS1_11comp_targetILNS1_3genE5ELNS1_11target_archE942ELNS1_3gpuE9ELNS1_3repE0EEENS1_30default_config_static_selectorELNS0_4arch9wavefront6targetE0EEEvSP_: ; @_ZN7rocprim17ROCPRIM_400000_NS6detail17trampoline_kernelINS0_14default_configENS1_27lower_bound_config_selectorIsiEEZNS1_14transform_implILb0ES3_S5_N6thrust23THRUST_200600_302600_NS6detail15normal_iteratorINS8_10device_ptrIsEEEENSA_INSB_IiEEEEZNS1_13binary_searchIS3_S5_SD_SD_SF_NS1_21lower_bound_search_opENS9_16wrapped_functionINS0_4lessIvEEbEEEE10hipError_tPvRmT1_T2_T3_mmT4_T5_P12ihipStream_tbEUlRKsE_EESM_SQ_SR_mSS_SV_bEUlT_E_NS1_11comp_targetILNS1_3genE5ELNS1_11target_archE942ELNS1_3gpuE9ELNS1_3repE0EEENS1_30default_config_static_selectorELNS0_4arch9wavefront6targetE0EEEvSP_
; %bb.0:
	.section	.rodata,"a",@progbits
	.p2align	6, 0x0
	.amdhsa_kernel _ZN7rocprim17ROCPRIM_400000_NS6detail17trampoline_kernelINS0_14default_configENS1_27lower_bound_config_selectorIsiEEZNS1_14transform_implILb0ES3_S5_N6thrust23THRUST_200600_302600_NS6detail15normal_iteratorINS8_10device_ptrIsEEEENSA_INSB_IiEEEEZNS1_13binary_searchIS3_S5_SD_SD_SF_NS1_21lower_bound_search_opENS9_16wrapped_functionINS0_4lessIvEEbEEEE10hipError_tPvRmT1_T2_T3_mmT4_T5_P12ihipStream_tbEUlRKsE_EESM_SQ_SR_mSS_SV_bEUlT_E_NS1_11comp_targetILNS1_3genE5ELNS1_11target_archE942ELNS1_3gpuE9ELNS1_3repE0EEENS1_30default_config_static_selectorELNS0_4arch9wavefront6targetE0EEEvSP_
		.amdhsa_group_segment_fixed_size 0
		.amdhsa_private_segment_fixed_size 0
		.amdhsa_kernarg_size 56
		.amdhsa_user_sgpr_count 15
		.amdhsa_user_sgpr_dispatch_ptr 0
		.amdhsa_user_sgpr_queue_ptr 0
		.amdhsa_user_sgpr_kernarg_segment_ptr 1
		.amdhsa_user_sgpr_dispatch_id 0
		.amdhsa_user_sgpr_private_segment_size 0
		.amdhsa_wavefront_size32 1
		.amdhsa_uses_dynamic_stack 0
		.amdhsa_enable_private_segment 0
		.amdhsa_system_sgpr_workgroup_id_x 1
		.amdhsa_system_sgpr_workgroup_id_y 0
		.amdhsa_system_sgpr_workgroup_id_z 0
		.amdhsa_system_sgpr_workgroup_info 0
		.amdhsa_system_vgpr_workitem_id 0
		.amdhsa_next_free_vgpr 1
		.amdhsa_next_free_sgpr 1
		.amdhsa_reserve_vcc 0
		.amdhsa_float_round_mode_32 0
		.amdhsa_float_round_mode_16_64 0
		.amdhsa_float_denorm_mode_32 3
		.amdhsa_float_denorm_mode_16_64 3
		.amdhsa_dx10_clamp 1
		.amdhsa_ieee_mode 1
		.amdhsa_fp16_overflow 0
		.amdhsa_workgroup_processor_mode 1
		.amdhsa_memory_ordered 1
		.amdhsa_forward_progress 0
		.amdhsa_shared_vgpr_count 0
		.amdhsa_exception_fp_ieee_invalid_op 0
		.amdhsa_exception_fp_denorm_src 0
		.amdhsa_exception_fp_ieee_div_zero 0
		.amdhsa_exception_fp_ieee_overflow 0
		.amdhsa_exception_fp_ieee_underflow 0
		.amdhsa_exception_fp_ieee_inexact 0
		.amdhsa_exception_int_div_zero 0
	.end_amdhsa_kernel
	.section	.text._ZN7rocprim17ROCPRIM_400000_NS6detail17trampoline_kernelINS0_14default_configENS1_27lower_bound_config_selectorIsiEEZNS1_14transform_implILb0ES3_S5_N6thrust23THRUST_200600_302600_NS6detail15normal_iteratorINS8_10device_ptrIsEEEENSA_INSB_IiEEEEZNS1_13binary_searchIS3_S5_SD_SD_SF_NS1_21lower_bound_search_opENS9_16wrapped_functionINS0_4lessIvEEbEEEE10hipError_tPvRmT1_T2_T3_mmT4_T5_P12ihipStream_tbEUlRKsE_EESM_SQ_SR_mSS_SV_bEUlT_E_NS1_11comp_targetILNS1_3genE5ELNS1_11target_archE942ELNS1_3gpuE9ELNS1_3repE0EEENS1_30default_config_static_selectorELNS0_4arch9wavefront6targetE0EEEvSP_,"axG",@progbits,_ZN7rocprim17ROCPRIM_400000_NS6detail17trampoline_kernelINS0_14default_configENS1_27lower_bound_config_selectorIsiEEZNS1_14transform_implILb0ES3_S5_N6thrust23THRUST_200600_302600_NS6detail15normal_iteratorINS8_10device_ptrIsEEEENSA_INSB_IiEEEEZNS1_13binary_searchIS3_S5_SD_SD_SF_NS1_21lower_bound_search_opENS9_16wrapped_functionINS0_4lessIvEEbEEEE10hipError_tPvRmT1_T2_T3_mmT4_T5_P12ihipStream_tbEUlRKsE_EESM_SQ_SR_mSS_SV_bEUlT_E_NS1_11comp_targetILNS1_3genE5ELNS1_11target_archE942ELNS1_3gpuE9ELNS1_3repE0EEENS1_30default_config_static_selectorELNS0_4arch9wavefront6targetE0EEEvSP_,comdat
.Lfunc_end322:
	.size	_ZN7rocprim17ROCPRIM_400000_NS6detail17trampoline_kernelINS0_14default_configENS1_27lower_bound_config_selectorIsiEEZNS1_14transform_implILb0ES3_S5_N6thrust23THRUST_200600_302600_NS6detail15normal_iteratorINS8_10device_ptrIsEEEENSA_INSB_IiEEEEZNS1_13binary_searchIS3_S5_SD_SD_SF_NS1_21lower_bound_search_opENS9_16wrapped_functionINS0_4lessIvEEbEEEE10hipError_tPvRmT1_T2_T3_mmT4_T5_P12ihipStream_tbEUlRKsE_EESM_SQ_SR_mSS_SV_bEUlT_E_NS1_11comp_targetILNS1_3genE5ELNS1_11target_archE942ELNS1_3gpuE9ELNS1_3repE0EEENS1_30default_config_static_selectorELNS0_4arch9wavefront6targetE0EEEvSP_, .Lfunc_end322-_ZN7rocprim17ROCPRIM_400000_NS6detail17trampoline_kernelINS0_14default_configENS1_27lower_bound_config_selectorIsiEEZNS1_14transform_implILb0ES3_S5_N6thrust23THRUST_200600_302600_NS6detail15normal_iteratorINS8_10device_ptrIsEEEENSA_INSB_IiEEEEZNS1_13binary_searchIS3_S5_SD_SD_SF_NS1_21lower_bound_search_opENS9_16wrapped_functionINS0_4lessIvEEbEEEE10hipError_tPvRmT1_T2_T3_mmT4_T5_P12ihipStream_tbEUlRKsE_EESM_SQ_SR_mSS_SV_bEUlT_E_NS1_11comp_targetILNS1_3genE5ELNS1_11target_archE942ELNS1_3gpuE9ELNS1_3repE0EEENS1_30default_config_static_selectorELNS0_4arch9wavefront6targetE0EEEvSP_
                                        ; -- End function
	.section	.AMDGPU.csdata,"",@progbits
; Kernel info:
; codeLenInByte = 0
; NumSgprs: 0
; NumVgprs: 0
; ScratchSize: 0
; MemoryBound: 0
; FloatMode: 240
; IeeeMode: 1
; LDSByteSize: 0 bytes/workgroup (compile time only)
; SGPRBlocks: 0
; VGPRBlocks: 0
; NumSGPRsForWavesPerEU: 1
; NumVGPRsForWavesPerEU: 1
; Occupancy: 16
; WaveLimiterHint : 0
; COMPUTE_PGM_RSRC2:SCRATCH_EN: 0
; COMPUTE_PGM_RSRC2:USER_SGPR: 15
; COMPUTE_PGM_RSRC2:TRAP_HANDLER: 0
; COMPUTE_PGM_RSRC2:TGID_X_EN: 1
; COMPUTE_PGM_RSRC2:TGID_Y_EN: 0
; COMPUTE_PGM_RSRC2:TGID_Z_EN: 0
; COMPUTE_PGM_RSRC2:TIDIG_COMP_CNT: 0
	.section	.text._ZN7rocprim17ROCPRIM_400000_NS6detail17trampoline_kernelINS0_14default_configENS1_27lower_bound_config_selectorIsiEEZNS1_14transform_implILb0ES3_S5_N6thrust23THRUST_200600_302600_NS6detail15normal_iteratorINS8_10device_ptrIsEEEENSA_INSB_IiEEEEZNS1_13binary_searchIS3_S5_SD_SD_SF_NS1_21lower_bound_search_opENS9_16wrapped_functionINS0_4lessIvEEbEEEE10hipError_tPvRmT1_T2_T3_mmT4_T5_P12ihipStream_tbEUlRKsE_EESM_SQ_SR_mSS_SV_bEUlT_E_NS1_11comp_targetILNS1_3genE4ELNS1_11target_archE910ELNS1_3gpuE8ELNS1_3repE0EEENS1_30default_config_static_selectorELNS0_4arch9wavefront6targetE0EEEvSP_,"axG",@progbits,_ZN7rocprim17ROCPRIM_400000_NS6detail17trampoline_kernelINS0_14default_configENS1_27lower_bound_config_selectorIsiEEZNS1_14transform_implILb0ES3_S5_N6thrust23THRUST_200600_302600_NS6detail15normal_iteratorINS8_10device_ptrIsEEEENSA_INSB_IiEEEEZNS1_13binary_searchIS3_S5_SD_SD_SF_NS1_21lower_bound_search_opENS9_16wrapped_functionINS0_4lessIvEEbEEEE10hipError_tPvRmT1_T2_T3_mmT4_T5_P12ihipStream_tbEUlRKsE_EESM_SQ_SR_mSS_SV_bEUlT_E_NS1_11comp_targetILNS1_3genE4ELNS1_11target_archE910ELNS1_3gpuE8ELNS1_3repE0EEENS1_30default_config_static_selectorELNS0_4arch9wavefront6targetE0EEEvSP_,comdat
	.protected	_ZN7rocprim17ROCPRIM_400000_NS6detail17trampoline_kernelINS0_14default_configENS1_27lower_bound_config_selectorIsiEEZNS1_14transform_implILb0ES3_S5_N6thrust23THRUST_200600_302600_NS6detail15normal_iteratorINS8_10device_ptrIsEEEENSA_INSB_IiEEEEZNS1_13binary_searchIS3_S5_SD_SD_SF_NS1_21lower_bound_search_opENS9_16wrapped_functionINS0_4lessIvEEbEEEE10hipError_tPvRmT1_T2_T3_mmT4_T5_P12ihipStream_tbEUlRKsE_EESM_SQ_SR_mSS_SV_bEUlT_E_NS1_11comp_targetILNS1_3genE4ELNS1_11target_archE910ELNS1_3gpuE8ELNS1_3repE0EEENS1_30default_config_static_selectorELNS0_4arch9wavefront6targetE0EEEvSP_ ; -- Begin function _ZN7rocprim17ROCPRIM_400000_NS6detail17trampoline_kernelINS0_14default_configENS1_27lower_bound_config_selectorIsiEEZNS1_14transform_implILb0ES3_S5_N6thrust23THRUST_200600_302600_NS6detail15normal_iteratorINS8_10device_ptrIsEEEENSA_INSB_IiEEEEZNS1_13binary_searchIS3_S5_SD_SD_SF_NS1_21lower_bound_search_opENS9_16wrapped_functionINS0_4lessIvEEbEEEE10hipError_tPvRmT1_T2_T3_mmT4_T5_P12ihipStream_tbEUlRKsE_EESM_SQ_SR_mSS_SV_bEUlT_E_NS1_11comp_targetILNS1_3genE4ELNS1_11target_archE910ELNS1_3gpuE8ELNS1_3repE0EEENS1_30default_config_static_selectorELNS0_4arch9wavefront6targetE0EEEvSP_
	.globl	_ZN7rocprim17ROCPRIM_400000_NS6detail17trampoline_kernelINS0_14default_configENS1_27lower_bound_config_selectorIsiEEZNS1_14transform_implILb0ES3_S5_N6thrust23THRUST_200600_302600_NS6detail15normal_iteratorINS8_10device_ptrIsEEEENSA_INSB_IiEEEEZNS1_13binary_searchIS3_S5_SD_SD_SF_NS1_21lower_bound_search_opENS9_16wrapped_functionINS0_4lessIvEEbEEEE10hipError_tPvRmT1_T2_T3_mmT4_T5_P12ihipStream_tbEUlRKsE_EESM_SQ_SR_mSS_SV_bEUlT_E_NS1_11comp_targetILNS1_3genE4ELNS1_11target_archE910ELNS1_3gpuE8ELNS1_3repE0EEENS1_30default_config_static_selectorELNS0_4arch9wavefront6targetE0EEEvSP_
	.p2align	8
	.type	_ZN7rocprim17ROCPRIM_400000_NS6detail17trampoline_kernelINS0_14default_configENS1_27lower_bound_config_selectorIsiEEZNS1_14transform_implILb0ES3_S5_N6thrust23THRUST_200600_302600_NS6detail15normal_iteratorINS8_10device_ptrIsEEEENSA_INSB_IiEEEEZNS1_13binary_searchIS3_S5_SD_SD_SF_NS1_21lower_bound_search_opENS9_16wrapped_functionINS0_4lessIvEEbEEEE10hipError_tPvRmT1_T2_T3_mmT4_T5_P12ihipStream_tbEUlRKsE_EESM_SQ_SR_mSS_SV_bEUlT_E_NS1_11comp_targetILNS1_3genE4ELNS1_11target_archE910ELNS1_3gpuE8ELNS1_3repE0EEENS1_30default_config_static_selectorELNS0_4arch9wavefront6targetE0EEEvSP_,@function
_ZN7rocprim17ROCPRIM_400000_NS6detail17trampoline_kernelINS0_14default_configENS1_27lower_bound_config_selectorIsiEEZNS1_14transform_implILb0ES3_S5_N6thrust23THRUST_200600_302600_NS6detail15normal_iteratorINS8_10device_ptrIsEEEENSA_INSB_IiEEEEZNS1_13binary_searchIS3_S5_SD_SD_SF_NS1_21lower_bound_search_opENS9_16wrapped_functionINS0_4lessIvEEbEEEE10hipError_tPvRmT1_T2_T3_mmT4_T5_P12ihipStream_tbEUlRKsE_EESM_SQ_SR_mSS_SV_bEUlT_E_NS1_11comp_targetILNS1_3genE4ELNS1_11target_archE910ELNS1_3gpuE8ELNS1_3repE0EEENS1_30default_config_static_selectorELNS0_4arch9wavefront6targetE0EEEvSP_: ; @_ZN7rocprim17ROCPRIM_400000_NS6detail17trampoline_kernelINS0_14default_configENS1_27lower_bound_config_selectorIsiEEZNS1_14transform_implILb0ES3_S5_N6thrust23THRUST_200600_302600_NS6detail15normal_iteratorINS8_10device_ptrIsEEEENSA_INSB_IiEEEEZNS1_13binary_searchIS3_S5_SD_SD_SF_NS1_21lower_bound_search_opENS9_16wrapped_functionINS0_4lessIvEEbEEEE10hipError_tPvRmT1_T2_T3_mmT4_T5_P12ihipStream_tbEUlRKsE_EESM_SQ_SR_mSS_SV_bEUlT_E_NS1_11comp_targetILNS1_3genE4ELNS1_11target_archE910ELNS1_3gpuE8ELNS1_3repE0EEENS1_30default_config_static_selectorELNS0_4arch9wavefront6targetE0EEEvSP_
; %bb.0:
	.section	.rodata,"a",@progbits
	.p2align	6, 0x0
	.amdhsa_kernel _ZN7rocprim17ROCPRIM_400000_NS6detail17trampoline_kernelINS0_14default_configENS1_27lower_bound_config_selectorIsiEEZNS1_14transform_implILb0ES3_S5_N6thrust23THRUST_200600_302600_NS6detail15normal_iteratorINS8_10device_ptrIsEEEENSA_INSB_IiEEEEZNS1_13binary_searchIS3_S5_SD_SD_SF_NS1_21lower_bound_search_opENS9_16wrapped_functionINS0_4lessIvEEbEEEE10hipError_tPvRmT1_T2_T3_mmT4_T5_P12ihipStream_tbEUlRKsE_EESM_SQ_SR_mSS_SV_bEUlT_E_NS1_11comp_targetILNS1_3genE4ELNS1_11target_archE910ELNS1_3gpuE8ELNS1_3repE0EEENS1_30default_config_static_selectorELNS0_4arch9wavefront6targetE0EEEvSP_
		.amdhsa_group_segment_fixed_size 0
		.amdhsa_private_segment_fixed_size 0
		.amdhsa_kernarg_size 56
		.amdhsa_user_sgpr_count 15
		.amdhsa_user_sgpr_dispatch_ptr 0
		.amdhsa_user_sgpr_queue_ptr 0
		.amdhsa_user_sgpr_kernarg_segment_ptr 1
		.amdhsa_user_sgpr_dispatch_id 0
		.amdhsa_user_sgpr_private_segment_size 0
		.amdhsa_wavefront_size32 1
		.amdhsa_uses_dynamic_stack 0
		.amdhsa_enable_private_segment 0
		.amdhsa_system_sgpr_workgroup_id_x 1
		.amdhsa_system_sgpr_workgroup_id_y 0
		.amdhsa_system_sgpr_workgroup_id_z 0
		.amdhsa_system_sgpr_workgroup_info 0
		.amdhsa_system_vgpr_workitem_id 0
		.amdhsa_next_free_vgpr 1
		.amdhsa_next_free_sgpr 1
		.amdhsa_reserve_vcc 0
		.amdhsa_float_round_mode_32 0
		.amdhsa_float_round_mode_16_64 0
		.amdhsa_float_denorm_mode_32 3
		.amdhsa_float_denorm_mode_16_64 3
		.amdhsa_dx10_clamp 1
		.amdhsa_ieee_mode 1
		.amdhsa_fp16_overflow 0
		.amdhsa_workgroup_processor_mode 1
		.amdhsa_memory_ordered 1
		.amdhsa_forward_progress 0
		.amdhsa_shared_vgpr_count 0
		.amdhsa_exception_fp_ieee_invalid_op 0
		.amdhsa_exception_fp_denorm_src 0
		.amdhsa_exception_fp_ieee_div_zero 0
		.amdhsa_exception_fp_ieee_overflow 0
		.amdhsa_exception_fp_ieee_underflow 0
		.amdhsa_exception_fp_ieee_inexact 0
		.amdhsa_exception_int_div_zero 0
	.end_amdhsa_kernel
	.section	.text._ZN7rocprim17ROCPRIM_400000_NS6detail17trampoline_kernelINS0_14default_configENS1_27lower_bound_config_selectorIsiEEZNS1_14transform_implILb0ES3_S5_N6thrust23THRUST_200600_302600_NS6detail15normal_iteratorINS8_10device_ptrIsEEEENSA_INSB_IiEEEEZNS1_13binary_searchIS3_S5_SD_SD_SF_NS1_21lower_bound_search_opENS9_16wrapped_functionINS0_4lessIvEEbEEEE10hipError_tPvRmT1_T2_T3_mmT4_T5_P12ihipStream_tbEUlRKsE_EESM_SQ_SR_mSS_SV_bEUlT_E_NS1_11comp_targetILNS1_3genE4ELNS1_11target_archE910ELNS1_3gpuE8ELNS1_3repE0EEENS1_30default_config_static_selectorELNS0_4arch9wavefront6targetE0EEEvSP_,"axG",@progbits,_ZN7rocprim17ROCPRIM_400000_NS6detail17trampoline_kernelINS0_14default_configENS1_27lower_bound_config_selectorIsiEEZNS1_14transform_implILb0ES3_S5_N6thrust23THRUST_200600_302600_NS6detail15normal_iteratorINS8_10device_ptrIsEEEENSA_INSB_IiEEEEZNS1_13binary_searchIS3_S5_SD_SD_SF_NS1_21lower_bound_search_opENS9_16wrapped_functionINS0_4lessIvEEbEEEE10hipError_tPvRmT1_T2_T3_mmT4_T5_P12ihipStream_tbEUlRKsE_EESM_SQ_SR_mSS_SV_bEUlT_E_NS1_11comp_targetILNS1_3genE4ELNS1_11target_archE910ELNS1_3gpuE8ELNS1_3repE0EEENS1_30default_config_static_selectorELNS0_4arch9wavefront6targetE0EEEvSP_,comdat
.Lfunc_end323:
	.size	_ZN7rocprim17ROCPRIM_400000_NS6detail17trampoline_kernelINS0_14default_configENS1_27lower_bound_config_selectorIsiEEZNS1_14transform_implILb0ES3_S5_N6thrust23THRUST_200600_302600_NS6detail15normal_iteratorINS8_10device_ptrIsEEEENSA_INSB_IiEEEEZNS1_13binary_searchIS3_S5_SD_SD_SF_NS1_21lower_bound_search_opENS9_16wrapped_functionINS0_4lessIvEEbEEEE10hipError_tPvRmT1_T2_T3_mmT4_T5_P12ihipStream_tbEUlRKsE_EESM_SQ_SR_mSS_SV_bEUlT_E_NS1_11comp_targetILNS1_3genE4ELNS1_11target_archE910ELNS1_3gpuE8ELNS1_3repE0EEENS1_30default_config_static_selectorELNS0_4arch9wavefront6targetE0EEEvSP_, .Lfunc_end323-_ZN7rocprim17ROCPRIM_400000_NS6detail17trampoline_kernelINS0_14default_configENS1_27lower_bound_config_selectorIsiEEZNS1_14transform_implILb0ES3_S5_N6thrust23THRUST_200600_302600_NS6detail15normal_iteratorINS8_10device_ptrIsEEEENSA_INSB_IiEEEEZNS1_13binary_searchIS3_S5_SD_SD_SF_NS1_21lower_bound_search_opENS9_16wrapped_functionINS0_4lessIvEEbEEEE10hipError_tPvRmT1_T2_T3_mmT4_T5_P12ihipStream_tbEUlRKsE_EESM_SQ_SR_mSS_SV_bEUlT_E_NS1_11comp_targetILNS1_3genE4ELNS1_11target_archE910ELNS1_3gpuE8ELNS1_3repE0EEENS1_30default_config_static_selectorELNS0_4arch9wavefront6targetE0EEEvSP_
                                        ; -- End function
	.section	.AMDGPU.csdata,"",@progbits
; Kernel info:
; codeLenInByte = 0
; NumSgprs: 0
; NumVgprs: 0
; ScratchSize: 0
; MemoryBound: 0
; FloatMode: 240
; IeeeMode: 1
; LDSByteSize: 0 bytes/workgroup (compile time only)
; SGPRBlocks: 0
; VGPRBlocks: 0
; NumSGPRsForWavesPerEU: 1
; NumVGPRsForWavesPerEU: 1
; Occupancy: 16
; WaveLimiterHint : 0
; COMPUTE_PGM_RSRC2:SCRATCH_EN: 0
; COMPUTE_PGM_RSRC2:USER_SGPR: 15
; COMPUTE_PGM_RSRC2:TRAP_HANDLER: 0
; COMPUTE_PGM_RSRC2:TGID_X_EN: 1
; COMPUTE_PGM_RSRC2:TGID_Y_EN: 0
; COMPUTE_PGM_RSRC2:TGID_Z_EN: 0
; COMPUTE_PGM_RSRC2:TIDIG_COMP_CNT: 0
	.section	.text._ZN7rocprim17ROCPRIM_400000_NS6detail17trampoline_kernelINS0_14default_configENS1_27lower_bound_config_selectorIsiEEZNS1_14transform_implILb0ES3_S5_N6thrust23THRUST_200600_302600_NS6detail15normal_iteratorINS8_10device_ptrIsEEEENSA_INSB_IiEEEEZNS1_13binary_searchIS3_S5_SD_SD_SF_NS1_21lower_bound_search_opENS9_16wrapped_functionINS0_4lessIvEEbEEEE10hipError_tPvRmT1_T2_T3_mmT4_T5_P12ihipStream_tbEUlRKsE_EESM_SQ_SR_mSS_SV_bEUlT_E_NS1_11comp_targetILNS1_3genE3ELNS1_11target_archE908ELNS1_3gpuE7ELNS1_3repE0EEENS1_30default_config_static_selectorELNS0_4arch9wavefront6targetE0EEEvSP_,"axG",@progbits,_ZN7rocprim17ROCPRIM_400000_NS6detail17trampoline_kernelINS0_14default_configENS1_27lower_bound_config_selectorIsiEEZNS1_14transform_implILb0ES3_S5_N6thrust23THRUST_200600_302600_NS6detail15normal_iteratorINS8_10device_ptrIsEEEENSA_INSB_IiEEEEZNS1_13binary_searchIS3_S5_SD_SD_SF_NS1_21lower_bound_search_opENS9_16wrapped_functionINS0_4lessIvEEbEEEE10hipError_tPvRmT1_T2_T3_mmT4_T5_P12ihipStream_tbEUlRKsE_EESM_SQ_SR_mSS_SV_bEUlT_E_NS1_11comp_targetILNS1_3genE3ELNS1_11target_archE908ELNS1_3gpuE7ELNS1_3repE0EEENS1_30default_config_static_selectorELNS0_4arch9wavefront6targetE0EEEvSP_,comdat
	.protected	_ZN7rocprim17ROCPRIM_400000_NS6detail17trampoline_kernelINS0_14default_configENS1_27lower_bound_config_selectorIsiEEZNS1_14transform_implILb0ES3_S5_N6thrust23THRUST_200600_302600_NS6detail15normal_iteratorINS8_10device_ptrIsEEEENSA_INSB_IiEEEEZNS1_13binary_searchIS3_S5_SD_SD_SF_NS1_21lower_bound_search_opENS9_16wrapped_functionINS0_4lessIvEEbEEEE10hipError_tPvRmT1_T2_T3_mmT4_T5_P12ihipStream_tbEUlRKsE_EESM_SQ_SR_mSS_SV_bEUlT_E_NS1_11comp_targetILNS1_3genE3ELNS1_11target_archE908ELNS1_3gpuE7ELNS1_3repE0EEENS1_30default_config_static_selectorELNS0_4arch9wavefront6targetE0EEEvSP_ ; -- Begin function _ZN7rocprim17ROCPRIM_400000_NS6detail17trampoline_kernelINS0_14default_configENS1_27lower_bound_config_selectorIsiEEZNS1_14transform_implILb0ES3_S5_N6thrust23THRUST_200600_302600_NS6detail15normal_iteratorINS8_10device_ptrIsEEEENSA_INSB_IiEEEEZNS1_13binary_searchIS3_S5_SD_SD_SF_NS1_21lower_bound_search_opENS9_16wrapped_functionINS0_4lessIvEEbEEEE10hipError_tPvRmT1_T2_T3_mmT4_T5_P12ihipStream_tbEUlRKsE_EESM_SQ_SR_mSS_SV_bEUlT_E_NS1_11comp_targetILNS1_3genE3ELNS1_11target_archE908ELNS1_3gpuE7ELNS1_3repE0EEENS1_30default_config_static_selectorELNS0_4arch9wavefront6targetE0EEEvSP_
	.globl	_ZN7rocprim17ROCPRIM_400000_NS6detail17trampoline_kernelINS0_14default_configENS1_27lower_bound_config_selectorIsiEEZNS1_14transform_implILb0ES3_S5_N6thrust23THRUST_200600_302600_NS6detail15normal_iteratorINS8_10device_ptrIsEEEENSA_INSB_IiEEEEZNS1_13binary_searchIS3_S5_SD_SD_SF_NS1_21lower_bound_search_opENS9_16wrapped_functionINS0_4lessIvEEbEEEE10hipError_tPvRmT1_T2_T3_mmT4_T5_P12ihipStream_tbEUlRKsE_EESM_SQ_SR_mSS_SV_bEUlT_E_NS1_11comp_targetILNS1_3genE3ELNS1_11target_archE908ELNS1_3gpuE7ELNS1_3repE0EEENS1_30default_config_static_selectorELNS0_4arch9wavefront6targetE0EEEvSP_
	.p2align	8
	.type	_ZN7rocprim17ROCPRIM_400000_NS6detail17trampoline_kernelINS0_14default_configENS1_27lower_bound_config_selectorIsiEEZNS1_14transform_implILb0ES3_S5_N6thrust23THRUST_200600_302600_NS6detail15normal_iteratorINS8_10device_ptrIsEEEENSA_INSB_IiEEEEZNS1_13binary_searchIS3_S5_SD_SD_SF_NS1_21lower_bound_search_opENS9_16wrapped_functionINS0_4lessIvEEbEEEE10hipError_tPvRmT1_T2_T3_mmT4_T5_P12ihipStream_tbEUlRKsE_EESM_SQ_SR_mSS_SV_bEUlT_E_NS1_11comp_targetILNS1_3genE3ELNS1_11target_archE908ELNS1_3gpuE7ELNS1_3repE0EEENS1_30default_config_static_selectorELNS0_4arch9wavefront6targetE0EEEvSP_,@function
_ZN7rocprim17ROCPRIM_400000_NS6detail17trampoline_kernelINS0_14default_configENS1_27lower_bound_config_selectorIsiEEZNS1_14transform_implILb0ES3_S5_N6thrust23THRUST_200600_302600_NS6detail15normal_iteratorINS8_10device_ptrIsEEEENSA_INSB_IiEEEEZNS1_13binary_searchIS3_S5_SD_SD_SF_NS1_21lower_bound_search_opENS9_16wrapped_functionINS0_4lessIvEEbEEEE10hipError_tPvRmT1_T2_T3_mmT4_T5_P12ihipStream_tbEUlRKsE_EESM_SQ_SR_mSS_SV_bEUlT_E_NS1_11comp_targetILNS1_3genE3ELNS1_11target_archE908ELNS1_3gpuE7ELNS1_3repE0EEENS1_30default_config_static_selectorELNS0_4arch9wavefront6targetE0EEEvSP_: ; @_ZN7rocprim17ROCPRIM_400000_NS6detail17trampoline_kernelINS0_14default_configENS1_27lower_bound_config_selectorIsiEEZNS1_14transform_implILb0ES3_S5_N6thrust23THRUST_200600_302600_NS6detail15normal_iteratorINS8_10device_ptrIsEEEENSA_INSB_IiEEEEZNS1_13binary_searchIS3_S5_SD_SD_SF_NS1_21lower_bound_search_opENS9_16wrapped_functionINS0_4lessIvEEbEEEE10hipError_tPvRmT1_T2_T3_mmT4_T5_P12ihipStream_tbEUlRKsE_EESM_SQ_SR_mSS_SV_bEUlT_E_NS1_11comp_targetILNS1_3genE3ELNS1_11target_archE908ELNS1_3gpuE7ELNS1_3repE0EEENS1_30default_config_static_selectorELNS0_4arch9wavefront6targetE0EEEvSP_
; %bb.0:
	.section	.rodata,"a",@progbits
	.p2align	6, 0x0
	.amdhsa_kernel _ZN7rocprim17ROCPRIM_400000_NS6detail17trampoline_kernelINS0_14default_configENS1_27lower_bound_config_selectorIsiEEZNS1_14transform_implILb0ES3_S5_N6thrust23THRUST_200600_302600_NS6detail15normal_iteratorINS8_10device_ptrIsEEEENSA_INSB_IiEEEEZNS1_13binary_searchIS3_S5_SD_SD_SF_NS1_21lower_bound_search_opENS9_16wrapped_functionINS0_4lessIvEEbEEEE10hipError_tPvRmT1_T2_T3_mmT4_T5_P12ihipStream_tbEUlRKsE_EESM_SQ_SR_mSS_SV_bEUlT_E_NS1_11comp_targetILNS1_3genE3ELNS1_11target_archE908ELNS1_3gpuE7ELNS1_3repE0EEENS1_30default_config_static_selectorELNS0_4arch9wavefront6targetE0EEEvSP_
		.amdhsa_group_segment_fixed_size 0
		.amdhsa_private_segment_fixed_size 0
		.amdhsa_kernarg_size 56
		.amdhsa_user_sgpr_count 15
		.amdhsa_user_sgpr_dispatch_ptr 0
		.amdhsa_user_sgpr_queue_ptr 0
		.amdhsa_user_sgpr_kernarg_segment_ptr 1
		.amdhsa_user_sgpr_dispatch_id 0
		.amdhsa_user_sgpr_private_segment_size 0
		.amdhsa_wavefront_size32 1
		.amdhsa_uses_dynamic_stack 0
		.amdhsa_enable_private_segment 0
		.amdhsa_system_sgpr_workgroup_id_x 1
		.amdhsa_system_sgpr_workgroup_id_y 0
		.amdhsa_system_sgpr_workgroup_id_z 0
		.amdhsa_system_sgpr_workgroup_info 0
		.amdhsa_system_vgpr_workitem_id 0
		.amdhsa_next_free_vgpr 1
		.amdhsa_next_free_sgpr 1
		.amdhsa_reserve_vcc 0
		.amdhsa_float_round_mode_32 0
		.amdhsa_float_round_mode_16_64 0
		.amdhsa_float_denorm_mode_32 3
		.amdhsa_float_denorm_mode_16_64 3
		.amdhsa_dx10_clamp 1
		.amdhsa_ieee_mode 1
		.amdhsa_fp16_overflow 0
		.amdhsa_workgroup_processor_mode 1
		.amdhsa_memory_ordered 1
		.amdhsa_forward_progress 0
		.amdhsa_shared_vgpr_count 0
		.amdhsa_exception_fp_ieee_invalid_op 0
		.amdhsa_exception_fp_denorm_src 0
		.amdhsa_exception_fp_ieee_div_zero 0
		.amdhsa_exception_fp_ieee_overflow 0
		.amdhsa_exception_fp_ieee_underflow 0
		.amdhsa_exception_fp_ieee_inexact 0
		.amdhsa_exception_int_div_zero 0
	.end_amdhsa_kernel
	.section	.text._ZN7rocprim17ROCPRIM_400000_NS6detail17trampoline_kernelINS0_14default_configENS1_27lower_bound_config_selectorIsiEEZNS1_14transform_implILb0ES3_S5_N6thrust23THRUST_200600_302600_NS6detail15normal_iteratorINS8_10device_ptrIsEEEENSA_INSB_IiEEEEZNS1_13binary_searchIS3_S5_SD_SD_SF_NS1_21lower_bound_search_opENS9_16wrapped_functionINS0_4lessIvEEbEEEE10hipError_tPvRmT1_T2_T3_mmT4_T5_P12ihipStream_tbEUlRKsE_EESM_SQ_SR_mSS_SV_bEUlT_E_NS1_11comp_targetILNS1_3genE3ELNS1_11target_archE908ELNS1_3gpuE7ELNS1_3repE0EEENS1_30default_config_static_selectorELNS0_4arch9wavefront6targetE0EEEvSP_,"axG",@progbits,_ZN7rocprim17ROCPRIM_400000_NS6detail17trampoline_kernelINS0_14default_configENS1_27lower_bound_config_selectorIsiEEZNS1_14transform_implILb0ES3_S5_N6thrust23THRUST_200600_302600_NS6detail15normal_iteratorINS8_10device_ptrIsEEEENSA_INSB_IiEEEEZNS1_13binary_searchIS3_S5_SD_SD_SF_NS1_21lower_bound_search_opENS9_16wrapped_functionINS0_4lessIvEEbEEEE10hipError_tPvRmT1_T2_T3_mmT4_T5_P12ihipStream_tbEUlRKsE_EESM_SQ_SR_mSS_SV_bEUlT_E_NS1_11comp_targetILNS1_3genE3ELNS1_11target_archE908ELNS1_3gpuE7ELNS1_3repE0EEENS1_30default_config_static_selectorELNS0_4arch9wavefront6targetE0EEEvSP_,comdat
.Lfunc_end324:
	.size	_ZN7rocprim17ROCPRIM_400000_NS6detail17trampoline_kernelINS0_14default_configENS1_27lower_bound_config_selectorIsiEEZNS1_14transform_implILb0ES3_S5_N6thrust23THRUST_200600_302600_NS6detail15normal_iteratorINS8_10device_ptrIsEEEENSA_INSB_IiEEEEZNS1_13binary_searchIS3_S5_SD_SD_SF_NS1_21lower_bound_search_opENS9_16wrapped_functionINS0_4lessIvEEbEEEE10hipError_tPvRmT1_T2_T3_mmT4_T5_P12ihipStream_tbEUlRKsE_EESM_SQ_SR_mSS_SV_bEUlT_E_NS1_11comp_targetILNS1_3genE3ELNS1_11target_archE908ELNS1_3gpuE7ELNS1_3repE0EEENS1_30default_config_static_selectorELNS0_4arch9wavefront6targetE0EEEvSP_, .Lfunc_end324-_ZN7rocprim17ROCPRIM_400000_NS6detail17trampoline_kernelINS0_14default_configENS1_27lower_bound_config_selectorIsiEEZNS1_14transform_implILb0ES3_S5_N6thrust23THRUST_200600_302600_NS6detail15normal_iteratorINS8_10device_ptrIsEEEENSA_INSB_IiEEEEZNS1_13binary_searchIS3_S5_SD_SD_SF_NS1_21lower_bound_search_opENS9_16wrapped_functionINS0_4lessIvEEbEEEE10hipError_tPvRmT1_T2_T3_mmT4_T5_P12ihipStream_tbEUlRKsE_EESM_SQ_SR_mSS_SV_bEUlT_E_NS1_11comp_targetILNS1_3genE3ELNS1_11target_archE908ELNS1_3gpuE7ELNS1_3repE0EEENS1_30default_config_static_selectorELNS0_4arch9wavefront6targetE0EEEvSP_
                                        ; -- End function
	.section	.AMDGPU.csdata,"",@progbits
; Kernel info:
; codeLenInByte = 0
; NumSgprs: 0
; NumVgprs: 0
; ScratchSize: 0
; MemoryBound: 0
; FloatMode: 240
; IeeeMode: 1
; LDSByteSize: 0 bytes/workgroup (compile time only)
; SGPRBlocks: 0
; VGPRBlocks: 0
; NumSGPRsForWavesPerEU: 1
; NumVGPRsForWavesPerEU: 1
; Occupancy: 16
; WaveLimiterHint : 0
; COMPUTE_PGM_RSRC2:SCRATCH_EN: 0
; COMPUTE_PGM_RSRC2:USER_SGPR: 15
; COMPUTE_PGM_RSRC2:TRAP_HANDLER: 0
; COMPUTE_PGM_RSRC2:TGID_X_EN: 1
; COMPUTE_PGM_RSRC2:TGID_Y_EN: 0
; COMPUTE_PGM_RSRC2:TGID_Z_EN: 0
; COMPUTE_PGM_RSRC2:TIDIG_COMP_CNT: 0
	.section	.text._ZN7rocprim17ROCPRIM_400000_NS6detail17trampoline_kernelINS0_14default_configENS1_27lower_bound_config_selectorIsiEEZNS1_14transform_implILb0ES3_S5_N6thrust23THRUST_200600_302600_NS6detail15normal_iteratorINS8_10device_ptrIsEEEENSA_INSB_IiEEEEZNS1_13binary_searchIS3_S5_SD_SD_SF_NS1_21lower_bound_search_opENS9_16wrapped_functionINS0_4lessIvEEbEEEE10hipError_tPvRmT1_T2_T3_mmT4_T5_P12ihipStream_tbEUlRKsE_EESM_SQ_SR_mSS_SV_bEUlT_E_NS1_11comp_targetILNS1_3genE2ELNS1_11target_archE906ELNS1_3gpuE6ELNS1_3repE0EEENS1_30default_config_static_selectorELNS0_4arch9wavefront6targetE0EEEvSP_,"axG",@progbits,_ZN7rocprim17ROCPRIM_400000_NS6detail17trampoline_kernelINS0_14default_configENS1_27lower_bound_config_selectorIsiEEZNS1_14transform_implILb0ES3_S5_N6thrust23THRUST_200600_302600_NS6detail15normal_iteratorINS8_10device_ptrIsEEEENSA_INSB_IiEEEEZNS1_13binary_searchIS3_S5_SD_SD_SF_NS1_21lower_bound_search_opENS9_16wrapped_functionINS0_4lessIvEEbEEEE10hipError_tPvRmT1_T2_T3_mmT4_T5_P12ihipStream_tbEUlRKsE_EESM_SQ_SR_mSS_SV_bEUlT_E_NS1_11comp_targetILNS1_3genE2ELNS1_11target_archE906ELNS1_3gpuE6ELNS1_3repE0EEENS1_30default_config_static_selectorELNS0_4arch9wavefront6targetE0EEEvSP_,comdat
	.protected	_ZN7rocprim17ROCPRIM_400000_NS6detail17trampoline_kernelINS0_14default_configENS1_27lower_bound_config_selectorIsiEEZNS1_14transform_implILb0ES3_S5_N6thrust23THRUST_200600_302600_NS6detail15normal_iteratorINS8_10device_ptrIsEEEENSA_INSB_IiEEEEZNS1_13binary_searchIS3_S5_SD_SD_SF_NS1_21lower_bound_search_opENS9_16wrapped_functionINS0_4lessIvEEbEEEE10hipError_tPvRmT1_T2_T3_mmT4_T5_P12ihipStream_tbEUlRKsE_EESM_SQ_SR_mSS_SV_bEUlT_E_NS1_11comp_targetILNS1_3genE2ELNS1_11target_archE906ELNS1_3gpuE6ELNS1_3repE0EEENS1_30default_config_static_selectorELNS0_4arch9wavefront6targetE0EEEvSP_ ; -- Begin function _ZN7rocprim17ROCPRIM_400000_NS6detail17trampoline_kernelINS0_14default_configENS1_27lower_bound_config_selectorIsiEEZNS1_14transform_implILb0ES3_S5_N6thrust23THRUST_200600_302600_NS6detail15normal_iteratorINS8_10device_ptrIsEEEENSA_INSB_IiEEEEZNS1_13binary_searchIS3_S5_SD_SD_SF_NS1_21lower_bound_search_opENS9_16wrapped_functionINS0_4lessIvEEbEEEE10hipError_tPvRmT1_T2_T3_mmT4_T5_P12ihipStream_tbEUlRKsE_EESM_SQ_SR_mSS_SV_bEUlT_E_NS1_11comp_targetILNS1_3genE2ELNS1_11target_archE906ELNS1_3gpuE6ELNS1_3repE0EEENS1_30default_config_static_selectorELNS0_4arch9wavefront6targetE0EEEvSP_
	.globl	_ZN7rocprim17ROCPRIM_400000_NS6detail17trampoline_kernelINS0_14default_configENS1_27lower_bound_config_selectorIsiEEZNS1_14transform_implILb0ES3_S5_N6thrust23THRUST_200600_302600_NS6detail15normal_iteratorINS8_10device_ptrIsEEEENSA_INSB_IiEEEEZNS1_13binary_searchIS3_S5_SD_SD_SF_NS1_21lower_bound_search_opENS9_16wrapped_functionINS0_4lessIvEEbEEEE10hipError_tPvRmT1_T2_T3_mmT4_T5_P12ihipStream_tbEUlRKsE_EESM_SQ_SR_mSS_SV_bEUlT_E_NS1_11comp_targetILNS1_3genE2ELNS1_11target_archE906ELNS1_3gpuE6ELNS1_3repE0EEENS1_30default_config_static_selectorELNS0_4arch9wavefront6targetE0EEEvSP_
	.p2align	8
	.type	_ZN7rocprim17ROCPRIM_400000_NS6detail17trampoline_kernelINS0_14default_configENS1_27lower_bound_config_selectorIsiEEZNS1_14transform_implILb0ES3_S5_N6thrust23THRUST_200600_302600_NS6detail15normal_iteratorINS8_10device_ptrIsEEEENSA_INSB_IiEEEEZNS1_13binary_searchIS3_S5_SD_SD_SF_NS1_21lower_bound_search_opENS9_16wrapped_functionINS0_4lessIvEEbEEEE10hipError_tPvRmT1_T2_T3_mmT4_T5_P12ihipStream_tbEUlRKsE_EESM_SQ_SR_mSS_SV_bEUlT_E_NS1_11comp_targetILNS1_3genE2ELNS1_11target_archE906ELNS1_3gpuE6ELNS1_3repE0EEENS1_30default_config_static_selectorELNS0_4arch9wavefront6targetE0EEEvSP_,@function
_ZN7rocprim17ROCPRIM_400000_NS6detail17trampoline_kernelINS0_14default_configENS1_27lower_bound_config_selectorIsiEEZNS1_14transform_implILb0ES3_S5_N6thrust23THRUST_200600_302600_NS6detail15normal_iteratorINS8_10device_ptrIsEEEENSA_INSB_IiEEEEZNS1_13binary_searchIS3_S5_SD_SD_SF_NS1_21lower_bound_search_opENS9_16wrapped_functionINS0_4lessIvEEbEEEE10hipError_tPvRmT1_T2_T3_mmT4_T5_P12ihipStream_tbEUlRKsE_EESM_SQ_SR_mSS_SV_bEUlT_E_NS1_11comp_targetILNS1_3genE2ELNS1_11target_archE906ELNS1_3gpuE6ELNS1_3repE0EEENS1_30default_config_static_selectorELNS0_4arch9wavefront6targetE0EEEvSP_: ; @_ZN7rocprim17ROCPRIM_400000_NS6detail17trampoline_kernelINS0_14default_configENS1_27lower_bound_config_selectorIsiEEZNS1_14transform_implILb0ES3_S5_N6thrust23THRUST_200600_302600_NS6detail15normal_iteratorINS8_10device_ptrIsEEEENSA_INSB_IiEEEEZNS1_13binary_searchIS3_S5_SD_SD_SF_NS1_21lower_bound_search_opENS9_16wrapped_functionINS0_4lessIvEEbEEEE10hipError_tPvRmT1_T2_T3_mmT4_T5_P12ihipStream_tbEUlRKsE_EESM_SQ_SR_mSS_SV_bEUlT_E_NS1_11comp_targetILNS1_3genE2ELNS1_11target_archE906ELNS1_3gpuE6ELNS1_3repE0EEENS1_30default_config_static_selectorELNS0_4arch9wavefront6targetE0EEEvSP_
; %bb.0:
	.section	.rodata,"a",@progbits
	.p2align	6, 0x0
	.amdhsa_kernel _ZN7rocprim17ROCPRIM_400000_NS6detail17trampoline_kernelINS0_14default_configENS1_27lower_bound_config_selectorIsiEEZNS1_14transform_implILb0ES3_S5_N6thrust23THRUST_200600_302600_NS6detail15normal_iteratorINS8_10device_ptrIsEEEENSA_INSB_IiEEEEZNS1_13binary_searchIS3_S5_SD_SD_SF_NS1_21lower_bound_search_opENS9_16wrapped_functionINS0_4lessIvEEbEEEE10hipError_tPvRmT1_T2_T3_mmT4_T5_P12ihipStream_tbEUlRKsE_EESM_SQ_SR_mSS_SV_bEUlT_E_NS1_11comp_targetILNS1_3genE2ELNS1_11target_archE906ELNS1_3gpuE6ELNS1_3repE0EEENS1_30default_config_static_selectorELNS0_4arch9wavefront6targetE0EEEvSP_
		.amdhsa_group_segment_fixed_size 0
		.amdhsa_private_segment_fixed_size 0
		.amdhsa_kernarg_size 56
		.amdhsa_user_sgpr_count 15
		.amdhsa_user_sgpr_dispatch_ptr 0
		.amdhsa_user_sgpr_queue_ptr 0
		.amdhsa_user_sgpr_kernarg_segment_ptr 1
		.amdhsa_user_sgpr_dispatch_id 0
		.amdhsa_user_sgpr_private_segment_size 0
		.amdhsa_wavefront_size32 1
		.amdhsa_uses_dynamic_stack 0
		.amdhsa_enable_private_segment 0
		.amdhsa_system_sgpr_workgroup_id_x 1
		.amdhsa_system_sgpr_workgroup_id_y 0
		.amdhsa_system_sgpr_workgroup_id_z 0
		.amdhsa_system_sgpr_workgroup_info 0
		.amdhsa_system_vgpr_workitem_id 0
		.amdhsa_next_free_vgpr 1
		.amdhsa_next_free_sgpr 1
		.amdhsa_reserve_vcc 0
		.amdhsa_float_round_mode_32 0
		.amdhsa_float_round_mode_16_64 0
		.amdhsa_float_denorm_mode_32 3
		.amdhsa_float_denorm_mode_16_64 3
		.amdhsa_dx10_clamp 1
		.amdhsa_ieee_mode 1
		.amdhsa_fp16_overflow 0
		.amdhsa_workgroup_processor_mode 1
		.amdhsa_memory_ordered 1
		.amdhsa_forward_progress 0
		.amdhsa_shared_vgpr_count 0
		.amdhsa_exception_fp_ieee_invalid_op 0
		.amdhsa_exception_fp_denorm_src 0
		.amdhsa_exception_fp_ieee_div_zero 0
		.amdhsa_exception_fp_ieee_overflow 0
		.amdhsa_exception_fp_ieee_underflow 0
		.amdhsa_exception_fp_ieee_inexact 0
		.amdhsa_exception_int_div_zero 0
	.end_amdhsa_kernel
	.section	.text._ZN7rocprim17ROCPRIM_400000_NS6detail17trampoline_kernelINS0_14default_configENS1_27lower_bound_config_selectorIsiEEZNS1_14transform_implILb0ES3_S5_N6thrust23THRUST_200600_302600_NS6detail15normal_iteratorINS8_10device_ptrIsEEEENSA_INSB_IiEEEEZNS1_13binary_searchIS3_S5_SD_SD_SF_NS1_21lower_bound_search_opENS9_16wrapped_functionINS0_4lessIvEEbEEEE10hipError_tPvRmT1_T2_T3_mmT4_T5_P12ihipStream_tbEUlRKsE_EESM_SQ_SR_mSS_SV_bEUlT_E_NS1_11comp_targetILNS1_3genE2ELNS1_11target_archE906ELNS1_3gpuE6ELNS1_3repE0EEENS1_30default_config_static_selectorELNS0_4arch9wavefront6targetE0EEEvSP_,"axG",@progbits,_ZN7rocprim17ROCPRIM_400000_NS6detail17trampoline_kernelINS0_14default_configENS1_27lower_bound_config_selectorIsiEEZNS1_14transform_implILb0ES3_S5_N6thrust23THRUST_200600_302600_NS6detail15normal_iteratorINS8_10device_ptrIsEEEENSA_INSB_IiEEEEZNS1_13binary_searchIS3_S5_SD_SD_SF_NS1_21lower_bound_search_opENS9_16wrapped_functionINS0_4lessIvEEbEEEE10hipError_tPvRmT1_T2_T3_mmT4_T5_P12ihipStream_tbEUlRKsE_EESM_SQ_SR_mSS_SV_bEUlT_E_NS1_11comp_targetILNS1_3genE2ELNS1_11target_archE906ELNS1_3gpuE6ELNS1_3repE0EEENS1_30default_config_static_selectorELNS0_4arch9wavefront6targetE0EEEvSP_,comdat
.Lfunc_end325:
	.size	_ZN7rocprim17ROCPRIM_400000_NS6detail17trampoline_kernelINS0_14default_configENS1_27lower_bound_config_selectorIsiEEZNS1_14transform_implILb0ES3_S5_N6thrust23THRUST_200600_302600_NS6detail15normal_iteratorINS8_10device_ptrIsEEEENSA_INSB_IiEEEEZNS1_13binary_searchIS3_S5_SD_SD_SF_NS1_21lower_bound_search_opENS9_16wrapped_functionINS0_4lessIvEEbEEEE10hipError_tPvRmT1_T2_T3_mmT4_T5_P12ihipStream_tbEUlRKsE_EESM_SQ_SR_mSS_SV_bEUlT_E_NS1_11comp_targetILNS1_3genE2ELNS1_11target_archE906ELNS1_3gpuE6ELNS1_3repE0EEENS1_30default_config_static_selectorELNS0_4arch9wavefront6targetE0EEEvSP_, .Lfunc_end325-_ZN7rocprim17ROCPRIM_400000_NS6detail17trampoline_kernelINS0_14default_configENS1_27lower_bound_config_selectorIsiEEZNS1_14transform_implILb0ES3_S5_N6thrust23THRUST_200600_302600_NS6detail15normal_iteratorINS8_10device_ptrIsEEEENSA_INSB_IiEEEEZNS1_13binary_searchIS3_S5_SD_SD_SF_NS1_21lower_bound_search_opENS9_16wrapped_functionINS0_4lessIvEEbEEEE10hipError_tPvRmT1_T2_T3_mmT4_T5_P12ihipStream_tbEUlRKsE_EESM_SQ_SR_mSS_SV_bEUlT_E_NS1_11comp_targetILNS1_3genE2ELNS1_11target_archE906ELNS1_3gpuE6ELNS1_3repE0EEENS1_30default_config_static_selectorELNS0_4arch9wavefront6targetE0EEEvSP_
                                        ; -- End function
	.section	.AMDGPU.csdata,"",@progbits
; Kernel info:
; codeLenInByte = 0
; NumSgprs: 0
; NumVgprs: 0
; ScratchSize: 0
; MemoryBound: 0
; FloatMode: 240
; IeeeMode: 1
; LDSByteSize: 0 bytes/workgroup (compile time only)
; SGPRBlocks: 0
; VGPRBlocks: 0
; NumSGPRsForWavesPerEU: 1
; NumVGPRsForWavesPerEU: 1
; Occupancy: 16
; WaveLimiterHint : 0
; COMPUTE_PGM_RSRC2:SCRATCH_EN: 0
; COMPUTE_PGM_RSRC2:USER_SGPR: 15
; COMPUTE_PGM_RSRC2:TRAP_HANDLER: 0
; COMPUTE_PGM_RSRC2:TGID_X_EN: 1
; COMPUTE_PGM_RSRC2:TGID_Y_EN: 0
; COMPUTE_PGM_RSRC2:TGID_Z_EN: 0
; COMPUTE_PGM_RSRC2:TIDIG_COMP_CNT: 0
	.section	.text._ZN7rocprim17ROCPRIM_400000_NS6detail17trampoline_kernelINS0_14default_configENS1_27lower_bound_config_selectorIsiEEZNS1_14transform_implILb0ES3_S5_N6thrust23THRUST_200600_302600_NS6detail15normal_iteratorINS8_10device_ptrIsEEEENSA_INSB_IiEEEEZNS1_13binary_searchIS3_S5_SD_SD_SF_NS1_21lower_bound_search_opENS9_16wrapped_functionINS0_4lessIvEEbEEEE10hipError_tPvRmT1_T2_T3_mmT4_T5_P12ihipStream_tbEUlRKsE_EESM_SQ_SR_mSS_SV_bEUlT_E_NS1_11comp_targetILNS1_3genE10ELNS1_11target_archE1201ELNS1_3gpuE5ELNS1_3repE0EEENS1_30default_config_static_selectorELNS0_4arch9wavefront6targetE0EEEvSP_,"axG",@progbits,_ZN7rocprim17ROCPRIM_400000_NS6detail17trampoline_kernelINS0_14default_configENS1_27lower_bound_config_selectorIsiEEZNS1_14transform_implILb0ES3_S5_N6thrust23THRUST_200600_302600_NS6detail15normal_iteratorINS8_10device_ptrIsEEEENSA_INSB_IiEEEEZNS1_13binary_searchIS3_S5_SD_SD_SF_NS1_21lower_bound_search_opENS9_16wrapped_functionINS0_4lessIvEEbEEEE10hipError_tPvRmT1_T2_T3_mmT4_T5_P12ihipStream_tbEUlRKsE_EESM_SQ_SR_mSS_SV_bEUlT_E_NS1_11comp_targetILNS1_3genE10ELNS1_11target_archE1201ELNS1_3gpuE5ELNS1_3repE0EEENS1_30default_config_static_selectorELNS0_4arch9wavefront6targetE0EEEvSP_,comdat
	.protected	_ZN7rocprim17ROCPRIM_400000_NS6detail17trampoline_kernelINS0_14default_configENS1_27lower_bound_config_selectorIsiEEZNS1_14transform_implILb0ES3_S5_N6thrust23THRUST_200600_302600_NS6detail15normal_iteratorINS8_10device_ptrIsEEEENSA_INSB_IiEEEEZNS1_13binary_searchIS3_S5_SD_SD_SF_NS1_21lower_bound_search_opENS9_16wrapped_functionINS0_4lessIvEEbEEEE10hipError_tPvRmT1_T2_T3_mmT4_T5_P12ihipStream_tbEUlRKsE_EESM_SQ_SR_mSS_SV_bEUlT_E_NS1_11comp_targetILNS1_3genE10ELNS1_11target_archE1201ELNS1_3gpuE5ELNS1_3repE0EEENS1_30default_config_static_selectorELNS0_4arch9wavefront6targetE0EEEvSP_ ; -- Begin function _ZN7rocprim17ROCPRIM_400000_NS6detail17trampoline_kernelINS0_14default_configENS1_27lower_bound_config_selectorIsiEEZNS1_14transform_implILb0ES3_S5_N6thrust23THRUST_200600_302600_NS6detail15normal_iteratorINS8_10device_ptrIsEEEENSA_INSB_IiEEEEZNS1_13binary_searchIS3_S5_SD_SD_SF_NS1_21lower_bound_search_opENS9_16wrapped_functionINS0_4lessIvEEbEEEE10hipError_tPvRmT1_T2_T3_mmT4_T5_P12ihipStream_tbEUlRKsE_EESM_SQ_SR_mSS_SV_bEUlT_E_NS1_11comp_targetILNS1_3genE10ELNS1_11target_archE1201ELNS1_3gpuE5ELNS1_3repE0EEENS1_30default_config_static_selectorELNS0_4arch9wavefront6targetE0EEEvSP_
	.globl	_ZN7rocprim17ROCPRIM_400000_NS6detail17trampoline_kernelINS0_14default_configENS1_27lower_bound_config_selectorIsiEEZNS1_14transform_implILb0ES3_S5_N6thrust23THRUST_200600_302600_NS6detail15normal_iteratorINS8_10device_ptrIsEEEENSA_INSB_IiEEEEZNS1_13binary_searchIS3_S5_SD_SD_SF_NS1_21lower_bound_search_opENS9_16wrapped_functionINS0_4lessIvEEbEEEE10hipError_tPvRmT1_T2_T3_mmT4_T5_P12ihipStream_tbEUlRKsE_EESM_SQ_SR_mSS_SV_bEUlT_E_NS1_11comp_targetILNS1_3genE10ELNS1_11target_archE1201ELNS1_3gpuE5ELNS1_3repE0EEENS1_30default_config_static_selectorELNS0_4arch9wavefront6targetE0EEEvSP_
	.p2align	8
	.type	_ZN7rocprim17ROCPRIM_400000_NS6detail17trampoline_kernelINS0_14default_configENS1_27lower_bound_config_selectorIsiEEZNS1_14transform_implILb0ES3_S5_N6thrust23THRUST_200600_302600_NS6detail15normal_iteratorINS8_10device_ptrIsEEEENSA_INSB_IiEEEEZNS1_13binary_searchIS3_S5_SD_SD_SF_NS1_21lower_bound_search_opENS9_16wrapped_functionINS0_4lessIvEEbEEEE10hipError_tPvRmT1_T2_T3_mmT4_T5_P12ihipStream_tbEUlRKsE_EESM_SQ_SR_mSS_SV_bEUlT_E_NS1_11comp_targetILNS1_3genE10ELNS1_11target_archE1201ELNS1_3gpuE5ELNS1_3repE0EEENS1_30default_config_static_selectorELNS0_4arch9wavefront6targetE0EEEvSP_,@function
_ZN7rocprim17ROCPRIM_400000_NS6detail17trampoline_kernelINS0_14default_configENS1_27lower_bound_config_selectorIsiEEZNS1_14transform_implILb0ES3_S5_N6thrust23THRUST_200600_302600_NS6detail15normal_iteratorINS8_10device_ptrIsEEEENSA_INSB_IiEEEEZNS1_13binary_searchIS3_S5_SD_SD_SF_NS1_21lower_bound_search_opENS9_16wrapped_functionINS0_4lessIvEEbEEEE10hipError_tPvRmT1_T2_T3_mmT4_T5_P12ihipStream_tbEUlRKsE_EESM_SQ_SR_mSS_SV_bEUlT_E_NS1_11comp_targetILNS1_3genE10ELNS1_11target_archE1201ELNS1_3gpuE5ELNS1_3repE0EEENS1_30default_config_static_selectorELNS0_4arch9wavefront6targetE0EEEvSP_: ; @_ZN7rocprim17ROCPRIM_400000_NS6detail17trampoline_kernelINS0_14default_configENS1_27lower_bound_config_selectorIsiEEZNS1_14transform_implILb0ES3_S5_N6thrust23THRUST_200600_302600_NS6detail15normal_iteratorINS8_10device_ptrIsEEEENSA_INSB_IiEEEEZNS1_13binary_searchIS3_S5_SD_SD_SF_NS1_21lower_bound_search_opENS9_16wrapped_functionINS0_4lessIvEEbEEEE10hipError_tPvRmT1_T2_T3_mmT4_T5_P12ihipStream_tbEUlRKsE_EESM_SQ_SR_mSS_SV_bEUlT_E_NS1_11comp_targetILNS1_3genE10ELNS1_11target_archE1201ELNS1_3gpuE5ELNS1_3repE0EEENS1_30default_config_static_selectorELNS0_4arch9wavefront6targetE0EEEvSP_
; %bb.0:
	.section	.rodata,"a",@progbits
	.p2align	6, 0x0
	.amdhsa_kernel _ZN7rocprim17ROCPRIM_400000_NS6detail17trampoline_kernelINS0_14default_configENS1_27lower_bound_config_selectorIsiEEZNS1_14transform_implILb0ES3_S5_N6thrust23THRUST_200600_302600_NS6detail15normal_iteratorINS8_10device_ptrIsEEEENSA_INSB_IiEEEEZNS1_13binary_searchIS3_S5_SD_SD_SF_NS1_21lower_bound_search_opENS9_16wrapped_functionINS0_4lessIvEEbEEEE10hipError_tPvRmT1_T2_T3_mmT4_T5_P12ihipStream_tbEUlRKsE_EESM_SQ_SR_mSS_SV_bEUlT_E_NS1_11comp_targetILNS1_3genE10ELNS1_11target_archE1201ELNS1_3gpuE5ELNS1_3repE0EEENS1_30default_config_static_selectorELNS0_4arch9wavefront6targetE0EEEvSP_
		.amdhsa_group_segment_fixed_size 0
		.amdhsa_private_segment_fixed_size 0
		.amdhsa_kernarg_size 56
		.amdhsa_user_sgpr_count 15
		.amdhsa_user_sgpr_dispatch_ptr 0
		.amdhsa_user_sgpr_queue_ptr 0
		.amdhsa_user_sgpr_kernarg_segment_ptr 1
		.amdhsa_user_sgpr_dispatch_id 0
		.amdhsa_user_sgpr_private_segment_size 0
		.amdhsa_wavefront_size32 1
		.amdhsa_uses_dynamic_stack 0
		.amdhsa_enable_private_segment 0
		.amdhsa_system_sgpr_workgroup_id_x 1
		.amdhsa_system_sgpr_workgroup_id_y 0
		.amdhsa_system_sgpr_workgroup_id_z 0
		.amdhsa_system_sgpr_workgroup_info 0
		.amdhsa_system_vgpr_workitem_id 0
		.amdhsa_next_free_vgpr 1
		.amdhsa_next_free_sgpr 1
		.amdhsa_reserve_vcc 0
		.amdhsa_float_round_mode_32 0
		.amdhsa_float_round_mode_16_64 0
		.amdhsa_float_denorm_mode_32 3
		.amdhsa_float_denorm_mode_16_64 3
		.amdhsa_dx10_clamp 1
		.amdhsa_ieee_mode 1
		.amdhsa_fp16_overflow 0
		.amdhsa_workgroup_processor_mode 1
		.amdhsa_memory_ordered 1
		.amdhsa_forward_progress 0
		.amdhsa_shared_vgpr_count 0
		.amdhsa_exception_fp_ieee_invalid_op 0
		.amdhsa_exception_fp_denorm_src 0
		.amdhsa_exception_fp_ieee_div_zero 0
		.amdhsa_exception_fp_ieee_overflow 0
		.amdhsa_exception_fp_ieee_underflow 0
		.amdhsa_exception_fp_ieee_inexact 0
		.amdhsa_exception_int_div_zero 0
	.end_amdhsa_kernel
	.section	.text._ZN7rocprim17ROCPRIM_400000_NS6detail17trampoline_kernelINS0_14default_configENS1_27lower_bound_config_selectorIsiEEZNS1_14transform_implILb0ES3_S5_N6thrust23THRUST_200600_302600_NS6detail15normal_iteratorINS8_10device_ptrIsEEEENSA_INSB_IiEEEEZNS1_13binary_searchIS3_S5_SD_SD_SF_NS1_21lower_bound_search_opENS9_16wrapped_functionINS0_4lessIvEEbEEEE10hipError_tPvRmT1_T2_T3_mmT4_T5_P12ihipStream_tbEUlRKsE_EESM_SQ_SR_mSS_SV_bEUlT_E_NS1_11comp_targetILNS1_3genE10ELNS1_11target_archE1201ELNS1_3gpuE5ELNS1_3repE0EEENS1_30default_config_static_selectorELNS0_4arch9wavefront6targetE0EEEvSP_,"axG",@progbits,_ZN7rocprim17ROCPRIM_400000_NS6detail17trampoline_kernelINS0_14default_configENS1_27lower_bound_config_selectorIsiEEZNS1_14transform_implILb0ES3_S5_N6thrust23THRUST_200600_302600_NS6detail15normal_iteratorINS8_10device_ptrIsEEEENSA_INSB_IiEEEEZNS1_13binary_searchIS3_S5_SD_SD_SF_NS1_21lower_bound_search_opENS9_16wrapped_functionINS0_4lessIvEEbEEEE10hipError_tPvRmT1_T2_T3_mmT4_T5_P12ihipStream_tbEUlRKsE_EESM_SQ_SR_mSS_SV_bEUlT_E_NS1_11comp_targetILNS1_3genE10ELNS1_11target_archE1201ELNS1_3gpuE5ELNS1_3repE0EEENS1_30default_config_static_selectorELNS0_4arch9wavefront6targetE0EEEvSP_,comdat
.Lfunc_end326:
	.size	_ZN7rocprim17ROCPRIM_400000_NS6detail17trampoline_kernelINS0_14default_configENS1_27lower_bound_config_selectorIsiEEZNS1_14transform_implILb0ES3_S5_N6thrust23THRUST_200600_302600_NS6detail15normal_iteratorINS8_10device_ptrIsEEEENSA_INSB_IiEEEEZNS1_13binary_searchIS3_S5_SD_SD_SF_NS1_21lower_bound_search_opENS9_16wrapped_functionINS0_4lessIvEEbEEEE10hipError_tPvRmT1_T2_T3_mmT4_T5_P12ihipStream_tbEUlRKsE_EESM_SQ_SR_mSS_SV_bEUlT_E_NS1_11comp_targetILNS1_3genE10ELNS1_11target_archE1201ELNS1_3gpuE5ELNS1_3repE0EEENS1_30default_config_static_selectorELNS0_4arch9wavefront6targetE0EEEvSP_, .Lfunc_end326-_ZN7rocprim17ROCPRIM_400000_NS6detail17trampoline_kernelINS0_14default_configENS1_27lower_bound_config_selectorIsiEEZNS1_14transform_implILb0ES3_S5_N6thrust23THRUST_200600_302600_NS6detail15normal_iteratorINS8_10device_ptrIsEEEENSA_INSB_IiEEEEZNS1_13binary_searchIS3_S5_SD_SD_SF_NS1_21lower_bound_search_opENS9_16wrapped_functionINS0_4lessIvEEbEEEE10hipError_tPvRmT1_T2_T3_mmT4_T5_P12ihipStream_tbEUlRKsE_EESM_SQ_SR_mSS_SV_bEUlT_E_NS1_11comp_targetILNS1_3genE10ELNS1_11target_archE1201ELNS1_3gpuE5ELNS1_3repE0EEENS1_30default_config_static_selectorELNS0_4arch9wavefront6targetE0EEEvSP_
                                        ; -- End function
	.section	.AMDGPU.csdata,"",@progbits
; Kernel info:
; codeLenInByte = 0
; NumSgprs: 0
; NumVgprs: 0
; ScratchSize: 0
; MemoryBound: 0
; FloatMode: 240
; IeeeMode: 1
; LDSByteSize: 0 bytes/workgroup (compile time only)
; SGPRBlocks: 0
; VGPRBlocks: 0
; NumSGPRsForWavesPerEU: 1
; NumVGPRsForWavesPerEU: 1
; Occupancy: 16
; WaveLimiterHint : 0
; COMPUTE_PGM_RSRC2:SCRATCH_EN: 0
; COMPUTE_PGM_RSRC2:USER_SGPR: 15
; COMPUTE_PGM_RSRC2:TRAP_HANDLER: 0
; COMPUTE_PGM_RSRC2:TGID_X_EN: 1
; COMPUTE_PGM_RSRC2:TGID_Y_EN: 0
; COMPUTE_PGM_RSRC2:TGID_Z_EN: 0
; COMPUTE_PGM_RSRC2:TIDIG_COMP_CNT: 0
	.section	.text._ZN7rocprim17ROCPRIM_400000_NS6detail17trampoline_kernelINS0_14default_configENS1_27lower_bound_config_selectorIsiEEZNS1_14transform_implILb0ES3_S5_N6thrust23THRUST_200600_302600_NS6detail15normal_iteratorINS8_10device_ptrIsEEEENSA_INSB_IiEEEEZNS1_13binary_searchIS3_S5_SD_SD_SF_NS1_21lower_bound_search_opENS9_16wrapped_functionINS0_4lessIvEEbEEEE10hipError_tPvRmT1_T2_T3_mmT4_T5_P12ihipStream_tbEUlRKsE_EESM_SQ_SR_mSS_SV_bEUlT_E_NS1_11comp_targetILNS1_3genE10ELNS1_11target_archE1200ELNS1_3gpuE4ELNS1_3repE0EEENS1_30default_config_static_selectorELNS0_4arch9wavefront6targetE0EEEvSP_,"axG",@progbits,_ZN7rocprim17ROCPRIM_400000_NS6detail17trampoline_kernelINS0_14default_configENS1_27lower_bound_config_selectorIsiEEZNS1_14transform_implILb0ES3_S5_N6thrust23THRUST_200600_302600_NS6detail15normal_iteratorINS8_10device_ptrIsEEEENSA_INSB_IiEEEEZNS1_13binary_searchIS3_S5_SD_SD_SF_NS1_21lower_bound_search_opENS9_16wrapped_functionINS0_4lessIvEEbEEEE10hipError_tPvRmT1_T2_T3_mmT4_T5_P12ihipStream_tbEUlRKsE_EESM_SQ_SR_mSS_SV_bEUlT_E_NS1_11comp_targetILNS1_3genE10ELNS1_11target_archE1200ELNS1_3gpuE4ELNS1_3repE0EEENS1_30default_config_static_selectorELNS0_4arch9wavefront6targetE0EEEvSP_,comdat
	.protected	_ZN7rocprim17ROCPRIM_400000_NS6detail17trampoline_kernelINS0_14default_configENS1_27lower_bound_config_selectorIsiEEZNS1_14transform_implILb0ES3_S5_N6thrust23THRUST_200600_302600_NS6detail15normal_iteratorINS8_10device_ptrIsEEEENSA_INSB_IiEEEEZNS1_13binary_searchIS3_S5_SD_SD_SF_NS1_21lower_bound_search_opENS9_16wrapped_functionINS0_4lessIvEEbEEEE10hipError_tPvRmT1_T2_T3_mmT4_T5_P12ihipStream_tbEUlRKsE_EESM_SQ_SR_mSS_SV_bEUlT_E_NS1_11comp_targetILNS1_3genE10ELNS1_11target_archE1200ELNS1_3gpuE4ELNS1_3repE0EEENS1_30default_config_static_selectorELNS0_4arch9wavefront6targetE0EEEvSP_ ; -- Begin function _ZN7rocprim17ROCPRIM_400000_NS6detail17trampoline_kernelINS0_14default_configENS1_27lower_bound_config_selectorIsiEEZNS1_14transform_implILb0ES3_S5_N6thrust23THRUST_200600_302600_NS6detail15normal_iteratorINS8_10device_ptrIsEEEENSA_INSB_IiEEEEZNS1_13binary_searchIS3_S5_SD_SD_SF_NS1_21lower_bound_search_opENS9_16wrapped_functionINS0_4lessIvEEbEEEE10hipError_tPvRmT1_T2_T3_mmT4_T5_P12ihipStream_tbEUlRKsE_EESM_SQ_SR_mSS_SV_bEUlT_E_NS1_11comp_targetILNS1_3genE10ELNS1_11target_archE1200ELNS1_3gpuE4ELNS1_3repE0EEENS1_30default_config_static_selectorELNS0_4arch9wavefront6targetE0EEEvSP_
	.globl	_ZN7rocprim17ROCPRIM_400000_NS6detail17trampoline_kernelINS0_14default_configENS1_27lower_bound_config_selectorIsiEEZNS1_14transform_implILb0ES3_S5_N6thrust23THRUST_200600_302600_NS6detail15normal_iteratorINS8_10device_ptrIsEEEENSA_INSB_IiEEEEZNS1_13binary_searchIS3_S5_SD_SD_SF_NS1_21lower_bound_search_opENS9_16wrapped_functionINS0_4lessIvEEbEEEE10hipError_tPvRmT1_T2_T3_mmT4_T5_P12ihipStream_tbEUlRKsE_EESM_SQ_SR_mSS_SV_bEUlT_E_NS1_11comp_targetILNS1_3genE10ELNS1_11target_archE1200ELNS1_3gpuE4ELNS1_3repE0EEENS1_30default_config_static_selectorELNS0_4arch9wavefront6targetE0EEEvSP_
	.p2align	8
	.type	_ZN7rocprim17ROCPRIM_400000_NS6detail17trampoline_kernelINS0_14default_configENS1_27lower_bound_config_selectorIsiEEZNS1_14transform_implILb0ES3_S5_N6thrust23THRUST_200600_302600_NS6detail15normal_iteratorINS8_10device_ptrIsEEEENSA_INSB_IiEEEEZNS1_13binary_searchIS3_S5_SD_SD_SF_NS1_21lower_bound_search_opENS9_16wrapped_functionINS0_4lessIvEEbEEEE10hipError_tPvRmT1_T2_T3_mmT4_T5_P12ihipStream_tbEUlRKsE_EESM_SQ_SR_mSS_SV_bEUlT_E_NS1_11comp_targetILNS1_3genE10ELNS1_11target_archE1200ELNS1_3gpuE4ELNS1_3repE0EEENS1_30default_config_static_selectorELNS0_4arch9wavefront6targetE0EEEvSP_,@function
_ZN7rocprim17ROCPRIM_400000_NS6detail17trampoline_kernelINS0_14default_configENS1_27lower_bound_config_selectorIsiEEZNS1_14transform_implILb0ES3_S5_N6thrust23THRUST_200600_302600_NS6detail15normal_iteratorINS8_10device_ptrIsEEEENSA_INSB_IiEEEEZNS1_13binary_searchIS3_S5_SD_SD_SF_NS1_21lower_bound_search_opENS9_16wrapped_functionINS0_4lessIvEEbEEEE10hipError_tPvRmT1_T2_T3_mmT4_T5_P12ihipStream_tbEUlRKsE_EESM_SQ_SR_mSS_SV_bEUlT_E_NS1_11comp_targetILNS1_3genE10ELNS1_11target_archE1200ELNS1_3gpuE4ELNS1_3repE0EEENS1_30default_config_static_selectorELNS0_4arch9wavefront6targetE0EEEvSP_: ; @_ZN7rocprim17ROCPRIM_400000_NS6detail17trampoline_kernelINS0_14default_configENS1_27lower_bound_config_selectorIsiEEZNS1_14transform_implILb0ES3_S5_N6thrust23THRUST_200600_302600_NS6detail15normal_iteratorINS8_10device_ptrIsEEEENSA_INSB_IiEEEEZNS1_13binary_searchIS3_S5_SD_SD_SF_NS1_21lower_bound_search_opENS9_16wrapped_functionINS0_4lessIvEEbEEEE10hipError_tPvRmT1_T2_T3_mmT4_T5_P12ihipStream_tbEUlRKsE_EESM_SQ_SR_mSS_SV_bEUlT_E_NS1_11comp_targetILNS1_3genE10ELNS1_11target_archE1200ELNS1_3gpuE4ELNS1_3repE0EEENS1_30default_config_static_selectorELNS0_4arch9wavefront6targetE0EEEvSP_
; %bb.0:
	.section	.rodata,"a",@progbits
	.p2align	6, 0x0
	.amdhsa_kernel _ZN7rocprim17ROCPRIM_400000_NS6detail17trampoline_kernelINS0_14default_configENS1_27lower_bound_config_selectorIsiEEZNS1_14transform_implILb0ES3_S5_N6thrust23THRUST_200600_302600_NS6detail15normal_iteratorINS8_10device_ptrIsEEEENSA_INSB_IiEEEEZNS1_13binary_searchIS3_S5_SD_SD_SF_NS1_21lower_bound_search_opENS9_16wrapped_functionINS0_4lessIvEEbEEEE10hipError_tPvRmT1_T2_T3_mmT4_T5_P12ihipStream_tbEUlRKsE_EESM_SQ_SR_mSS_SV_bEUlT_E_NS1_11comp_targetILNS1_3genE10ELNS1_11target_archE1200ELNS1_3gpuE4ELNS1_3repE0EEENS1_30default_config_static_selectorELNS0_4arch9wavefront6targetE0EEEvSP_
		.amdhsa_group_segment_fixed_size 0
		.amdhsa_private_segment_fixed_size 0
		.amdhsa_kernarg_size 56
		.amdhsa_user_sgpr_count 15
		.amdhsa_user_sgpr_dispatch_ptr 0
		.amdhsa_user_sgpr_queue_ptr 0
		.amdhsa_user_sgpr_kernarg_segment_ptr 1
		.amdhsa_user_sgpr_dispatch_id 0
		.amdhsa_user_sgpr_private_segment_size 0
		.amdhsa_wavefront_size32 1
		.amdhsa_uses_dynamic_stack 0
		.amdhsa_enable_private_segment 0
		.amdhsa_system_sgpr_workgroup_id_x 1
		.amdhsa_system_sgpr_workgroup_id_y 0
		.amdhsa_system_sgpr_workgroup_id_z 0
		.amdhsa_system_sgpr_workgroup_info 0
		.amdhsa_system_vgpr_workitem_id 0
		.amdhsa_next_free_vgpr 1
		.amdhsa_next_free_sgpr 1
		.amdhsa_reserve_vcc 0
		.amdhsa_float_round_mode_32 0
		.amdhsa_float_round_mode_16_64 0
		.amdhsa_float_denorm_mode_32 3
		.amdhsa_float_denorm_mode_16_64 3
		.amdhsa_dx10_clamp 1
		.amdhsa_ieee_mode 1
		.amdhsa_fp16_overflow 0
		.amdhsa_workgroup_processor_mode 1
		.amdhsa_memory_ordered 1
		.amdhsa_forward_progress 0
		.amdhsa_shared_vgpr_count 0
		.amdhsa_exception_fp_ieee_invalid_op 0
		.amdhsa_exception_fp_denorm_src 0
		.amdhsa_exception_fp_ieee_div_zero 0
		.amdhsa_exception_fp_ieee_overflow 0
		.amdhsa_exception_fp_ieee_underflow 0
		.amdhsa_exception_fp_ieee_inexact 0
		.amdhsa_exception_int_div_zero 0
	.end_amdhsa_kernel
	.section	.text._ZN7rocprim17ROCPRIM_400000_NS6detail17trampoline_kernelINS0_14default_configENS1_27lower_bound_config_selectorIsiEEZNS1_14transform_implILb0ES3_S5_N6thrust23THRUST_200600_302600_NS6detail15normal_iteratorINS8_10device_ptrIsEEEENSA_INSB_IiEEEEZNS1_13binary_searchIS3_S5_SD_SD_SF_NS1_21lower_bound_search_opENS9_16wrapped_functionINS0_4lessIvEEbEEEE10hipError_tPvRmT1_T2_T3_mmT4_T5_P12ihipStream_tbEUlRKsE_EESM_SQ_SR_mSS_SV_bEUlT_E_NS1_11comp_targetILNS1_3genE10ELNS1_11target_archE1200ELNS1_3gpuE4ELNS1_3repE0EEENS1_30default_config_static_selectorELNS0_4arch9wavefront6targetE0EEEvSP_,"axG",@progbits,_ZN7rocprim17ROCPRIM_400000_NS6detail17trampoline_kernelINS0_14default_configENS1_27lower_bound_config_selectorIsiEEZNS1_14transform_implILb0ES3_S5_N6thrust23THRUST_200600_302600_NS6detail15normal_iteratorINS8_10device_ptrIsEEEENSA_INSB_IiEEEEZNS1_13binary_searchIS3_S5_SD_SD_SF_NS1_21lower_bound_search_opENS9_16wrapped_functionINS0_4lessIvEEbEEEE10hipError_tPvRmT1_T2_T3_mmT4_T5_P12ihipStream_tbEUlRKsE_EESM_SQ_SR_mSS_SV_bEUlT_E_NS1_11comp_targetILNS1_3genE10ELNS1_11target_archE1200ELNS1_3gpuE4ELNS1_3repE0EEENS1_30default_config_static_selectorELNS0_4arch9wavefront6targetE0EEEvSP_,comdat
.Lfunc_end327:
	.size	_ZN7rocprim17ROCPRIM_400000_NS6detail17trampoline_kernelINS0_14default_configENS1_27lower_bound_config_selectorIsiEEZNS1_14transform_implILb0ES3_S5_N6thrust23THRUST_200600_302600_NS6detail15normal_iteratorINS8_10device_ptrIsEEEENSA_INSB_IiEEEEZNS1_13binary_searchIS3_S5_SD_SD_SF_NS1_21lower_bound_search_opENS9_16wrapped_functionINS0_4lessIvEEbEEEE10hipError_tPvRmT1_T2_T3_mmT4_T5_P12ihipStream_tbEUlRKsE_EESM_SQ_SR_mSS_SV_bEUlT_E_NS1_11comp_targetILNS1_3genE10ELNS1_11target_archE1200ELNS1_3gpuE4ELNS1_3repE0EEENS1_30default_config_static_selectorELNS0_4arch9wavefront6targetE0EEEvSP_, .Lfunc_end327-_ZN7rocprim17ROCPRIM_400000_NS6detail17trampoline_kernelINS0_14default_configENS1_27lower_bound_config_selectorIsiEEZNS1_14transform_implILb0ES3_S5_N6thrust23THRUST_200600_302600_NS6detail15normal_iteratorINS8_10device_ptrIsEEEENSA_INSB_IiEEEEZNS1_13binary_searchIS3_S5_SD_SD_SF_NS1_21lower_bound_search_opENS9_16wrapped_functionINS0_4lessIvEEbEEEE10hipError_tPvRmT1_T2_T3_mmT4_T5_P12ihipStream_tbEUlRKsE_EESM_SQ_SR_mSS_SV_bEUlT_E_NS1_11comp_targetILNS1_3genE10ELNS1_11target_archE1200ELNS1_3gpuE4ELNS1_3repE0EEENS1_30default_config_static_selectorELNS0_4arch9wavefront6targetE0EEEvSP_
                                        ; -- End function
	.section	.AMDGPU.csdata,"",@progbits
; Kernel info:
; codeLenInByte = 0
; NumSgprs: 0
; NumVgprs: 0
; ScratchSize: 0
; MemoryBound: 0
; FloatMode: 240
; IeeeMode: 1
; LDSByteSize: 0 bytes/workgroup (compile time only)
; SGPRBlocks: 0
; VGPRBlocks: 0
; NumSGPRsForWavesPerEU: 1
; NumVGPRsForWavesPerEU: 1
; Occupancy: 16
; WaveLimiterHint : 0
; COMPUTE_PGM_RSRC2:SCRATCH_EN: 0
; COMPUTE_PGM_RSRC2:USER_SGPR: 15
; COMPUTE_PGM_RSRC2:TRAP_HANDLER: 0
; COMPUTE_PGM_RSRC2:TGID_X_EN: 1
; COMPUTE_PGM_RSRC2:TGID_Y_EN: 0
; COMPUTE_PGM_RSRC2:TGID_Z_EN: 0
; COMPUTE_PGM_RSRC2:TIDIG_COMP_CNT: 0
	.section	.text._ZN7rocprim17ROCPRIM_400000_NS6detail17trampoline_kernelINS0_14default_configENS1_27lower_bound_config_selectorIsiEEZNS1_14transform_implILb0ES3_S5_N6thrust23THRUST_200600_302600_NS6detail15normal_iteratorINS8_10device_ptrIsEEEENSA_INSB_IiEEEEZNS1_13binary_searchIS3_S5_SD_SD_SF_NS1_21lower_bound_search_opENS9_16wrapped_functionINS0_4lessIvEEbEEEE10hipError_tPvRmT1_T2_T3_mmT4_T5_P12ihipStream_tbEUlRKsE_EESM_SQ_SR_mSS_SV_bEUlT_E_NS1_11comp_targetILNS1_3genE9ELNS1_11target_archE1100ELNS1_3gpuE3ELNS1_3repE0EEENS1_30default_config_static_selectorELNS0_4arch9wavefront6targetE0EEEvSP_,"axG",@progbits,_ZN7rocprim17ROCPRIM_400000_NS6detail17trampoline_kernelINS0_14default_configENS1_27lower_bound_config_selectorIsiEEZNS1_14transform_implILb0ES3_S5_N6thrust23THRUST_200600_302600_NS6detail15normal_iteratorINS8_10device_ptrIsEEEENSA_INSB_IiEEEEZNS1_13binary_searchIS3_S5_SD_SD_SF_NS1_21lower_bound_search_opENS9_16wrapped_functionINS0_4lessIvEEbEEEE10hipError_tPvRmT1_T2_T3_mmT4_T5_P12ihipStream_tbEUlRKsE_EESM_SQ_SR_mSS_SV_bEUlT_E_NS1_11comp_targetILNS1_3genE9ELNS1_11target_archE1100ELNS1_3gpuE3ELNS1_3repE0EEENS1_30default_config_static_selectorELNS0_4arch9wavefront6targetE0EEEvSP_,comdat
	.protected	_ZN7rocprim17ROCPRIM_400000_NS6detail17trampoline_kernelINS0_14default_configENS1_27lower_bound_config_selectorIsiEEZNS1_14transform_implILb0ES3_S5_N6thrust23THRUST_200600_302600_NS6detail15normal_iteratorINS8_10device_ptrIsEEEENSA_INSB_IiEEEEZNS1_13binary_searchIS3_S5_SD_SD_SF_NS1_21lower_bound_search_opENS9_16wrapped_functionINS0_4lessIvEEbEEEE10hipError_tPvRmT1_T2_T3_mmT4_T5_P12ihipStream_tbEUlRKsE_EESM_SQ_SR_mSS_SV_bEUlT_E_NS1_11comp_targetILNS1_3genE9ELNS1_11target_archE1100ELNS1_3gpuE3ELNS1_3repE0EEENS1_30default_config_static_selectorELNS0_4arch9wavefront6targetE0EEEvSP_ ; -- Begin function _ZN7rocprim17ROCPRIM_400000_NS6detail17trampoline_kernelINS0_14default_configENS1_27lower_bound_config_selectorIsiEEZNS1_14transform_implILb0ES3_S5_N6thrust23THRUST_200600_302600_NS6detail15normal_iteratorINS8_10device_ptrIsEEEENSA_INSB_IiEEEEZNS1_13binary_searchIS3_S5_SD_SD_SF_NS1_21lower_bound_search_opENS9_16wrapped_functionINS0_4lessIvEEbEEEE10hipError_tPvRmT1_T2_T3_mmT4_T5_P12ihipStream_tbEUlRKsE_EESM_SQ_SR_mSS_SV_bEUlT_E_NS1_11comp_targetILNS1_3genE9ELNS1_11target_archE1100ELNS1_3gpuE3ELNS1_3repE0EEENS1_30default_config_static_selectorELNS0_4arch9wavefront6targetE0EEEvSP_
	.globl	_ZN7rocprim17ROCPRIM_400000_NS6detail17trampoline_kernelINS0_14default_configENS1_27lower_bound_config_selectorIsiEEZNS1_14transform_implILb0ES3_S5_N6thrust23THRUST_200600_302600_NS6detail15normal_iteratorINS8_10device_ptrIsEEEENSA_INSB_IiEEEEZNS1_13binary_searchIS3_S5_SD_SD_SF_NS1_21lower_bound_search_opENS9_16wrapped_functionINS0_4lessIvEEbEEEE10hipError_tPvRmT1_T2_T3_mmT4_T5_P12ihipStream_tbEUlRKsE_EESM_SQ_SR_mSS_SV_bEUlT_E_NS1_11comp_targetILNS1_3genE9ELNS1_11target_archE1100ELNS1_3gpuE3ELNS1_3repE0EEENS1_30default_config_static_selectorELNS0_4arch9wavefront6targetE0EEEvSP_
	.p2align	8
	.type	_ZN7rocprim17ROCPRIM_400000_NS6detail17trampoline_kernelINS0_14default_configENS1_27lower_bound_config_selectorIsiEEZNS1_14transform_implILb0ES3_S5_N6thrust23THRUST_200600_302600_NS6detail15normal_iteratorINS8_10device_ptrIsEEEENSA_INSB_IiEEEEZNS1_13binary_searchIS3_S5_SD_SD_SF_NS1_21lower_bound_search_opENS9_16wrapped_functionINS0_4lessIvEEbEEEE10hipError_tPvRmT1_T2_T3_mmT4_T5_P12ihipStream_tbEUlRKsE_EESM_SQ_SR_mSS_SV_bEUlT_E_NS1_11comp_targetILNS1_3genE9ELNS1_11target_archE1100ELNS1_3gpuE3ELNS1_3repE0EEENS1_30default_config_static_selectorELNS0_4arch9wavefront6targetE0EEEvSP_,@function
_ZN7rocprim17ROCPRIM_400000_NS6detail17trampoline_kernelINS0_14default_configENS1_27lower_bound_config_selectorIsiEEZNS1_14transform_implILb0ES3_S5_N6thrust23THRUST_200600_302600_NS6detail15normal_iteratorINS8_10device_ptrIsEEEENSA_INSB_IiEEEEZNS1_13binary_searchIS3_S5_SD_SD_SF_NS1_21lower_bound_search_opENS9_16wrapped_functionINS0_4lessIvEEbEEEE10hipError_tPvRmT1_T2_T3_mmT4_T5_P12ihipStream_tbEUlRKsE_EESM_SQ_SR_mSS_SV_bEUlT_E_NS1_11comp_targetILNS1_3genE9ELNS1_11target_archE1100ELNS1_3gpuE3ELNS1_3repE0EEENS1_30default_config_static_selectorELNS0_4arch9wavefront6targetE0EEEvSP_: ; @_ZN7rocprim17ROCPRIM_400000_NS6detail17trampoline_kernelINS0_14default_configENS1_27lower_bound_config_selectorIsiEEZNS1_14transform_implILb0ES3_S5_N6thrust23THRUST_200600_302600_NS6detail15normal_iteratorINS8_10device_ptrIsEEEENSA_INSB_IiEEEEZNS1_13binary_searchIS3_S5_SD_SD_SF_NS1_21lower_bound_search_opENS9_16wrapped_functionINS0_4lessIvEEbEEEE10hipError_tPvRmT1_T2_T3_mmT4_T5_P12ihipStream_tbEUlRKsE_EESM_SQ_SR_mSS_SV_bEUlT_E_NS1_11comp_targetILNS1_3genE9ELNS1_11target_archE1100ELNS1_3gpuE3ELNS1_3repE0EEENS1_30default_config_static_selectorELNS0_4arch9wavefront6targetE0EEEvSP_
; %bb.0:
	s_clause 0x2
	s_load_b256 s[4:11], s[0:1], 0x0
	s_load_b32 s2, s[0:1], 0x38
	s_load_b128 s[16:19], s[0:1], 0x20
	s_waitcnt lgkmcnt(0)
	s_lshl_b64 s[0:1], s[6:7], 1
	s_delay_alu instid0(SALU_CYCLE_1) | instskip(SKIP_2) | instid1(SALU_CYCLE_1)
	s_add_u32 s3, s4, s0
	s_addc_u32 s4, s5, s1
	s_lshl_b64 s[0:1], s[6:7], 2
	s_add_u32 s7, s10, s0
	s_addc_u32 s9, s11, s1
	s_lshl_b32 s10, s15, 9
	s_mov_b32 s11, 0
	s_add_i32 s2, s2, -1
	s_lshl_b64 s[0:1], s[10:11], 1
	s_delay_alu instid0(SALU_CYCLE_1)
	s_add_u32 s12, s3, s0
	s_addc_u32 s13, s4, s1
	s_cmp_lg_u32 s15, s2
	s_mov_b32 s0, -1
	s_cbranch_scc0 .LBB328_26
; %bb.1:
	v_lshlrev_b32_e32 v1, 1, v0
	s_cmp_lg_u64 s[18:19], 0
	s_mov_b32 s1, 0
	s_delay_alu instid0(VALU_DEP_1) | instskip(NEXT) | instid1(VALU_DEP_1)
	v_add_co_u32 v1, s0, s12, v1
	v_add_co_ci_u32_e64 v2, null, s13, 0, s0
	s_cselect_b32 s0, -1, 0
	s_cmp_eq_u64 s[18:19], 0
	s_clause 0x6
	flat_load_u16 v6, v[1:2] offset:128
	flat_load_u16 v7, v[1:2] offset:256
	;; [unrolled: 1-line block ×7, first 2 shown]
	s_cbranch_scc1 .LBB328_27
; %bb.2:
	flat_load_u16 v5, v[1:2]
	v_mov_b32_e32 v1, 0
	v_dual_mov_b32 v2, 0 :: v_dual_mov_b32 v3, s18
	v_mov_b32_e32 v4, s19
	.p2align	6
.LBB328_3:                              ; =>This Inner Loop Header: Depth=1
	s_delay_alu instid0(VALU_DEP_2) | instskip(NEXT) | instid1(VALU_DEP_2)
	v_sub_co_u32 v14, vcc_lo, v3, v1
	v_sub_co_ci_u32_e32 v15, vcc_lo, v4, v2, vcc_lo
	s_delay_alu instid0(VALU_DEP_1) | instskip(SKIP_1) | instid1(VALU_DEP_2)
	v_lshrrev_b64 v[16:17], 1, v[14:15]
	v_lshrrev_b64 v[14:15], 6, v[14:15]
	v_add_co_u32 v12, vcc_lo, v16, v1
	s_delay_alu instid0(VALU_DEP_3) | instskip(NEXT) | instid1(VALU_DEP_2)
	v_add_co_ci_u32_e32 v16, vcc_lo, v17, v2, vcc_lo
	v_add_co_u32 v14, vcc_lo, v12, v14
	s_delay_alu instid0(VALU_DEP_2) | instskip(NEXT) | instid1(VALU_DEP_1)
	v_add_co_ci_u32_e32 v15, vcc_lo, v16, v15, vcc_lo
	v_lshlrev_b64 v[16:17], 1, v[14:15]
	s_delay_alu instid0(VALU_DEP_1) | instskip(NEXT) | instid1(VALU_DEP_2)
	v_add_co_u32 v16, vcc_lo, s16, v16
	v_add_co_ci_u32_e32 v17, vcc_lo, s17, v17, vcc_lo
	global_load_u16 v12, v[16:17], off
	v_add_co_u32 v16, vcc_lo, v14, 1
	v_add_co_ci_u32_e32 v17, vcc_lo, 0, v15, vcc_lo
	s_waitcnt vmcnt(0) lgkmcnt(0)
	v_cmp_lt_i16_e32 vcc_lo, v12, v5
	v_dual_cndmask_b32 v4, v15, v4 :: v_dual_cndmask_b32 v3, v14, v3
	s_delay_alu instid0(VALU_DEP_3) | instskip(NEXT) | instid1(VALU_DEP_1)
	v_dual_cndmask_b32 v2, v2, v17 :: v_dual_cndmask_b32 v1, v1, v16
	v_cmp_ge_u64_e32 vcc_lo, v[1:2], v[3:4]
	s_or_b32 s1, vcc_lo, s1
	s_delay_alu instid0(SALU_CYCLE_1)
	s_and_not1_b32 exec_lo, exec_lo, s1
	s_cbranch_execnz .LBB328_3
; %bb.4:
	s_or_b32 exec_lo, exec_lo, s1
	v_cndmask_b32_e64 v12, 0, 1, s0
	s_and_not1_b32 vcc_lo, exec_lo, s0
	s_cbranch_vccnz .LBB328_28
.LBB328_5:
	v_mov_b32_e32 v2, 0
	v_dual_mov_b32 v3, 0 :: v_dual_mov_b32 v4, s18
	v_mov_b32_e32 v5, s19
	s_mov_b32 s0, 0
	.p2align	6
.LBB328_6:                              ; =>This Inner Loop Header: Depth=1
	s_delay_alu instid0(VALU_DEP_2) | instskip(NEXT) | instid1(VALU_DEP_2)
	v_sub_co_u32 v14, vcc_lo, v4, v2
	v_sub_co_ci_u32_e32 v15, vcc_lo, v5, v3, vcc_lo
	s_delay_alu instid0(VALU_DEP_1) | instskip(SKIP_1) | instid1(VALU_DEP_2)
	v_lshrrev_b64 v[16:17], 1, v[14:15]
	v_lshrrev_b64 v[14:15], 6, v[14:15]
	v_add_co_u32 v16, vcc_lo, v16, v2
	s_delay_alu instid0(VALU_DEP_3) | instskip(NEXT) | instid1(VALU_DEP_2)
	v_add_co_ci_u32_e32 v17, vcc_lo, v17, v3, vcc_lo
	v_add_co_u32 v14, vcc_lo, v16, v14
	s_delay_alu instid0(VALU_DEP_2) | instskip(NEXT) | instid1(VALU_DEP_1)
	v_add_co_ci_u32_e32 v15, vcc_lo, v17, v15, vcc_lo
	v_lshlrev_b64 v[16:17], 1, v[14:15]
	s_delay_alu instid0(VALU_DEP_1) | instskip(NEXT) | instid1(VALU_DEP_2)
	v_add_co_u32 v16, vcc_lo, s16, v16
	v_add_co_ci_u32_e32 v17, vcc_lo, s17, v17, vcc_lo
	global_load_u16 v16, v[16:17], off
	v_add_co_u32 v17, vcc_lo, v14, 1
	v_add_co_ci_u32_e32 v18, vcc_lo, 0, v15, vcc_lo
	s_waitcnt vmcnt(0) lgkmcnt(6)
	v_cmp_lt_i16_e32 vcc_lo, v16, v6
	v_dual_cndmask_b32 v5, v15, v5 :: v_dual_cndmask_b32 v4, v14, v4
	s_delay_alu instid0(VALU_DEP_3) | instskip(NEXT) | instid1(VALU_DEP_1)
	v_dual_cndmask_b32 v3, v3, v18 :: v_dual_cndmask_b32 v2, v2, v17
	v_cmp_ge_u64_e32 vcc_lo, v[2:3], v[4:5]
	s_or_b32 s0, vcc_lo, s0
	s_delay_alu instid0(SALU_CYCLE_1)
	s_and_not1_b32 exec_lo, exec_lo, s0
	s_cbranch_execnz .LBB328_6
; %bb.7:
	s_or_b32 exec_lo, exec_lo, s0
	v_cmp_ne_u32_e32 vcc_lo, 1, v12
	s_cbranch_vccnz .LBB328_29
.LBB328_8:
	v_mov_b32_e32 v3, 0
	s_waitcnt vmcnt(6) lgkmcnt(6)
	v_dual_mov_b32 v4, 0 :: v_dual_mov_b32 v5, s18
	v_mov_b32_e32 v6, s19
	s_mov_b32 s0, 0
	.p2align	6
.LBB328_9:                              ; =>This Inner Loop Header: Depth=1
	s_delay_alu instid0(VALU_DEP_2) | instskip(NEXT) | instid1(VALU_DEP_2)
	v_sub_co_u32 v14, vcc_lo, v5, v3
	v_sub_co_ci_u32_e32 v15, vcc_lo, v6, v4, vcc_lo
	s_delay_alu instid0(VALU_DEP_1) | instskip(SKIP_1) | instid1(VALU_DEP_2)
	v_lshrrev_b64 v[16:17], 1, v[14:15]
	v_lshrrev_b64 v[14:15], 6, v[14:15]
	v_add_co_u32 v16, vcc_lo, v16, v3
	s_delay_alu instid0(VALU_DEP_3) | instskip(NEXT) | instid1(VALU_DEP_2)
	v_add_co_ci_u32_e32 v17, vcc_lo, v17, v4, vcc_lo
	v_add_co_u32 v14, vcc_lo, v16, v14
	s_delay_alu instid0(VALU_DEP_2) | instskip(NEXT) | instid1(VALU_DEP_1)
	v_add_co_ci_u32_e32 v15, vcc_lo, v17, v15, vcc_lo
	v_lshlrev_b64 v[16:17], 1, v[14:15]
	s_delay_alu instid0(VALU_DEP_1) | instskip(NEXT) | instid1(VALU_DEP_2)
	v_add_co_u32 v16, vcc_lo, s16, v16
	v_add_co_ci_u32_e32 v17, vcc_lo, s17, v17, vcc_lo
	global_load_u16 v16, v[16:17], off
	v_add_co_u32 v17, vcc_lo, v14, 1
	v_add_co_ci_u32_e32 v18, vcc_lo, 0, v15, vcc_lo
	s_waitcnt vmcnt(0) lgkmcnt(5)
	v_cmp_lt_i16_e32 vcc_lo, v16, v7
	v_dual_cndmask_b32 v6, v15, v6 :: v_dual_cndmask_b32 v5, v14, v5
	s_delay_alu instid0(VALU_DEP_3) | instskip(NEXT) | instid1(VALU_DEP_1)
	v_dual_cndmask_b32 v4, v4, v18 :: v_dual_cndmask_b32 v3, v3, v17
	v_cmp_ge_u64_e32 vcc_lo, v[3:4], v[5:6]
	s_or_b32 s0, vcc_lo, s0
	s_delay_alu instid0(SALU_CYCLE_1)
	s_and_not1_b32 exec_lo, exec_lo, s0
	s_cbranch_execnz .LBB328_9
; %bb.10:
	s_or_b32 exec_lo, exec_lo, s0
	v_cmp_ne_u32_e32 vcc_lo, 1, v12
	s_cbranch_vccnz .LBB328_30
.LBB328_11:
	v_mov_b32_e32 v4, 0
	s_waitcnt vmcnt(5) lgkmcnt(5)
	v_dual_mov_b32 v5, 0 :: v_dual_mov_b32 v6, s18
	v_mov_b32_e32 v7, s19
	s_mov_b32 s0, 0
	.p2align	6
.LBB328_12:                             ; =>This Inner Loop Header: Depth=1
	s_delay_alu instid0(VALU_DEP_2) | instskip(NEXT) | instid1(VALU_DEP_2)
	v_sub_co_u32 v14, vcc_lo, v6, v4
	v_sub_co_ci_u32_e32 v15, vcc_lo, v7, v5, vcc_lo
	s_delay_alu instid0(VALU_DEP_1) | instskip(SKIP_1) | instid1(VALU_DEP_2)
	v_lshrrev_b64 v[16:17], 1, v[14:15]
	v_lshrrev_b64 v[14:15], 6, v[14:15]
	v_add_co_u32 v16, vcc_lo, v16, v4
	s_delay_alu instid0(VALU_DEP_3) | instskip(NEXT) | instid1(VALU_DEP_2)
	v_add_co_ci_u32_e32 v17, vcc_lo, v17, v5, vcc_lo
	v_add_co_u32 v14, vcc_lo, v16, v14
	s_delay_alu instid0(VALU_DEP_2) | instskip(NEXT) | instid1(VALU_DEP_1)
	v_add_co_ci_u32_e32 v15, vcc_lo, v17, v15, vcc_lo
	v_lshlrev_b64 v[16:17], 1, v[14:15]
	s_delay_alu instid0(VALU_DEP_1) | instskip(NEXT) | instid1(VALU_DEP_2)
	v_add_co_u32 v16, vcc_lo, s16, v16
	v_add_co_ci_u32_e32 v17, vcc_lo, s17, v17, vcc_lo
	global_load_u16 v16, v[16:17], off
	v_add_co_u32 v17, vcc_lo, v14, 1
	v_add_co_ci_u32_e32 v18, vcc_lo, 0, v15, vcc_lo
	s_waitcnt vmcnt(0) lgkmcnt(4)
	v_cmp_lt_i16_e32 vcc_lo, v16, v8
	v_dual_cndmask_b32 v7, v15, v7 :: v_dual_cndmask_b32 v6, v14, v6
	s_delay_alu instid0(VALU_DEP_3) | instskip(NEXT) | instid1(VALU_DEP_1)
	v_dual_cndmask_b32 v5, v5, v18 :: v_dual_cndmask_b32 v4, v4, v17
	v_cmp_ge_u64_e32 vcc_lo, v[4:5], v[6:7]
	s_or_b32 s0, vcc_lo, s0
	s_delay_alu instid0(SALU_CYCLE_1)
	s_and_not1_b32 exec_lo, exec_lo, s0
	s_cbranch_execnz .LBB328_12
; %bb.13:
	s_or_b32 exec_lo, exec_lo, s0
	v_cmp_ne_u32_e32 vcc_lo, 1, v12
	s_cbranch_vccnz .LBB328_31
.LBB328_14:
	s_waitcnt vmcnt(6) lgkmcnt(6)
	v_mov_b32_e32 v5, 0
	s_waitcnt vmcnt(4) lgkmcnt(4)
	v_dual_mov_b32 v6, 0 :: v_dual_mov_b32 v7, s18
	v_mov_b32_e32 v8, s19
	s_mov_b32 s0, 0
	.p2align	6
.LBB328_15:                             ; =>This Inner Loop Header: Depth=1
	s_delay_alu instid0(VALU_DEP_2) | instskip(NEXT) | instid1(VALU_DEP_2)
	v_sub_co_u32 v14, vcc_lo, v7, v5
	v_sub_co_ci_u32_e32 v15, vcc_lo, v8, v6, vcc_lo
	s_delay_alu instid0(VALU_DEP_1) | instskip(SKIP_1) | instid1(VALU_DEP_2)
	v_lshrrev_b64 v[16:17], 1, v[14:15]
	v_lshrrev_b64 v[14:15], 6, v[14:15]
	v_add_co_u32 v16, vcc_lo, v16, v5
	s_delay_alu instid0(VALU_DEP_3) | instskip(NEXT) | instid1(VALU_DEP_2)
	v_add_co_ci_u32_e32 v17, vcc_lo, v17, v6, vcc_lo
	v_add_co_u32 v14, vcc_lo, v16, v14
	s_delay_alu instid0(VALU_DEP_2) | instskip(NEXT) | instid1(VALU_DEP_1)
	v_add_co_ci_u32_e32 v15, vcc_lo, v17, v15, vcc_lo
	v_lshlrev_b64 v[16:17], 1, v[14:15]
	s_delay_alu instid0(VALU_DEP_1) | instskip(NEXT) | instid1(VALU_DEP_2)
	v_add_co_u32 v16, vcc_lo, s16, v16
	v_add_co_ci_u32_e32 v17, vcc_lo, s17, v17, vcc_lo
	global_load_u16 v16, v[16:17], off
	v_add_co_u32 v17, vcc_lo, v14, 1
	v_add_co_ci_u32_e32 v18, vcc_lo, 0, v15, vcc_lo
	s_waitcnt vmcnt(0) lgkmcnt(3)
	v_cmp_lt_i16_e32 vcc_lo, v16, v9
	v_dual_cndmask_b32 v8, v15, v8 :: v_dual_cndmask_b32 v7, v14, v7
	s_delay_alu instid0(VALU_DEP_3) | instskip(NEXT) | instid1(VALU_DEP_1)
	v_dual_cndmask_b32 v6, v6, v18 :: v_dual_cndmask_b32 v5, v5, v17
	v_cmp_ge_u64_e32 vcc_lo, v[5:6], v[7:8]
	s_or_b32 s0, vcc_lo, s0
	s_delay_alu instid0(SALU_CYCLE_1)
	s_and_not1_b32 exec_lo, exec_lo, s0
	s_cbranch_execnz .LBB328_15
; %bb.16:
	s_or_b32 exec_lo, exec_lo, s0
	v_cmp_ne_u32_e32 vcc_lo, 1, v12
	s_cbranch_vccnz .LBB328_32
.LBB328_17:
	s_waitcnt vmcnt(5) lgkmcnt(5)
	v_mov_b32_e32 v6, 0
	s_waitcnt vmcnt(3) lgkmcnt(3)
	v_dual_mov_b32 v7, 0 :: v_dual_mov_b32 v8, s18
	v_mov_b32_e32 v9, s19
	s_mov_b32 s0, 0
	.p2align	6
.LBB328_18:                             ; =>This Inner Loop Header: Depth=1
	s_delay_alu instid0(VALU_DEP_2) | instskip(NEXT) | instid1(VALU_DEP_2)
	v_sub_co_u32 v14, vcc_lo, v8, v6
	v_sub_co_ci_u32_e32 v15, vcc_lo, v9, v7, vcc_lo
	s_delay_alu instid0(VALU_DEP_1) | instskip(SKIP_1) | instid1(VALU_DEP_2)
	v_lshrrev_b64 v[16:17], 1, v[14:15]
	v_lshrrev_b64 v[14:15], 6, v[14:15]
	v_add_co_u32 v16, vcc_lo, v16, v6
	s_delay_alu instid0(VALU_DEP_3) | instskip(NEXT) | instid1(VALU_DEP_2)
	v_add_co_ci_u32_e32 v17, vcc_lo, v17, v7, vcc_lo
	v_add_co_u32 v14, vcc_lo, v16, v14
	s_delay_alu instid0(VALU_DEP_2) | instskip(NEXT) | instid1(VALU_DEP_1)
	v_add_co_ci_u32_e32 v15, vcc_lo, v17, v15, vcc_lo
	v_lshlrev_b64 v[16:17], 1, v[14:15]
	s_delay_alu instid0(VALU_DEP_1) | instskip(NEXT) | instid1(VALU_DEP_2)
	v_add_co_u32 v16, vcc_lo, s16, v16
	v_add_co_ci_u32_e32 v17, vcc_lo, s17, v17, vcc_lo
	global_load_u16 v16, v[16:17], off
	v_add_co_u32 v17, vcc_lo, v14, 1
	v_add_co_ci_u32_e32 v18, vcc_lo, 0, v15, vcc_lo
	s_waitcnt vmcnt(0) lgkmcnt(2)
	v_cmp_lt_i16_e32 vcc_lo, v16, v10
	v_dual_cndmask_b32 v9, v15, v9 :: v_dual_cndmask_b32 v8, v14, v8
	s_delay_alu instid0(VALU_DEP_3) | instskip(NEXT) | instid1(VALU_DEP_1)
	v_dual_cndmask_b32 v7, v7, v18 :: v_dual_cndmask_b32 v6, v6, v17
	v_cmp_ge_u64_e32 vcc_lo, v[6:7], v[8:9]
	s_or_b32 s0, vcc_lo, s0
	s_delay_alu instid0(SALU_CYCLE_1)
	s_and_not1_b32 exec_lo, exec_lo, s0
	s_cbranch_execnz .LBB328_18
; %bb.19:
	s_or_b32 exec_lo, exec_lo, s0
	v_cmp_ne_u32_e32 vcc_lo, 1, v12
	s_cbranch_vccnz .LBB328_33
.LBB328_20:
	s_waitcnt vmcnt(4) lgkmcnt(4)
	v_mov_b32_e32 v7, 0
	s_waitcnt vmcnt(2) lgkmcnt(2)
	v_dual_mov_b32 v8, 0 :: v_dual_mov_b32 v9, s18
	v_mov_b32_e32 v10, s19
	s_mov_b32 s0, 0
	.p2align	6
.LBB328_21:                             ; =>This Inner Loop Header: Depth=1
	s_delay_alu instid0(VALU_DEP_2) | instskip(NEXT) | instid1(VALU_DEP_2)
	v_sub_co_u32 v14, vcc_lo, v9, v7
	v_sub_co_ci_u32_e32 v15, vcc_lo, v10, v8, vcc_lo
	s_delay_alu instid0(VALU_DEP_1) | instskip(SKIP_1) | instid1(VALU_DEP_2)
	v_lshrrev_b64 v[16:17], 1, v[14:15]
	v_lshrrev_b64 v[14:15], 6, v[14:15]
	v_add_co_u32 v16, vcc_lo, v16, v7
	s_delay_alu instid0(VALU_DEP_3) | instskip(NEXT) | instid1(VALU_DEP_2)
	v_add_co_ci_u32_e32 v17, vcc_lo, v17, v8, vcc_lo
	v_add_co_u32 v14, vcc_lo, v16, v14
	s_delay_alu instid0(VALU_DEP_2) | instskip(NEXT) | instid1(VALU_DEP_1)
	v_add_co_ci_u32_e32 v15, vcc_lo, v17, v15, vcc_lo
	v_lshlrev_b64 v[16:17], 1, v[14:15]
	s_delay_alu instid0(VALU_DEP_1) | instskip(NEXT) | instid1(VALU_DEP_2)
	v_add_co_u32 v16, vcc_lo, s16, v16
	v_add_co_ci_u32_e32 v17, vcc_lo, s17, v17, vcc_lo
	global_load_u16 v16, v[16:17], off
	v_add_co_u32 v17, vcc_lo, v14, 1
	v_add_co_ci_u32_e32 v18, vcc_lo, 0, v15, vcc_lo
	s_waitcnt vmcnt(0) lgkmcnt(1)
	v_cmp_lt_i16_e32 vcc_lo, v16, v11
	v_dual_cndmask_b32 v10, v15, v10 :: v_dual_cndmask_b32 v9, v14, v9
	s_delay_alu instid0(VALU_DEP_3) | instskip(NEXT) | instid1(VALU_DEP_1)
	v_dual_cndmask_b32 v8, v8, v18 :: v_dual_cndmask_b32 v7, v7, v17
	v_cmp_ge_u64_e32 vcc_lo, v[7:8], v[9:10]
	s_or_b32 s0, vcc_lo, s0
	s_delay_alu instid0(SALU_CYCLE_1)
	s_and_not1_b32 exec_lo, exec_lo, s0
	s_cbranch_execnz .LBB328_21
; %bb.22:
	s_or_b32 exec_lo, exec_lo, s0
	v_cmp_ne_u32_e32 vcc_lo, 1, v12
	s_cbranch_vccnz .LBB328_34
.LBB328_23:
	s_waitcnt vmcnt(2) lgkmcnt(2)
	v_mov_b32_e32 v9, 0
	s_waitcnt vmcnt(1) lgkmcnt(1)
	v_dual_mov_b32 v10, 0 :: v_dual_mov_b32 v11, s18
	v_mov_b32_e32 v12, s19
	s_mov_b32 s0, 0
	.p2align	6
.LBB328_24:                             ; =>This Inner Loop Header: Depth=1
	s_delay_alu instid0(VALU_DEP_2) | instskip(NEXT) | instid1(VALU_DEP_2)
	v_sub_co_u32 v14, vcc_lo, v11, v9
	v_sub_co_ci_u32_e32 v15, vcc_lo, v12, v10, vcc_lo
	s_delay_alu instid0(VALU_DEP_1) | instskip(SKIP_1) | instid1(VALU_DEP_2)
	v_lshrrev_b64 v[16:17], 1, v[14:15]
	v_lshrrev_b64 v[14:15], 6, v[14:15]
	v_add_co_u32 v8, vcc_lo, v16, v9
	s_delay_alu instid0(VALU_DEP_3) | instskip(NEXT) | instid1(VALU_DEP_2)
	v_add_co_ci_u32_e32 v16, vcc_lo, v17, v10, vcc_lo
	v_add_co_u32 v14, vcc_lo, v8, v14
	s_delay_alu instid0(VALU_DEP_2) | instskip(NEXT) | instid1(VALU_DEP_1)
	v_add_co_ci_u32_e32 v15, vcc_lo, v16, v15, vcc_lo
	v_lshlrev_b64 v[16:17], 1, v[14:15]
	s_delay_alu instid0(VALU_DEP_1) | instskip(NEXT) | instid1(VALU_DEP_2)
	v_add_co_u32 v16, vcc_lo, s16, v16
	v_add_co_ci_u32_e32 v17, vcc_lo, s17, v17, vcc_lo
	global_load_u16 v8, v[16:17], off
	v_add_co_u32 v16, vcc_lo, v14, 1
	v_add_co_ci_u32_e32 v17, vcc_lo, 0, v15, vcc_lo
	s_waitcnt vmcnt(0) lgkmcnt(0)
	v_cmp_lt_i16_e32 vcc_lo, v8, v13
	v_dual_cndmask_b32 v12, v15, v12 :: v_dual_cndmask_b32 v11, v14, v11
	s_delay_alu instid0(VALU_DEP_3) | instskip(NEXT) | instid1(VALU_DEP_1)
	v_dual_cndmask_b32 v10, v10, v17 :: v_dual_cndmask_b32 v9, v9, v16
	v_cmp_ge_u64_e32 vcc_lo, v[9:10], v[11:12]
	s_or_b32 s0, vcc_lo, s0
	s_delay_alu instid0(SALU_CYCLE_1)
	s_and_not1_b32 exec_lo, exec_lo, s0
	s_cbranch_execnz .LBB328_24
; %bb.25:
	s_or_b32 exec_lo, exec_lo, s0
	s_branch .LBB328_35
.LBB328_26:
	s_mov_b32 s14, s11
                                        ; implicit-def: $vgpr9
                                        ; implicit-def: $vgpr12_vgpr13
	s_and_b32 vcc_lo, exec_lo, s0
	s_cbranch_vccnz .LBB328_36
	s_branch .LBB328_107
.LBB328_27:
	v_mov_b32_e32 v1, 0
	v_cndmask_b32_e64 v12, 0, 1, s0
	s_and_not1_b32 vcc_lo, exec_lo, s0
	s_cbranch_vccz .LBB328_5
.LBB328_28:
	v_mov_b32_e32 v2, 0
	s_delay_alu instid0(VALU_DEP_2)
	v_cmp_ne_u32_e32 vcc_lo, 1, v12
	s_cbranch_vccz .LBB328_8
.LBB328_29:
	v_mov_b32_e32 v3, 0
	v_cmp_ne_u32_e32 vcc_lo, 1, v12
	s_cbranch_vccz .LBB328_11
.LBB328_30:
	v_mov_b32_e32 v4, 0
	v_cmp_ne_u32_e32 vcc_lo, 1, v12
	s_cbranch_vccz .LBB328_14
.LBB328_31:
	v_mov_b32_e32 v5, 0
	v_cmp_ne_u32_e32 vcc_lo, 1, v12
	s_cbranch_vccz .LBB328_17
.LBB328_32:
	s_waitcnt vmcnt(6) lgkmcnt(6)
	v_mov_b32_e32 v6, 0
	v_cmp_ne_u32_e32 vcc_lo, 1, v12
	s_cbranch_vccz .LBB328_20
.LBB328_33:
	s_waitcnt vmcnt(5) lgkmcnt(5)
	v_mov_b32_e32 v7, 0
	v_cmp_ne_u32_e32 vcc_lo, 1, v12
	s_cbranch_vccz .LBB328_23
.LBB328_34:
	s_waitcnt vmcnt(3) lgkmcnt(3)
	v_mov_b32_e32 v9, 0
.LBB328_35:
	v_lshlrev_b32_e32 v8, 2, v0
	s_lshl_b64 s[0:1], s[10:11], 2
	s_mov_b32 s14, -1
	s_add_u32 s0, s7, s0
	s_addc_u32 s1, s9, s1
	v_add_co_u32 v12, s0, s0, v8
	s_waitcnt vmcnt(0) lgkmcnt(0)
	v_add_co_ci_u32_e64 v13, null, s1, 0, s0
	s_clause 0x6
	flat_store_b32 v[12:13], v1
	flat_store_b32 v[12:13], v2 offset:256
	flat_store_b32 v[12:13], v3 offset:512
	;; [unrolled: 1-line block ×6, first 2 shown]
	s_branch .LBB328_107
.LBB328_36:
	s_sub_i32 s8, s8, s10
                                        ; implicit-def: $vgpr1_vgpr2_vgpr3_vgpr4
	s_delay_alu instid0(SALU_CYCLE_1) | instskip(NEXT) | instid1(VALU_DEP_1)
	v_cmp_gt_u32_e64 s0, s8, v0
	s_and_saveexec_b32 s1, s0
	s_cbranch_execz .LBB328_38
; %bb.37:
	v_lshlrev_b32_e32 v1, 1, v0
	s_delay_alu instid0(VALU_DEP_1) | instskip(NEXT) | instid1(VALU_DEP_1)
	v_add_co_u32 v1, s2, s12, v1
	v_add_co_ci_u32_e64 v2, null, s13, 0, s2
	flat_load_d16_b16 v1, v[1:2]
.LBB328_38:
	s_or_b32 exec_lo, exec_lo, s1
	v_or_b32_e32 v5, 64, v0
	s_delay_alu instid0(VALU_DEP_1) | instskip(NEXT) | instid1(VALU_DEP_1)
	v_cmp_gt_u32_e64 s1, s8, v5
	s_and_saveexec_b32 s2, s1
	s_cbranch_execz .LBB328_40
; %bb.39:
	v_lshlrev_b32_e32 v5, 1, v0
	s_delay_alu instid0(VALU_DEP_1) | instskip(NEXT) | instid1(VALU_DEP_1)
	v_add_co_u32 v5, s3, s12, v5
	v_add_co_ci_u32_e64 v6, null, s13, 0, s3
	s_waitcnt vmcnt(0) lgkmcnt(0)
	flat_load_d16_hi_b16 v1, v[5:6] offset:128
.LBB328_40:
	s_or_b32 exec_lo, exec_lo, s2
	v_or_b32_e32 v5, 0x80, v0
	s_delay_alu instid0(VALU_DEP_1) | instskip(NEXT) | instid1(VALU_DEP_1)
	v_cmp_gt_u32_e64 s2, s8, v5
	s_and_saveexec_b32 s3, s2
	s_cbranch_execz .LBB328_42
; %bb.41:
	v_lshlrev_b32_e32 v5, 1, v0
	s_delay_alu instid0(VALU_DEP_1) | instskip(NEXT) | instid1(VALU_DEP_1)
	v_add_co_u32 v5, s4, s12, v5
	v_add_co_ci_u32_e64 v6, null, s13, 0, s4
	flat_load_d16_b16 v2, v[5:6] offset:256
.LBB328_42:
	s_or_b32 exec_lo, exec_lo, s3
	v_or_b32_e32 v5, 0xc0, v0
	s_delay_alu instid0(VALU_DEP_1) | instskip(NEXT) | instid1(VALU_DEP_1)
	v_cmp_gt_u32_e64 s3, s8, v5
	s_and_saveexec_b32 s4, s3
	s_cbranch_execz .LBB328_44
; %bb.43:
	v_lshlrev_b32_e32 v5, 1, v0
	s_delay_alu instid0(VALU_DEP_1) | instskip(NEXT) | instid1(VALU_DEP_1)
	v_add_co_u32 v5, s5, s12, v5
	v_add_co_ci_u32_e64 v6, null, s13, 0, s5
	s_waitcnt vmcnt(0) lgkmcnt(0)
	flat_load_d16_hi_b16 v2, v[5:6] offset:384
.LBB328_44:
	s_or_b32 exec_lo, exec_lo, s4
	v_or_b32_e32 v5, 0x100, v0
	s_delay_alu instid0(VALU_DEP_1) | instskip(NEXT) | instid1(VALU_DEP_1)
	v_cmp_gt_u32_e64 s4, s8, v5
	s_and_saveexec_b32 s5, s4
	s_cbranch_execz .LBB328_46
; %bb.45:
	v_lshlrev_b32_e32 v5, 1, v0
	s_delay_alu instid0(VALU_DEP_1) | instskip(NEXT) | instid1(VALU_DEP_1)
	v_add_co_u32 v5, s6, s12, v5
	v_add_co_ci_u32_e64 v6, null, s13, 0, s6
	flat_load_d16_b16 v3, v[5:6] offset:512
.LBB328_46:
	;; [unrolled: 27-line block ×3, first 2 shown]
	s_or_b32 exec_lo, exec_lo, s14
	v_or_b32_e32 v5, 0x1c0, v0
	s_delay_alu instid0(VALU_DEP_1) | instskip(NEXT) | instid1(VALU_DEP_1)
	v_cmp_gt_u32_e64 s14, s8, v5
	s_and_saveexec_b32 s8, s14
	s_cbranch_execz .LBB328_52
; %bb.51:
	v_lshlrev_b32_e32 v5, 1, v0
	s_delay_alu instid0(VALU_DEP_1) | instskip(NEXT) | instid1(VALU_DEP_1)
	v_add_co_u32 v5, s12, s12, v5
	v_add_co_ci_u32_e64 v6, null, s13, 0, s12
	s_waitcnt vmcnt(0) lgkmcnt(0)
	flat_load_d16_hi_b16 v4, v[5:6] offset:896
.LBB328_52:
	s_or_b32 exec_lo, exec_lo, s8
	s_cmp_lg_u64 s[18:19], 0
                                        ; implicit-def: $vgpr5
	s_cselect_b32 s8, -1, 0
	s_and_saveexec_b32 s12, s0
	s_cbranch_execz .LBB328_57
; %bb.53:
	v_mov_b32_e32 v5, 0
	v_mov_b32_e32 v6, 0
	s_and_not1_b32 vcc_lo, exec_lo, s8
	s_cbranch_vccnz .LBB328_57
; %bb.54:
	v_dual_mov_b32 v7, s18 :: v_dual_mov_b32 v8, s19
	s_mov_b32 s13, 0
	.p2align	6
.LBB328_55:                             ; =>This Inner Loop Header: Depth=1
	s_delay_alu instid0(VALU_DEP_1) | instskip(NEXT) | instid1(VALU_DEP_2)
	v_sub_co_u32 v9, vcc_lo, v7, v5
	v_sub_co_ci_u32_e32 v10, vcc_lo, v8, v6, vcc_lo
	s_delay_alu instid0(VALU_DEP_1) | instskip(SKIP_1) | instid1(VALU_DEP_2)
	v_lshrrev_b64 v[11:12], 1, v[9:10]
	v_lshrrev_b64 v[9:10], 6, v[9:10]
	v_add_co_u32 v11, vcc_lo, v11, v5
	s_delay_alu instid0(VALU_DEP_3) | instskip(NEXT) | instid1(VALU_DEP_2)
	v_add_co_ci_u32_e32 v12, vcc_lo, v12, v6, vcc_lo
	v_add_co_u32 v9, vcc_lo, v11, v9
	s_delay_alu instid0(VALU_DEP_2) | instskip(NEXT) | instid1(VALU_DEP_1)
	v_add_co_ci_u32_e32 v10, vcc_lo, v12, v10, vcc_lo
	v_lshlrev_b64 v[11:12], 1, v[9:10]
	s_delay_alu instid0(VALU_DEP_1) | instskip(NEXT) | instid1(VALU_DEP_2)
	v_add_co_u32 v11, vcc_lo, s16, v11
	v_add_co_ci_u32_e32 v12, vcc_lo, s17, v12, vcc_lo
	global_load_u16 v11, v[11:12], off
	v_add_co_u32 v12, vcc_lo, v9, 1
	v_add_co_ci_u32_e32 v13, vcc_lo, 0, v10, vcc_lo
	s_waitcnt vmcnt(0) lgkmcnt(0)
	v_cmp_lt_i16_e32 vcc_lo, v11, v1
	v_dual_cndmask_b32 v8, v10, v8 :: v_dual_cndmask_b32 v7, v9, v7
	s_delay_alu instid0(VALU_DEP_3) | instskip(NEXT) | instid1(VALU_DEP_1)
	v_dual_cndmask_b32 v6, v6, v13 :: v_dual_cndmask_b32 v5, v5, v12
	v_cmp_ge_u64_e32 vcc_lo, v[5:6], v[7:8]
	s_or_b32 s13, vcc_lo, s13
	s_delay_alu instid0(SALU_CYCLE_1)
	s_and_not1_b32 exec_lo, exec_lo, s13
	s_cbranch_execnz .LBB328_55
; %bb.56:
	s_or_b32 exec_lo, exec_lo, s13
.LBB328_57:
	s_delay_alu instid0(SALU_CYCLE_1)
	s_or_b32 exec_lo, exec_lo, s12
                                        ; implicit-def: $vgpr6
	s_and_saveexec_b32 s12, s1
	s_cbranch_execz .LBB328_62
; %bb.58:
	s_and_not1_b32 vcc_lo, exec_lo, s8
	s_cbranch_vccnz .LBB328_67
; %bb.59:
	v_mov_b32_e32 v6, 0
	v_dual_mov_b32 v7, 0 :: v_dual_mov_b32 v8, s18
	s_waitcnt vmcnt(0) lgkmcnt(0)
	v_lshrrev_b32_e32 v1, 16, v1
	v_mov_b32_e32 v9, s19
	s_mov_b32 s13, 0
	.p2align	6
.LBB328_60:                             ; =>This Inner Loop Header: Depth=1
	v_sub_co_u32 v10, vcc_lo, v8, v6
	s_delay_alu instid0(VALU_DEP_2) | instskip(NEXT) | instid1(VALU_DEP_1)
	v_sub_co_ci_u32_e32 v11, vcc_lo, v9, v7, vcc_lo
	v_lshrrev_b64 v[12:13], 1, v[10:11]
	v_lshrrev_b64 v[10:11], 6, v[10:11]
	s_delay_alu instid0(VALU_DEP_2) | instskip(NEXT) | instid1(VALU_DEP_3)
	v_add_co_u32 v12, vcc_lo, v12, v6
	v_add_co_ci_u32_e32 v13, vcc_lo, v13, v7, vcc_lo
	s_delay_alu instid0(VALU_DEP_2) | instskip(NEXT) | instid1(VALU_DEP_2)
	v_add_co_u32 v10, vcc_lo, v12, v10
	v_add_co_ci_u32_e32 v11, vcc_lo, v13, v11, vcc_lo
	s_delay_alu instid0(VALU_DEP_1) | instskip(NEXT) | instid1(VALU_DEP_1)
	v_lshlrev_b64 v[12:13], 1, v[10:11]
	v_add_co_u32 v12, vcc_lo, s16, v12
	s_delay_alu instid0(VALU_DEP_2)
	v_add_co_ci_u32_e32 v13, vcc_lo, s17, v13, vcc_lo
	global_load_u16 v12, v[12:13], off
	v_add_co_u32 v13, vcc_lo, v10, 1
	v_add_co_ci_u32_e32 v14, vcc_lo, 0, v11, vcc_lo
	s_waitcnt vmcnt(0)
	v_cmp_lt_i16_e32 vcc_lo, v12, v1
	v_dual_cndmask_b32 v9, v11, v9 :: v_dual_cndmask_b32 v8, v10, v8
	s_delay_alu instid0(VALU_DEP_3) | instskip(NEXT) | instid1(VALU_DEP_1)
	v_dual_cndmask_b32 v7, v7, v14 :: v_dual_cndmask_b32 v6, v6, v13
	v_cmp_ge_u64_e32 vcc_lo, v[6:7], v[8:9]
	s_or_b32 s13, vcc_lo, s13
	s_delay_alu instid0(SALU_CYCLE_1)
	s_and_not1_b32 exec_lo, exec_lo, s13
	s_cbranch_execnz .LBB328_60
; %bb.61:
	s_or_b32 exec_lo, exec_lo, s13
.LBB328_62:
	s_delay_alu instid0(SALU_CYCLE_1)
	s_or_b32 exec_lo, exec_lo, s12
                                        ; implicit-def: $vgpr7
	s_and_saveexec_b32 s12, s2
	s_cbranch_execz .LBB328_68
.LBB328_63:
	v_mov_b32_e32 v7, 0
	v_mov_b32_e32 v8, 0
	s_and_not1_b32 vcc_lo, exec_lo, s8
	s_cbranch_vccnz .LBB328_68
; %bb.64:
	v_dual_mov_b32 v9, s18 :: v_dual_mov_b32 v10, s19
	s_mov_b32 s13, 0
	.p2align	6
.LBB328_65:                             ; =>This Inner Loop Header: Depth=1
	s_delay_alu instid0(VALU_DEP_1) | instskip(NEXT) | instid1(VALU_DEP_2)
	v_sub_co_u32 v11, vcc_lo, v9, v7
	v_sub_co_ci_u32_e32 v12, vcc_lo, v10, v8, vcc_lo
	s_delay_alu instid0(VALU_DEP_1) | instskip(SKIP_2) | instid1(VALU_DEP_2)
	v_lshrrev_b64 v[13:14], 1, v[11:12]
	v_lshrrev_b64 v[11:12], 6, v[11:12]
	s_waitcnt vmcnt(0) lgkmcnt(0)
	v_add_co_u32 v1, vcc_lo, v13, v7
	s_delay_alu instid0(VALU_DEP_3) | instskip(NEXT) | instid1(VALU_DEP_2)
	v_add_co_ci_u32_e32 v13, vcc_lo, v14, v8, vcc_lo
	v_add_co_u32 v11, vcc_lo, v1, v11
	s_delay_alu instid0(VALU_DEP_2) | instskip(NEXT) | instid1(VALU_DEP_1)
	v_add_co_ci_u32_e32 v12, vcc_lo, v13, v12, vcc_lo
	v_lshlrev_b64 v[13:14], 1, v[11:12]
	s_delay_alu instid0(VALU_DEP_1) | instskip(NEXT) | instid1(VALU_DEP_2)
	v_add_co_u32 v13, vcc_lo, s16, v13
	v_add_co_ci_u32_e32 v14, vcc_lo, s17, v14, vcc_lo
	global_load_u16 v1, v[13:14], off
	v_add_co_u32 v13, vcc_lo, v11, 1
	v_add_co_ci_u32_e32 v14, vcc_lo, 0, v12, vcc_lo
	s_waitcnt vmcnt(0)
	v_cmp_lt_i16_e32 vcc_lo, v1, v2
	v_dual_cndmask_b32 v10, v12, v10 :: v_dual_cndmask_b32 v9, v11, v9
	s_delay_alu instid0(VALU_DEP_3) | instskip(NEXT) | instid1(VALU_DEP_1)
	v_dual_cndmask_b32 v8, v8, v14 :: v_dual_cndmask_b32 v7, v7, v13
	v_cmp_ge_u64_e32 vcc_lo, v[7:8], v[9:10]
	s_or_b32 s13, vcc_lo, s13
	s_delay_alu instid0(SALU_CYCLE_1)
	s_and_not1_b32 exec_lo, exec_lo, s13
	s_cbranch_execnz .LBB328_65
; %bb.66:
	s_or_b32 exec_lo, exec_lo, s13
	s_branch .LBB328_68
.LBB328_67:
	v_mov_b32_e32 v6, 0
	v_mov_b32_e32 v7, 0
	s_or_b32 exec_lo, exec_lo, s12
                                        ; implicit-def: $vgpr7
	s_and_saveexec_b32 s12, s2
	s_cbranch_execnz .LBB328_63
.LBB328_68:
	s_or_b32 exec_lo, exec_lo, s12
                                        ; implicit-def: $vgpr1
	s_and_saveexec_b32 s12, s3
	s_cbranch_execz .LBB328_73
; %bb.69:
	s_and_not1_b32 vcc_lo, exec_lo, s8
	s_cbranch_vccnz .LBB328_78
; %bb.70:
	s_waitcnt vmcnt(0) lgkmcnt(0)
	v_lshrrev_b32_e32 v10, 16, v2
	v_dual_mov_b32 v1, 0 :: v_dual_mov_b32 v8, s18
	v_dual_mov_b32 v2, 0 :: v_dual_mov_b32 v9, s19
	s_mov_b32 s13, 0
	.p2align	6
.LBB328_71:                             ; =>This Inner Loop Header: Depth=1
	s_delay_alu instid0(VALU_DEP_2) | instskip(NEXT) | instid1(VALU_DEP_2)
	v_sub_co_u32 v11, vcc_lo, v8, v1
	v_sub_co_ci_u32_e32 v12, vcc_lo, v9, v2, vcc_lo
	s_delay_alu instid0(VALU_DEP_1) | instskip(SKIP_1) | instid1(VALU_DEP_2)
	v_lshrrev_b64 v[13:14], 1, v[11:12]
	v_lshrrev_b64 v[11:12], 6, v[11:12]
	v_add_co_u32 v13, vcc_lo, v13, v1
	s_delay_alu instid0(VALU_DEP_3) | instskip(NEXT) | instid1(VALU_DEP_2)
	v_add_co_ci_u32_e32 v14, vcc_lo, v14, v2, vcc_lo
	v_add_co_u32 v11, vcc_lo, v13, v11
	s_delay_alu instid0(VALU_DEP_2) | instskip(NEXT) | instid1(VALU_DEP_1)
	v_add_co_ci_u32_e32 v12, vcc_lo, v14, v12, vcc_lo
	v_lshlrev_b64 v[13:14], 1, v[11:12]
	s_delay_alu instid0(VALU_DEP_1) | instskip(NEXT) | instid1(VALU_DEP_2)
	v_add_co_u32 v13, vcc_lo, s16, v13
	v_add_co_ci_u32_e32 v14, vcc_lo, s17, v14, vcc_lo
	global_load_u16 v13, v[13:14], off
	v_add_co_u32 v14, vcc_lo, v11, 1
	v_add_co_ci_u32_e32 v15, vcc_lo, 0, v12, vcc_lo
	s_waitcnt vmcnt(0)
	v_cmp_lt_i16_e32 vcc_lo, v13, v10
	v_dual_cndmask_b32 v9, v12, v9 :: v_dual_cndmask_b32 v8, v11, v8
	s_delay_alu instid0(VALU_DEP_3) | instskip(NEXT) | instid1(VALU_DEP_1)
	v_dual_cndmask_b32 v2, v2, v15 :: v_dual_cndmask_b32 v1, v1, v14
	v_cmp_ge_u64_e32 vcc_lo, v[1:2], v[8:9]
	s_or_b32 s13, vcc_lo, s13
	s_delay_alu instid0(SALU_CYCLE_1)
	s_and_not1_b32 exec_lo, exec_lo, s13
	s_cbranch_execnz .LBB328_71
; %bb.72:
	s_or_b32 exec_lo, exec_lo, s13
.LBB328_73:
	s_delay_alu instid0(SALU_CYCLE_1)
	s_or_b32 exec_lo, exec_lo, s12
                                        ; implicit-def: $vgpr8
	s_and_saveexec_b32 s12, s4
	s_cbranch_execz .LBB328_79
.LBB328_74:
	v_mov_b32_e32 v8, 0
	v_mov_b32_e32 v9, 0
	s_and_not1_b32 vcc_lo, exec_lo, s8
	s_cbranch_vccnz .LBB328_79
; %bb.75:
	v_dual_mov_b32 v10, s18 :: v_dual_mov_b32 v11, s19
	s_mov_b32 s13, 0
	.p2align	6
.LBB328_76:                             ; =>This Inner Loop Header: Depth=1
	s_delay_alu instid0(VALU_DEP_1) | instskip(NEXT) | instid1(VALU_DEP_2)
	v_sub_co_u32 v12, vcc_lo, v10, v8
	v_sub_co_ci_u32_e32 v13, vcc_lo, v11, v9, vcc_lo
	s_delay_alu instid0(VALU_DEP_1) | instskip(SKIP_2) | instid1(VALU_DEP_2)
	v_lshrrev_b64 v[14:15], 1, v[12:13]
	v_lshrrev_b64 v[12:13], 6, v[12:13]
	s_waitcnt vmcnt(0) lgkmcnt(0)
	v_add_co_u32 v2, vcc_lo, v14, v8
	s_delay_alu instid0(VALU_DEP_3) | instskip(NEXT) | instid1(VALU_DEP_2)
	v_add_co_ci_u32_e32 v14, vcc_lo, v15, v9, vcc_lo
	v_add_co_u32 v12, vcc_lo, v2, v12
	s_delay_alu instid0(VALU_DEP_2) | instskip(NEXT) | instid1(VALU_DEP_1)
	v_add_co_ci_u32_e32 v13, vcc_lo, v14, v13, vcc_lo
	v_lshlrev_b64 v[14:15], 1, v[12:13]
	s_delay_alu instid0(VALU_DEP_1) | instskip(NEXT) | instid1(VALU_DEP_2)
	v_add_co_u32 v14, vcc_lo, s16, v14
	v_add_co_ci_u32_e32 v15, vcc_lo, s17, v15, vcc_lo
	global_load_u16 v2, v[14:15], off
	v_add_co_u32 v14, vcc_lo, v12, 1
	v_add_co_ci_u32_e32 v15, vcc_lo, 0, v13, vcc_lo
	s_waitcnt vmcnt(0)
	v_cmp_lt_i16_e32 vcc_lo, v2, v3
	v_dual_cndmask_b32 v11, v13, v11 :: v_dual_cndmask_b32 v10, v12, v10
	s_delay_alu instid0(VALU_DEP_3) | instskip(NEXT) | instid1(VALU_DEP_1)
	v_dual_cndmask_b32 v9, v9, v15 :: v_dual_cndmask_b32 v8, v8, v14
	v_cmp_ge_u64_e32 vcc_lo, v[8:9], v[10:11]
	s_or_b32 s13, vcc_lo, s13
	s_delay_alu instid0(SALU_CYCLE_1)
	s_and_not1_b32 exec_lo, exec_lo, s13
	s_cbranch_execnz .LBB328_76
; %bb.77:
	s_or_b32 exec_lo, exec_lo, s13
	s_branch .LBB328_79
.LBB328_78:
	s_waitcnt vmcnt(0) lgkmcnt(0)
	v_mov_b32_e32 v1, 0
	v_mov_b32_e32 v2, 0
	s_or_b32 exec_lo, exec_lo, s12
                                        ; implicit-def: $vgpr8
	s_and_saveexec_b32 s12, s4
	s_cbranch_execnz .LBB328_74
.LBB328_79:
	s_or_b32 exec_lo, exec_lo, s12
                                        ; implicit-def: $vgpr2
	s_and_saveexec_b32 s12, s5
	s_cbranch_execnz .LBB328_82
; %bb.80:
	s_or_b32 exec_lo, exec_lo, s12
                                        ; implicit-def: $vgpr11
	s_and_saveexec_b32 s12, s6
	s_cbranch_execnz .LBB328_87
.LBB328_81:
	s_or_b32 exec_lo, exec_lo, s12
                                        ; implicit-def: $vgpr9
	s_and_saveexec_b32 s12, s14
	s_cbranch_execnz .LBB328_92
	s_branch .LBB328_97
.LBB328_82:
	s_and_not1_b32 vcc_lo, exec_lo, s8
	s_cbranch_vccnz .LBB328_86
; %bb.83:
	s_waitcnt vmcnt(0) lgkmcnt(0)
	v_lshrrev_b32_e32 v11, 16, v3
	v_dual_mov_b32 v2, 0 :: v_dual_mov_b32 v9, s18
	v_dual_mov_b32 v3, 0 :: v_dual_mov_b32 v10, s19
	s_mov_b32 s13, 0
	.p2align	6
.LBB328_84:                             ; =>This Inner Loop Header: Depth=1
	s_delay_alu instid0(VALU_DEP_2) | instskip(NEXT) | instid1(VALU_DEP_2)
	v_sub_co_u32 v12, vcc_lo, v9, v2
	v_sub_co_ci_u32_e32 v13, vcc_lo, v10, v3, vcc_lo
	s_delay_alu instid0(VALU_DEP_1) | instskip(SKIP_1) | instid1(VALU_DEP_2)
	v_lshrrev_b64 v[14:15], 1, v[12:13]
	v_lshrrev_b64 v[12:13], 6, v[12:13]
	v_add_co_u32 v14, vcc_lo, v14, v2
	s_delay_alu instid0(VALU_DEP_3) | instskip(NEXT) | instid1(VALU_DEP_2)
	v_add_co_ci_u32_e32 v15, vcc_lo, v15, v3, vcc_lo
	v_add_co_u32 v12, vcc_lo, v14, v12
	s_delay_alu instid0(VALU_DEP_2) | instskip(NEXT) | instid1(VALU_DEP_1)
	v_add_co_ci_u32_e32 v13, vcc_lo, v15, v13, vcc_lo
	v_lshlrev_b64 v[14:15], 1, v[12:13]
	s_delay_alu instid0(VALU_DEP_1) | instskip(NEXT) | instid1(VALU_DEP_2)
	v_add_co_u32 v14, vcc_lo, s16, v14
	v_add_co_ci_u32_e32 v15, vcc_lo, s17, v15, vcc_lo
	global_load_u16 v14, v[14:15], off
	v_add_co_u32 v15, vcc_lo, v12, 1
	v_add_co_ci_u32_e32 v16, vcc_lo, 0, v13, vcc_lo
	s_waitcnt vmcnt(0)
	v_cmp_lt_i16_e32 vcc_lo, v14, v11
	v_dual_cndmask_b32 v10, v13, v10 :: v_dual_cndmask_b32 v9, v12, v9
	s_delay_alu instid0(VALU_DEP_3) | instskip(NEXT) | instid1(VALU_DEP_1)
	v_dual_cndmask_b32 v3, v3, v16 :: v_dual_cndmask_b32 v2, v2, v15
	v_cmp_ge_u64_e32 vcc_lo, v[2:3], v[9:10]
	s_or_b32 s13, vcc_lo, s13
	s_delay_alu instid0(SALU_CYCLE_1)
	s_and_not1_b32 exec_lo, exec_lo, s13
	s_cbranch_execnz .LBB328_84
; %bb.85:
	s_or_b32 exec_lo, exec_lo, s13
	s_delay_alu instid0(SALU_CYCLE_1)
	s_or_b32 exec_lo, exec_lo, s12
                                        ; implicit-def: $vgpr11
	s_and_saveexec_b32 s12, s6
	s_cbranch_execz .LBB328_81
	s_branch .LBB328_87
.LBB328_86:
	s_waitcnt vmcnt(0) lgkmcnt(0)
	v_mov_b32_e32 v2, 0
	s_or_b32 exec_lo, exec_lo, s12
                                        ; implicit-def: $vgpr11
	s_and_saveexec_b32 s12, s6
	s_cbranch_execz .LBB328_81
.LBB328_87:
	s_and_not1_b32 vcc_lo, exec_lo, s8
	s_cbranch_vccnz .LBB328_91
; %bb.88:
	v_mov_b32_e32 v11, 0
	v_dual_mov_b32 v12, 0 :: v_dual_mov_b32 v9, s18
	v_mov_b32_e32 v10, s19
	s_mov_b32 s13, 0
	.p2align	6
.LBB328_89:                             ; =>This Inner Loop Header: Depth=1
	s_delay_alu instid0(VALU_DEP_2) | instskip(NEXT) | instid1(VALU_DEP_2)
	v_sub_co_u32 v13, vcc_lo, v9, v11
	v_sub_co_ci_u32_e32 v14, vcc_lo, v10, v12, vcc_lo
	s_delay_alu instid0(VALU_DEP_1) | instskip(SKIP_2) | instid1(VALU_DEP_2)
	v_lshrrev_b64 v[15:16], 1, v[13:14]
	v_lshrrev_b64 v[13:14], 6, v[13:14]
	s_waitcnt vmcnt(0) lgkmcnt(0)
	v_add_co_u32 v3, vcc_lo, v15, v11
	s_delay_alu instid0(VALU_DEP_3) | instskip(NEXT) | instid1(VALU_DEP_2)
	v_add_co_ci_u32_e32 v15, vcc_lo, v16, v12, vcc_lo
	v_add_co_u32 v13, vcc_lo, v3, v13
	s_delay_alu instid0(VALU_DEP_2) | instskip(NEXT) | instid1(VALU_DEP_1)
	v_add_co_ci_u32_e32 v14, vcc_lo, v15, v14, vcc_lo
	v_lshlrev_b64 v[15:16], 1, v[13:14]
	s_delay_alu instid0(VALU_DEP_1) | instskip(NEXT) | instid1(VALU_DEP_2)
	v_add_co_u32 v15, vcc_lo, s16, v15
	v_add_co_ci_u32_e32 v16, vcc_lo, s17, v16, vcc_lo
	global_load_u16 v3, v[15:16], off
	v_add_co_u32 v15, vcc_lo, v13, 1
	v_add_co_ci_u32_e32 v16, vcc_lo, 0, v14, vcc_lo
	s_waitcnt vmcnt(0)
	v_cmp_lt_i16_e32 vcc_lo, v3, v4
	v_dual_cndmask_b32 v10, v14, v10 :: v_dual_cndmask_b32 v9, v13, v9
	s_delay_alu instid0(VALU_DEP_3) | instskip(NEXT) | instid1(VALU_DEP_1)
	v_dual_cndmask_b32 v12, v12, v16 :: v_dual_cndmask_b32 v11, v11, v15
	v_cmp_ge_u64_e32 vcc_lo, v[11:12], v[9:10]
	s_or_b32 s13, vcc_lo, s13
	s_delay_alu instid0(SALU_CYCLE_1)
	s_and_not1_b32 exec_lo, exec_lo, s13
	s_cbranch_execnz .LBB328_89
; %bb.90:
	s_or_b32 exec_lo, exec_lo, s13
	s_delay_alu instid0(SALU_CYCLE_1)
	s_or_b32 exec_lo, exec_lo, s12
                                        ; implicit-def: $vgpr9
	s_and_saveexec_b32 s12, s14
	s_cbranch_execnz .LBB328_92
	s_branch .LBB328_97
.LBB328_91:
	v_mov_b32_e32 v11, 0
	s_or_b32 exec_lo, exec_lo, s12
                                        ; implicit-def: $vgpr9
	s_and_saveexec_b32 s12, s14
	s_cbranch_execz .LBB328_97
.LBB328_92:
	s_and_not1_b32 vcc_lo, exec_lo, s8
	s_cbranch_vccnz .LBB328_96
; %bb.93:
	v_mov_b32_e32 v9, 0
	s_waitcnt vmcnt(0) lgkmcnt(0)
	v_lshrrev_b32_e32 v12, 16, v4
	v_dual_mov_b32 v10, 0 :: v_dual_mov_b32 v3, s18
	v_mov_b32_e32 v4, s19
	s_mov_b32 s8, 0
	.p2align	6
.LBB328_94:                             ; =>This Inner Loop Header: Depth=1
	s_delay_alu instid0(VALU_DEP_2) | instskip(NEXT) | instid1(VALU_DEP_2)
	v_sub_co_u32 v13, vcc_lo, v3, v9
	v_sub_co_ci_u32_e32 v14, vcc_lo, v4, v10, vcc_lo
	s_delay_alu instid0(VALU_DEP_1) | instskip(SKIP_1) | instid1(VALU_DEP_2)
	v_lshrrev_b64 v[15:16], 1, v[13:14]
	v_lshrrev_b64 v[13:14], 6, v[13:14]
	v_add_co_u32 v15, vcc_lo, v15, v9
	s_delay_alu instid0(VALU_DEP_3) | instskip(NEXT) | instid1(VALU_DEP_2)
	v_add_co_ci_u32_e32 v16, vcc_lo, v16, v10, vcc_lo
	v_add_co_u32 v13, vcc_lo, v15, v13
	s_delay_alu instid0(VALU_DEP_2) | instskip(NEXT) | instid1(VALU_DEP_1)
	v_add_co_ci_u32_e32 v14, vcc_lo, v16, v14, vcc_lo
	v_lshlrev_b64 v[15:16], 1, v[13:14]
	s_delay_alu instid0(VALU_DEP_1) | instskip(NEXT) | instid1(VALU_DEP_2)
	v_add_co_u32 v15, vcc_lo, s16, v15
	v_add_co_ci_u32_e32 v16, vcc_lo, s17, v16, vcc_lo
	global_load_u16 v15, v[15:16], off
	v_add_co_u32 v16, vcc_lo, v13, 1
	v_add_co_ci_u32_e32 v17, vcc_lo, 0, v14, vcc_lo
	s_waitcnt vmcnt(0)
	v_cmp_lt_i16_e32 vcc_lo, v15, v12
	v_dual_cndmask_b32 v4, v14, v4 :: v_dual_cndmask_b32 v3, v13, v3
	s_delay_alu instid0(VALU_DEP_3) | instskip(NEXT) | instid1(VALU_DEP_1)
	v_dual_cndmask_b32 v10, v10, v17 :: v_dual_cndmask_b32 v9, v9, v16
	v_cmp_ge_u64_e32 vcc_lo, v[9:10], v[3:4]
	s_or_b32 s8, vcc_lo, s8
	s_delay_alu instid0(SALU_CYCLE_1)
	s_and_not1_b32 exec_lo, exec_lo, s8
	s_cbranch_execnz .LBB328_94
; %bb.95:
	s_or_b32 exec_lo, exec_lo, s8
	s_branch .LBB328_97
.LBB328_96:
	v_mov_b32_e32 v9, 0
.LBB328_97:
	s_or_b32 exec_lo, exec_lo, s12
	v_lshlrev_b32_e32 v0, 2, v0
	s_lshl_b64 s[10:11], s[10:11], 2
	s_delay_alu instid0(SALU_CYCLE_1) | instskip(SKIP_1) | instid1(VALU_DEP_1)
	s_add_u32 s7, s7, s10
	s_addc_u32 s8, s9, s11
	v_add_co_u32 v12, s7, s7, v0
	s_delay_alu instid0(VALU_DEP_1) | instskip(SKIP_1) | instid1(SALU_CYCLE_1)
	v_add_co_ci_u32_e64 v13, null, s8, 0, s7
	s_and_saveexec_b32 s7, s0
	s_xor_b32 s0, exec_lo, s7
	s_cbranch_execz .LBB328_99
; %bb.98:
	flat_store_b32 v[12:13], v5
.LBB328_99:
	s_or_b32 exec_lo, exec_lo, s0
	s_and_saveexec_b32 s0, s1
	s_cbranch_execnz .LBB328_110
; %bb.100:
	s_or_b32 exec_lo, exec_lo, s0
	s_and_saveexec_b32 s0, s2
	s_cbranch_execnz .LBB328_111
.LBB328_101:
	s_or_b32 exec_lo, exec_lo, s0
	s_and_saveexec_b32 s0, s3
	s_cbranch_execnz .LBB328_112
.LBB328_102:
	s_or_b32 exec_lo, exec_lo, s0
	s_and_saveexec_b32 s0, s4
	s_cbranch_execnz .LBB328_113
.LBB328_103:
	s_or_b32 exec_lo, exec_lo, s0
	s_and_saveexec_b32 s0, s5
	s_cbranch_execnz .LBB328_114
.LBB328_104:
	s_or_b32 exec_lo, exec_lo, s0
	s_and_saveexec_b32 s0, s6
	s_cbranch_execz .LBB328_106
.LBB328_105:
	flat_store_b32 v[12:13], v11 offset:1536
.LBB328_106:
	s_or_b32 exec_lo, exec_lo, s0
.LBB328_107:
	s_and_saveexec_b32 s0, s14
	s_cbranch_execnz .LBB328_109
; %bb.108:
	s_endpgm
.LBB328_109:
	flat_store_b32 v[12:13], v9 offset:1792
	s_endpgm
.LBB328_110:
	flat_store_b32 v[12:13], v6 offset:256
	s_or_b32 exec_lo, exec_lo, s0
	s_and_saveexec_b32 s0, s2
	s_cbranch_execz .LBB328_101
.LBB328_111:
	flat_store_b32 v[12:13], v7 offset:512
	s_or_b32 exec_lo, exec_lo, s0
	s_and_saveexec_b32 s0, s3
	s_cbranch_execz .LBB328_102
.LBB328_112:
	s_waitcnt vmcnt(0) lgkmcnt(0)
	flat_store_b32 v[12:13], v1 offset:768
	s_or_b32 exec_lo, exec_lo, s0
	s_and_saveexec_b32 s0, s4
	s_cbranch_execz .LBB328_103
.LBB328_113:
	flat_store_b32 v[12:13], v8 offset:1024
	s_or_b32 exec_lo, exec_lo, s0
	s_and_saveexec_b32 s0, s5
	s_cbranch_execz .LBB328_104
.LBB328_114:
	s_waitcnt vmcnt(0) lgkmcnt(0)
	flat_store_b32 v[12:13], v2 offset:1280
	s_or_b32 exec_lo, exec_lo, s0
	s_and_saveexec_b32 s0, s6
	s_cbranch_execnz .LBB328_105
	s_branch .LBB328_106
	.section	.rodata,"a",@progbits
	.p2align	6, 0x0
	.amdhsa_kernel _ZN7rocprim17ROCPRIM_400000_NS6detail17trampoline_kernelINS0_14default_configENS1_27lower_bound_config_selectorIsiEEZNS1_14transform_implILb0ES3_S5_N6thrust23THRUST_200600_302600_NS6detail15normal_iteratorINS8_10device_ptrIsEEEENSA_INSB_IiEEEEZNS1_13binary_searchIS3_S5_SD_SD_SF_NS1_21lower_bound_search_opENS9_16wrapped_functionINS0_4lessIvEEbEEEE10hipError_tPvRmT1_T2_T3_mmT4_T5_P12ihipStream_tbEUlRKsE_EESM_SQ_SR_mSS_SV_bEUlT_E_NS1_11comp_targetILNS1_3genE9ELNS1_11target_archE1100ELNS1_3gpuE3ELNS1_3repE0EEENS1_30default_config_static_selectorELNS0_4arch9wavefront6targetE0EEEvSP_
		.amdhsa_group_segment_fixed_size 0
		.amdhsa_private_segment_fixed_size 0
		.amdhsa_kernarg_size 312
		.amdhsa_user_sgpr_count 15
		.amdhsa_user_sgpr_dispatch_ptr 0
		.amdhsa_user_sgpr_queue_ptr 0
		.amdhsa_user_sgpr_kernarg_segment_ptr 1
		.amdhsa_user_sgpr_dispatch_id 0
		.amdhsa_user_sgpr_private_segment_size 0
		.amdhsa_wavefront_size32 1
		.amdhsa_uses_dynamic_stack 0
		.amdhsa_enable_private_segment 0
		.amdhsa_system_sgpr_workgroup_id_x 1
		.amdhsa_system_sgpr_workgroup_id_y 0
		.amdhsa_system_sgpr_workgroup_id_z 0
		.amdhsa_system_sgpr_workgroup_info 0
		.amdhsa_system_vgpr_workitem_id 0
		.amdhsa_next_free_vgpr 19
		.amdhsa_next_free_sgpr 20
		.amdhsa_reserve_vcc 1
		.amdhsa_float_round_mode_32 0
		.amdhsa_float_round_mode_16_64 0
		.amdhsa_float_denorm_mode_32 3
		.amdhsa_float_denorm_mode_16_64 3
		.amdhsa_dx10_clamp 1
		.amdhsa_ieee_mode 1
		.amdhsa_fp16_overflow 0
		.amdhsa_workgroup_processor_mode 1
		.amdhsa_memory_ordered 1
		.amdhsa_forward_progress 0
		.amdhsa_shared_vgpr_count 0
		.amdhsa_exception_fp_ieee_invalid_op 0
		.amdhsa_exception_fp_denorm_src 0
		.amdhsa_exception_fp_ieee_div_zero 0
		.amdhsa_exception_fp_ieee_overflow 0
		.amdhsa_exception_fp_ieee_underflow 0
		.amdhsa_exception_fp_ieee_inexact 0
		.amdhsa_exception_int_div_zero 0
	.end_amdhsa_kernel
	.section	.text._ZN7rocprim17ROCPRIM_400000_NS6detail17trampoline_kernelINS0_14default_configENS1_27lower_bound_config_selectorIsiEEZNS1_14transform_implILb0ES3_S5_N6thrust23THRUST_200600_302600_NS6detail15normal_iteratorINS8_10device_ptrIsEEEENSA_INSB_IiEEEEZNS1_13binary_searchIS3_S5_SD_SD_SF_NS1_21lower_bound_search_opENS9_16wrapped_functionINS0_4lessIvEEbEEEE10hipError_tPvRmT1_T2_T3_mmT4_T5_P12ihipStream_tbEUlRKsE_EESM_SQ_SR_mSS_SV_bEUlT_E_NS1_11comp_targetILNS1_3genE9ELNS1_11target_archE1100ELNS1_3gpuE3ELNS1_3repE0EEENS1_30default_config_static_selectorELNS0_4arch9wavefront6targetE0EEEvSP_,"axG",@progbits,_ZN7rocprim17ROCPRIM_400000_NS6detail17trampoline_kernelINS0_14default_configENS1_27lower_bound_config_selectorIsiEEZNS1_14transform_implILb0ES3_S5_N6thrust23THRUST_200600_302600_NS6detail15normal_iteratorINS8_10device_ptrIsEEEENSA_INSB_IiEEEEZNS1_13binary_searchIS3_S5_SD_SD_SF_NS1_21lower_bound_search_opENS9_16wrapped_functionINS0_4lessIvEEbEEEE10hipError_tPvRmT1_T2_T3_mmT4_T5_P12ihipStream_tbEUlRKsE_EESM_SQ_SR_mSS_SV_bEUlT_E_NS1_11comp_targetILNS1_3genE9ELNS1_11target_archE1100ELNS1_3gpuE3ELNS1_3repE0EEENS1_30default_config_static_selectorELNS0_4arch9wavefront6targetE0EEEvSP_,comdat
.Lfunc_end328:
	.size	_ZN7rocprim17ROCPRIM_400000_NS6detail17trampoline_kernelINS0_14default_configENS1_27lower_bound_config_selectorIsiEEZNS1_14transform_implILb0ES3_S5_N6thrust23THRUST_200600_302600_NS6detail15normal_iteratorINS8_10device_ptrIsEEEENSA_INSB_IiEEEEZNS1_13binary_searchIS3_S5_SD_SD_SF_NS1_21lower_bound_search_opENS9_16wrapped_functionINS0_4lessIvEEbEEEE10hipError_tPvRmT1_T2_T3_mmT4_T5_P12ihipStream_tbEUlRKsE_EESM_SQ_SR_mSS_SV_bEUlT_E_NS1_11comp_targetILNS1_3genE9ELNS1_11target_archE1100ELNS1_3gpuE3ELNS1_3repE0EEENS1_30default_config_static_selectorELNS0_4arch9wavefront6targetE0EEEvSP_, .Lfunc_end328-_ZN7rocprim17ROCPRIM_400000_NS6detail17trampoline_kernelINS0_14default_configENS1_27lower_bound_config_selectorIsiEEZNS1_14transform_implILb0ES3_S5_N6thrust23THRUST_200600_302600_NS6detail15normal_iteratorINS8_10device_ptrIsEEEENSA_INSB_IiEEEEZNS1_13binary_searchIS3_S5_SD_SD_SF_NS1_21lower_bound_search_opENS9_16wrapped_functionINS0_4lessIvEEbEEEE10hipError_tPvRmT1_T2_T3_mmT4_T5_P12ihipStream_tbEUlRKsE_EESM_SQ_SR_mSS_SV_bEUlT_E_NS1_11comp_targetILNS1_3genE9ELNS1_11target_archE1100ELNS1_3gpuE3ELNS1_3repE0EEENS1_30default_config_static_selectorELNS0_4arch9wavefront6targetE0EEEvSP_
                                        ; -- End function
	.section	.AMDGPU.csdata,"",@progbits
; Kernel info:
; codeLenInByte = 4656
; NumSgprs: 22
; NumVgprs: 19
; ScratchSize: 0
; MemoryBound: 0
; FloatMode: 240
; IeeeMode: 1
; LDSByteSize: 0 bytes/workgroup (compile time only)
; SGPRBlocks: 2
; VGPRBlocks: 2
; NumSGPRsForWavesPerEU: 22
; NumVGPRsForWavesPerEU: 19
; Occupancy: 16
; WaveLimiterHint : 1
; COMPUTE_PGM_RSRC2:SCRATCH_EN: 0
; COMPUTE_PGM_RSRC2:USER_SGPR: 15
; COMPUTE_PGM_RSRC2:TRAP_HANDLER: 0
; COMPUTE_PGM_RSRC2:TGID_X_EN: 1
; COMPUTE_PGM_RSRC2:TGID_Y_EN: 0
; COMPUTE_PGM_RSRC2:TGID_Z_EN: 0
; COMPUTE_PGM_RSRC2:TIDIG_COMP_CNT: 0
	.section	.text._ZN7rocprim17ROCPRIM_400000_NS6detail17trampoline_kernelINS0_14default_configENS1_27lower_bound_config_selectorIsiEEZNS1_14transform_implILb0ES3_S5_N6thrust23THRUST_200600_302600_NS6detail15normal_iteratorINS8_10device_ptrIsEEEENSA_INSB_IiEEEEZNS1_13binary_searchIS3_S5_SD_SD_SF_NS1_21lower_bound_search_opENS9_16wrapped_functionINS0_4lessIvEEbEEEE10hipError_tPvRmT1_T2_T3_mmT4_T5_P12ihipStream_tbEUlRKsE_EESM_SQ_SR_mSS_SV_bEUlT_E_NS1_11comp_targetILNS1_3genE8ELNS1_11target_archE1030ELNS1_3gpuE2ELNS1_3repE0EEENS1_30default_config_static_selectorELNS0_4arch9wavefront6targetE0EEEvSP_,"axG",@progbits,_ZN7rocprim17ROCPRIM_400000_NS6detail17trampoline_kernelINS0_14default_configENS1_27lower_bound_config_selectorIsiEEZNS1_14transform_implILb0ES3_S5_N6thrust23THRUST_200600_302600_NS6detail15normal_iteratorINS8_10device_ptrIsEEEENSA_INSB_IiEEEEZNS1_13binary_searchIS3_S5_SD_SD_SF_NS1_21lower_bound_search_opENS9_16wrapped_functionINS0_4lessIvEEbEEEE10hipError_tPvRmT1_T2_T3_mmT4_T5_P12ihipStream_tbEUlRKsE_EESM_SQ_SR_mSS_SV_bEUlT_E_NS1_11comp_targetILNS1_3genE8ELNS1_11target_archE1030ELNS1_3gpuE2ELNS1_3repE0EEENS1_30default_config_static_selectorELNS0_4arch9wavefront6targetE0EEEvSP_,comdat
	.protected	_ZN7rocprim17ROCPRIM_400000_NS6detail17trampoline_kernelINS0_14default_configENS1_27lower_bound_config_selectorIsiEEZNS1_14transform_implILb0ES3_S5_N6thrust23THRUST_200600_302600_NS6detail15normal_iteratorINS8_10device_ptrIsEEEENSA_INSB_IiEEEEZNS1_13binary_searchIS3_S5_SD_SD_SF_NS1_21lower_bound_search_opENS9_16wrapped_functionINS0_4lessIvEEbEEEE10hipError_tPvRmT1_T2_T3_mmT4_T5_P12ihipStream_tbEUlRKsE_EESM_SQ_SR_mSS_SV_bEUlT_E_NS1_11comp_targetILNS1_3genE8ELNS1_11target_archE1030ELNS1_3gpuE2ELNS1_3repE0EEENS1_30default_config_static_selectorELNS0_4arch9wavefront6targetE0EEEvSP_ ; -- Begin function _ZN7rocprim17ROCPRIM_400000_NS6detail17trampoline_kernelINS0_14default_configENS1_27lower_bound_config_selectorIsiEEZNS1_14transform_implILb0ES3_S5_N6thrust23THRUST_200600_302600_NS6detail15normal_iteratorINS8_10device_ptrIsEEEENSA_INSB_IiEEEEZNS1_13binary_searchIS3_S5_SD_SD_SF_NS1_21lower_bound_search_opENS9_16wrapped_functionINS0_4lessIvEEbEEEE10hipError_tPvRmT1_T2_T3_mmT4_T5_P12ihipStream_tbEUlRKsE_EESM_SQ_SR_mSS_SV_bEUlT_E_NS1_11comp_targetILNS1_3genE8ELNS1_11target_archE1030ELNS1_3gpuE2ELNS1_3repE0EEENS1_30default_config_static_selectorELNS0_4arch9wavefront6targetE0EEEvSP_
	.globl	_ZN7rocprim17ROCPRIM_400000_NS6detail17trampoline_kernelINS0_14default_configENS1_27lower_bound_config_selectorIsiEEZNS1_14transform_implILb0ES3_S5_N6thrust23THRUST_200600_302600_NS6detail15normal_iteratorINS8_10device_ptrIsEEEENSA_INSB_IiEEEEZNS1_13binary_searchIS3_S5_SD_SD_SF_NS1_21lower_bound_search_opENS9_16wrapped_functionINS0_4lessIvEEbEEEE10hipError_tPvRmT1_T2_T3_mmT4_T5_P12ihipStream_tbEUlRKsE_EESM_SQ_SR_mSS_SV_bEUlT_E_NS1_11comp_targetILNS1_3genE8ELNS1_11target_archE1030ELNS1_3gpuE2ELNS1_3repE0EEENS1_30default_config_static_selectorELNS0_4arch9wavefront6targetE0EEEvSP_
	.p2align	8
	.type	_ZN7rocprim17ROCPRIM_400000_NS6detail17trampoline_kernelINS0_14default_configENS1_27lower_bound_config_selectorIsiEEZNS1_14transform_implILb0ES3_S5_N6thrust23THRUST_200600_302600_NS6detail15normal_iteratorINS8_10device_ptrIsEEEENSA_INSB_IiEEEEZNS1_13binary_searchIS3_S5_SD_SD_SF_NS1_21lower_bound_search_opENS9_16wrapped_functionINS0_4lessIvEEbEEEE10hipError_tPvRmT1_T2_T3_mmT4_T5_P12ihipStream_tbEUlRKsE_EESM_SQ_SR_mSS_SV_bEUlT_E_NS1_11comp_targetILNS1_3genE8ELNS1_11target_archE1030ELNS1_3gpuE2ELNS1_3repE0EEENS1_30default_config_static_selectorELNS0_4arch9wavefront6targetE0EEEvSP_,@function
_ZN7rocprim17ROCPRIM_400000_NS6detail17trampoline_kernelINS0_14default_configENS1_27lower_bound_config_selectorIsiEEZNS1_14transform_implILb0ES3_S5_N6thrust23THRUST_200600_302600_NS6detail15normal_iteratorINS8_10device_ptrIsEEEENSA_INSB_IiEEEEZNS1_13binary_searchIS3_S5_SD_SD_SF_NS1_21lower_bound_search_opENS9_16wrapped_functionINS0_4lessIvEEbEEEE10hipError_tPvRmT1_T2_T3_mmT4_T5_P12ihipStream_tbEUlRKsE_EESM_SQ_SR_mSS_SV_bEUlT_E_NS1_11comp_targetILNS1_3genE8ELNS1_11target_archE1030ELNS1_3gpuE2ELNS1_3repE0EEENS1_30default_config_static_selectorELNS0_4arch9wavefront6targetE0EEEvSP_: ; @_ZN7rocprim17ROCPRIM_400000_NS6detail17trampoline_kernelINS0_14default_configENS1_27lower_bound_config_selectorIsiEEZNS1_14transform_implILb0ES3_S5_N6thrust23THRUST_200600_302600_NS6detail15normal_iteratorINS8_10device_ptrIsEEEENSA_INSB_IiEEEEZNS1_13binary_searchIS3_S5_SD_SD_SF_NS1_21lower_bound_search_opENS9_16wrapped_functionINS0_4lessIvEEbEEEE10hipError_tPvRmT1_T2_T3_mmT4_T5_P12ihipStream_tbEUlRKsE_EESM_SQ_SR_mSS_SV_bEUlT_E_NS1_11comp_targetILNS1_3genE8ELNS1_11target_archE1030ELNS1_3gpuE2ELNS1_3repE0EEENS1_30default_config_static_selectorELNS0_4arch9wavefront6targetE0EEEvSP_
; %bb.0:
	.section	.rodata,"a",@progbits
	.p2align	6, 0x0
	.amdhsa_kernel _ZN7rocprim17ROCPRIM_400000_NS6detail17trampoline_kernelINS0_14default_configENS1_27lower_bound_config_selectorIsiEEZNS1_14transform_implILb0ES3_S5_N6thrust23THRUST_200600_302600_NS6detail15normal_iteratorINS8_10device_ptrIsEEEENSA_INSB_IiEEEEZNS1_13binary_searchIS3_S5_SD_SD_SF_NS1_21lower_bound_search_opENS9_16wrapped_functionINS0_4lessIvEEbEEEE10hipError_tPvRmT1_T2_T3_mmT4_T5_P12ihipStream_tbEUlRKsE_EESM_SQ_SR_mSS_SV_bEUlT_E_NS1_11comp_targetILNS1_3genE8ELNS1_11target_archE1030ELNS1_3gpuE2ELNS1_3repE0EEENS1_30default_config_static_selectorELNS0_4arch9wavefront6targetE0EEEvSP_
		.amdhsa_group_segment_fixed_size 0
		.amdhsa_private_segment_fixed_size 0
		.amdhsa_kernarg_size 56
		.amdhsa_user_sgpr_count 15
		.amdhsa_user_sgpr_dispatch_ptr 0
		.amdhsa_user_sgpr_queue_ptr 0
		.amdhsa_user_sgpr_kernarg_segment_ptr 1
		.amdhsa_user_sgpr_dispatch_id 0
		.amdhsa_user_sgpr_private_segment_size 0
		.amdhsa_wavefront_size32 1
		.amdhsa_uses_dynamic_stack 0
		.amdhsa_enable_private_segment 0
		.amdhsa_system_sgpr_workgroup_id_x 1
		.amdhsa_system_sgpr_workgroup_id_y 0
		.amdhsa_system_sgpr_workgroup_id_z 0
		.amdhsa_system_sgpr_workgroup_info 0
		.amdhsa_system_vgpr_workitem_id 0
		.amdhsa_next_free_vgpr 1
		.amdhsa_next_free_sgpr 1
		.amdhsa_reserve_vcc 0
		.amdhsa_float_round_mode_32 0
		.amdhsa_float_round_mode_16_64 0
		.amdhsa_float_denorm_mode_32 3
		.amdhsa_float_denorm_mode_16_64 3
		.amdhsa_dx10_clamp 1
		.amdhsa_ieee_mode 1
		.amdhsa_fp16_overflow 0
		.amdhsa_workgroup_processor_mode 1
		.amdhsa_memory_ordered 1
		.amdhsa_forward_progress 0
		.amdhsa_shared_vgpr_count 0
		.amdhsa_exception_fp_ieee_invalid_op 0
		.amdhsa_exception_fp_denorm_src 0
		.amdhsa_exception_fp_ieee_div_zero 0
		.amdhsa_exception_fp_ieee_overflow 0
		.amdhsa_exception_fp_ieee_underflow 0
		.amdhsa_exception_fp_ieee_inexact 0
		.amdhsa_exception_int_div_zero 0
	.end_amdhsa_kernel
	.section	.text._ZN7rocprim17ROCPRIM_400000_NS6detail17trampoline_kernelINS0_14default_configENS1_27lower_bound_config_selectorIsiEEZNS1_14transform_implILb0ES3_S5_N6thrust23THRUST_200600_302600_NS6detail15normal_iteratorINS8_10device_ptrIsEEEENSA_INSB_IiEEEEZNS1_13binary_searchIS3_S5_SD_SD_SF_NS1_21lower_bound_search_opENS9_16wrapped_functionINS0_4lessIvEEbEEEE10hipError_tPvRmT1_T2_T3_mmT4_T5_P12ihipStream_tbEUlRKsE_EESM_SQ_SR_mSS_SV_bEUlT_E_NS1_11comp_targetILNS1_3genE8ELNS1_11target_archE1030ELNS1_3gpuE2ELNS1_3repE0EEENS1_30default_config_static_selectorELNS0_4arch9wavefront6targetE0EEEvSP_,"axG",@progbits,_ZN7rocprim17ROCPRIM_400000_NS6detail17trampoline_kernelINS0_14default_configENS1_27lower_bound_config_selectorIsiEEZNS1_14transform_implILb0ES3_S5_N6thrust23THRUST_200600_302600_NS6detail15normal_iteratorINS8_10device_ptrIsEEEENSA_INSB_IiEEEEZNS1_13binary_searchIS3_S5_SD_SD_SF_NS1_21lower_bound_search_opENS9_16wrapped_functionINS0_4lessIvEEbEEEE10hipError_tPvRmT1_T2_T3_mmT4_T5_P12ihipStream_tbEUlRKsE_EESM_SQ_SR_mSS_SV_bEUlT_E_NS1_11comp_targetILNS1_3genE8ELNS1_11target_archE1030ELNS1_3gpuE2ELNS1_3repE0EEENS1_30default_config_static_selectorELNS0_4arch9wavefront6targetE0EEEvSP_,comdat
.Lfunc_end329:
	.size	_ZN7rocprim17ROCPRIM_400000_NS6detail17trampoline_kernelINS0_14default_configENS1_27lower_bound_config_selectorIsiEEZNS1_14transform_implILb0ES3_S5_N6thrust23THRUST_200600_302600_NS6detail15normal_iteratorINS8_10device_ptrIsEEEENSA_INSB_IiEEEEZNS1_13binary_searchIS3_S5_SD_SD_SF_NS1_21lower_bound_search_opENS9_16wrapped_functionINS0_4lessIvEEbEEEE10hipError_tPvRmT1_T2_T3_mmT4_T5_P12ihipStream_tbEUlRKsE_EESM_SQ_SR_mSS_SV_bEUlT_E_NS1_11comp_targetILNS1_3genE8ELNS1_11target_archE1030ELNS1_3gpuE2ELNS1_3repE0EEENS1_30default_config_static_selectorELNS0_4arch9wavefront6targetE0EEEvSP_, .Lfunc_end329-_ZN7rocprim17ROCPRIM_400000_NS6detail17trampoline_kernelINS0_14default_configENS1_27lower_bound_config_selectorIsiEEZNS1_14transform_implILb0ES3_S5_N6thrust23THRUST_200600_302600_NS6detail15normal_iteratorINS8_10device_ptrIsEEEENSA_INSB_IiEEEEZNS1_13binary_searchIS3_S5_SD_SD_SF_NS1_21lower_bound_search_opENS9_16wrapped_functionINS0_4lessIvEEbEEEE10hipError_tPvRmT1_T2_T3_mmT4_T5_P12ihipStream_tbEUlRKsE_EESM_SQ_SR_mSS_SV_bEUlT_E_NS1_11comp_targetILNS1_3genE8ELNS1_11target_archE1030ELNS1_3gpuE2ELNS1_3repE0EEENS1_30default_config_static_selectorELNS0_4arch9wavefront6targetE0EEEvSP_
                                        ; -- End function
	.section	.AMDGPU.csdata,"",@progbits
; Kernel info:
; codeLenInByte = 0
; NumSgprs: 0
; NumVgprs: 0
; ScratchSize: 0
; MemoryBound: 0
; FloatMode: 240
; IeeeMode: 1
; LDSByteSize: 0 bytes/workgroup (compile time only)
; SGPRBlocks: 0
; VGPRBlocks: 0
; NumSGPRsForWavesPerEU: 1
; NumVGPRsForWavesPerEU: 1
; Occupancy: 16
; WaveLimiterHint : 0
; COMPUTE_PGM_RSRC2:SCRATCH_EN: 0
; COMPUTE_PGM_RSRC2:USER_SGPR: 15
; COMPUTE_PGM_RSRC2:TRAP_HANDLER: 0
; COMPUTE_PGM_RSRC2:TGID_X_EN: 1
; COMPUTE_PGM_RSRC2:TGID_Y_EN: 0
; COMPUTE_PGM_RSRC2:TGID_Z_EN: 0
; COMPUTE_PGM_RSRC2:TIDIG_COMP_CNT: 0
	.section	.text._ZN7rocprim17ROCPRIM_400000_NS6detail17trampoline_kernelINS0_14default_configENS1_27upper_bound_config_selectorIdiEEZNS1_14transform_implILb0ES3_S5_N6thrust23THRUST_200600_302600_NS6detail15normal_iteratorINS8_10device_ptrIdEEEENSA_INSB_IiEEEEZNS1_13binary_searchIS3_S5_SD_SD_SF_NS1_21upper_bound_search_opENS9_16wrapped_functionINS0_4lessIvEEbEEEE10hipError_tPvRmT1_T2_T3_mmT4_T5_P12ihipStream_tbEUlRKdE_EESM_SQ_SR_mSS_SV_bEUlT_E_NS1_11comp_targetILNS1_3genE0ELNS1_11target_archE4294967295ELNS1_3gpuE0ELNS1_3repE0EEENS1_30default_config_static_selectorELNS0_4arch9wavefront6targetE0EEEvSP_,"axG",@progbits,_ZN7rocprim17ROCPRIM_400000_NS6detail17trampoline_kernelINS0_14default_configENS1_27upper_bound_config_selectorIdiEEZNS1_14transform_implILb0ES3_S5_N6thrust23THRUST_200600_302600_NS6detail15normal_iteratorINS8_10device_ptrIdEEEENSA_INSB_IiEEEEZNS1_13binary_searchIS3_S5_SD_SD_SF_NS1_21upper_bound_search_opENS9_16wrapped_functionINS0_4lessIvEEbEEEE10hipError_tPvRmT1_T2_T3_mmT4_T5_P12ihipStream_tbEUlRKdE_EESM_SQ_SR_mSS_SV_bEUlT_E_NS1_11comp_targetILNS1_3genE0ELNS1_11target_archE4294967295ELNS1_3gpuE0ELNS1_3repE0EEENS1_30default_config_static_selectorELNS0_4arch9wavefront6targetE0EEEvSP_,comdat
	.protected	_ZN7rocprim17ROCPRIM_400000_NS6detail17trampoline_kernelINS0_14default_configENS1_27upper_bound_config_selectorIdiEEZNS1_14transform_implILb0ES3_S5_N6thrust23THRUST_200600_302600_NS6detail15normal_iteratorINS8_10device_ptrIdEEEENSA_INSB_IiEEEEZNS1_13binary_searchIS3_S5_SD_SD_SF_NS1_21upper_bound_search_opENS9_16wrapped_functionINS0_4lessIvEEbEEEE10hipError_tPvRmT1_T2_T3_mmT4_T5_P12ihipStream_tbEUlRKdE_EESM_SQ_SR_mSS_SV_bEUlT_E_NS1_11comp_targetILNS1_3genE0ELNS1_11target_archE4294967295ELNS1_3gpuE0ELNS1_3repE0EEENS1_30default_config_static_selectorELNS0_4arch9wavefront6targetE0EEEvSP_ ; -- Begin function _ZN7rocprim17ROCPRIM_400000_NS6detail17trampoline_kernelINS0_14default_configENS1_27upper_bound_config_selectorIdiEEZNS1_14transform_implILb0ES3_S5_N6thrust23THRUST_200600_302600_NS6detail15normal_iteratorINS8_10device_ptrIdEEEENSA_INSB_IiEEEEZNS1_13binary_searchIS3_S5_SD_SD_SF_NS1_21upper_bound_search_opENS9_16wrapped_functionINS0_4lessIvEEbEEEE10hipError_tPvRmT1_T2_T3_mmT4_T5_P12ihipStream_tbEUlRKdE_EESM_SQ_SR_mSS_SV_bEUlT_E_NS1_11comp_targetILNS1_3genE0ELNS1_11target_archE4294967295ELNS1_3gpuE0ELNS1_3repE0EEENS1_30default_config_static_selectorELNS0_4arch9wavefront6targetE0EEEvSP_
	.globl	_ZN7rocprim17ROCPRIM_400000_NS6detail17trampoline_kernelINS0_14default_configENS1_27upper_bound_config_selectorIdiEEZNS1_14transform_implILb0ES3_S5_N6thrust23THRUST_200600_302600_NS6detail15normal_iteratorINS8_10device_ptrIdEEEENSA_INSB_IiEEEEZNS1_13binary_searchIS3_S5_SD_SD_SF_NS1_21upper_bound_search_opENS9_16wrapped_functionINS0_4lessIvEEbEEEE10hipError_tPvRmT1_T2_T3_mmT4_T5_P12ihipStream_tbEUlRKdE_EESM_SQ_SR_mSS_SV_bEUlT_E_NS1_11comp_targetILNS1_3genE0ELNS1_11target_archE4294967295ELNS1_3gpuE0ELNS1_3repE0EEENS1_30default_config_static_selectorELNS0_4arch9wavefront6targetE0EEEvSP_
	.p2align	8
	.type	_ZN7rocprim17ROCPRIM_400000_NS6detail17trampoline_kernelINS0_14default_configENS1_27upper_bound_config_selectorIdiEEZNS1_14transform_implILb0ES3_S5_N6thrust23THRUST_200600_302600_NS6detail15normal_iteratorINS8_10device_ptrIdEEEENSA_INSB_IiEEEEZNS1_13binary_searchIS3_S5_SD_SD_SF_NS1_21upper_bound_search_opENS9_16wrapped_functionINS0_4lessIvEEbEEEE10hipError_tPvRmT1_T2_T3_mmT4_T5_P12ihipStream_tbEUlRKdE_EESM_SQ_SR_mSS_SV_bEUlT_E_NS1_11comp_targetILNS1_3genE0ELNS1_11target_archE4294967295ELNS1_3gpuE0ELNS1_3repE0EEENS1_30default_config_static_selectorELNS0_4arch9wavefront6targetE0EEEvSP_,@function
_ZN7rocprim17ROCPRIM_400000_NS6detail17trampoline_kernelINS0_14default_configENS1_27upper_bound_config_selectorIdiEEZNS1_14transform_implILb0ES3_S5_N6thrust23THRUST_200600_302600_NS6detail15normal_iteratorINS8_10device_ptrIdEEEENSA_INSB_IiEEEEZNS1_13binary_searchIS3_S5_SD_SD_SF_NS1_21upper_bound_search_opENS9_16wrapped_functionINS0_4lessIvEEbEEEE10hipError_tPvRmT1_T2_T3_mmT4_T5_P12ihipStream_tbEUlRKdE_EESM_SQ_SR_mSS_SV_bEUlT_E_NS1_11comp_targetILNS1_3genE0ELNS1_11target_archE4294967295ELNS1_3gpuE0ELNS1_3repE0EEENS1_30default_config_static_selectorELNS0_4arch9wavefront6targetE0EEEvSP_: ; @_ZN7rocprim17ROCPRIM_400000_NS6detail17trampoline_kernelINS0_14default_configENS1_27upper_bound_config_selectorIdiEEZNS1_14transform_implILb0ES3_S5_N6thrust23THRUST_200600_302600_NS6detail15normal_iteratorINS8_10device_ptrIdEEEENSA_INSB_IiEEEEZNS1_13binary_searchIS3_S5_SD_SD_SF_NS1_21upper_bound_search_opENS9_16wrapped_functionINS0_4lessIvEEbEEEE10hipError_tPvRmT1_T2_T3_mmT4_T5_P12ihipStream_tbEUlRKdE_EESM_SQ_SR_mSS_SV_bEUlT_E_NS1_11comp_targetILNS1_3genE0ELNS1_11target_archE4294967295ELNS1_3gpuE0ELNS1_3repE0EEENS1_30default_config_static_selectorELNS0_4arch9wavefront6targetE0EEEvSP_
; %bb.0:
	.section	.rodata,"a",@progbits
	.p2align	6, 0x0
	.amdhsa_kernel _ZN7rocprim17ROCPRIM_400000_NS6detail17trampoline_kernelINS0_14default_configENS1_27upper_bound_config_selectorIdiEEZNS1_14transform_implILb0ES3_S5_N6thrust23THRUST_200600_302600_NS6detail15normal_iteratorINS8_10device_ptrIdEEEENSA_INSB_IiEEEEZNS1_13binary_searchIS3_S5_SD_SD_SF_NS1_21upper_bound_search_opENS9_16wrapped_functionINS0_4lessIvEEbEEEE10hipError_tPvRmT1_T2_T3_mmT4_T5_P12ihipStream_tbEUlRKdE_EESM_SQ_SR_mSS_SV_bEUlT_E_NS1_11comp_targetILNS1_3genE0ELNS1_11target_archE4294967295ELNS1_3gpuE0ELNS1_3repE0EEENS1_30default_config_static_selectorELNS0_4arch9wavefront6targetE0EEEvSP_
		.amdhsa_group_segment_fixed_size 0
		.amdhsa_private_segment_fixed_size 0
		.amdhsa_kernarg_size 56
		.amdhsa_user_sgpr_count 15
		.amdhsa_user_sgpr_dispatch_ptr 0
		.amdhsa_user_sgpr_queue_ptr 0
		.amdhsa_user_sgpr_kernarg_segment_ptr 1
		.amdhsa_user_sgpr_dispatch_id 0
		.amdhsa_user_sgpr_private_segment_size 0
		.amdhsa_wavefront_size32 1
		.amdhsa_uses_dynamic_stack 0
		.amdhsa_enable_private_segment 0
		.amdhsa_system_sgpr_workgroup_id_x 1
		.amdhsa_system_sgpr_workgroup_id_y 0
		.amdhsa_system_sgpr_workgroup_id_z 0
		.amdhsa_system_sgpr_workgroup_info 0
		.amdhsa_system_vgpr_workitem_id 0
		.amdhsa_next_free_vgpr 1
		.amdhsa_next_free_sgpr 1
		.amdhsa_reserve_vcc 0
		.amdhsa_float_round_mode_32 0
		.amdhsa_float_round_mode_16_64 0
		.amdhsa_float_denorm_mode_32 3
		.amdhsa_float_denorm_mode_16_64 3
		.amdhsa_dx10_clamp 1
		.amdhsa_ieee_mode 1
		.amdhsa_fp16_overflow 0
		.amdhsa_workgroup_processor_mode 1
		.amdhsa_memory_ordered 1
		.amdhsa_forward_progress 0
		.amdhsa_shared_vgpr_count 0
		.amdhsa_exception_fp_ieee_invalid_op 0
		.amdhsa_exception_fp_denorm_src 0
		.amdhsa_exception_fp_ieee_div_zero 0
		.amdhsa_exception_fp_ieee_overflow 0
		.amdhsa_exception_fp_ieee_underflow 0
		.amdhsa_exception_fp_ieee_inexact 0
		.amdhsa_exception_int_div_zero 0
	.end_amdhsa_kernel
	.section	.text._ZN7rocprim17ROCPRIM_400000_NS6detail17trampoline_kernelINS0_14default_configENS1_27upper_bound_config_selectorIdiEEZNS1_14transform_implILb0ES3_S5_N6thrust23THRUST_200600_302600_NS6detail15normal_iteratorINS8_10device_ptrIdEEEENSA_INSB_IiEEEEZNS1_13binary_searchIS3_S5_SD_SD_SF_NS1_21upper_bound_search_opENS9_16wrapped_functionINS0_4lessIvEEbEEEE10hipError_tPvRmT1_T2_T3_mmT4_T5_P12ihipStream_tbEUlRKdE_EESM_SQ_SR_mSS_SV_bEUlT_E_NS1_11comp_targetILNS1_3genE0ELNS1_11target_archE4294967295ELNS1_3gpuE0ELNS1_3repE0EEENS1_30default_config_static_selectorELNS0_4arch9wavefront6targetE0EEEvSP_,"axG",@progbits,_ZN7rocprim17ROCPRIM_400000_NS6detail17trampoline_kernelINS0_14default_configENS1_27upper_bound_config_selectorIdiEEZNS1_14transform_implILb0ES3_S5_N6thrust23THRUST_200600_302600_NS6detail15normal_iteratorINS8_10device_ptrIdEEEENSA_INSB_IiEEEEZNS1_13binary_searchIS3_S5_SD_SD_SF_NS1_21upper_bound_search_opENS9_16wrapped_functionINS0_4lessIvEEbEEEE10hipError_tPvRmT1_T2_T3_mmT4_T5_P12ihipStream_tbEUlRKdE_EESM_SQ_SR_mSS_SV_bEUlT_E_NS1_11comp_targetILNS1_3genE0ELNS1_11target_archE4294967295ELNS1_3gpuE0ELNS1_3repE0EEENS1_30default_config_static_selectorELNS0_4arch9wavefront6targetE0EEEvSP_,comdat
.Lfunc_end330:
	.size	_ZN7rocprim17ROCPRIM_400000_NS6detail17trampoline_kernelINS0_14default_configENS1_27upper_bound_config_selectorIdiEEZNS1_14transform_implILb0ES3_S5_N6thrust23THRUST_200600_302600_NS6detail15normal_iteratorINS8_10device_ptrIdEEEENSA_INSB_IiEEEEZNS1_13binary_searchIS3_S5_SD_SD_SF_NS1_21upper_bound_search_opENS9_16wrapped_functionINS0_4lessIvEEbEEEE10hipError_tPvRmT1_T2_T3_mmT4_T5_P12ihipStream_tbEUlRKdE_EESM_SQ_SR_mSS_SV_bEUlT_E_NS1_11comp_targetILNS1_3genE0ELNS1_11target_archE4294967295ELNS1_3gpuE0ELNS1_3repE0EEENS1_30default_config_static_selectorELNS0_4arch9wavefront6targetE0EEEvSP_, .Lfunc_end330-_ZN7rocprim17ROCPRIM_400000_NS6detail17trampoline_kernelINS0_14default_configENS1_27upper_bound_config_selectorIdiEEZNS1_14transform_implILb0ES3_S5_N6thrust23THRUST_200600_302600_NS6detail15normal_iteratorINS8_10device_ptrIdEEEENSA_INSB_IiEEEEZNS1_13binary_searchIS3_S5_SD_SD_SF_NS1_21upper_bound_search_opENS9_16wrapped_functionINS0_4lessIvEEbEEEE10hipError_tPvRmT1_T2_T3_mmT4_T5_P12ihipStream_tbEUlRKdE_EESM_SQ_SR_mSS_SV_bEUlT_E_NS1_11comp_targetILNS1_3genE0ELNS1_11target_archE4294967295ELNS1_3gpuE0ELNS1_3repE0EEENS1_30default_config_static_selectorELNS0_4arch9wavefront6targetE0EEEvSP_
                                        ; -- End function
	.section	.AMDGPU.csdata,"",@progbits
; Kernel info:
; codeLenInByte = 0
; NumSgprs: 0
; NumVgprs: 0
; ScratchSize: 0
; MemoryBound: 0
; FloatMode: 240
; IeeeMode: 1
; LDSByteSize: 0 bytes/workgroup (compile time only)
; SGPRBlocks: 0
; VGPRBlocks: 0
; NumSGPRsForWavesPerEU: 1
; NumVGPRsForWavesPerEU: 1
; Occupancy: 16
; WaveLimiterHint : 0
; COMPUTE_PGM_RSRC2:SCRATCH_EN: 0
; COMPUTE_PGM_RSRC2:USER_SGPR: 15
; COMPUTE_PGM_RSRC2:TRAP_HANDLER: 0
; COMPUTE_PGM_RSRC2:TGID_X_EN: 1
; COMPUTE_PGM_RSRC2:TGID_Y_EN: 0
; COMPUTE_PGM_RSRC2:TGID_Z_EN: 0
; COMPUTE_PGM_RSRC2:TIDIG_COMP_CNT: 0
	.section	.text._ZN7rocprim17ROCPRIM_400000_NS6detail17trampoline_kernelINS0_14default_configENS1_27upper_bound_config_selectorIdiEEZNS1_14transform_implILb0ES3_S5_N6thrust23THRUST_200600_302600_NS6detail15normal_iteratorINS8_10device_ptrIdEEEENSA_INSB_IiEEEEZNS1_13binary_searchIS3_S5_SD_SD_SF_NS1_21upper_bound_search_opENS9_16wrapped_functionINS0_4lessIvEEbEEEE10hipError_tPvRmT1_T2_T3_mmT4_T5_P12ihipStream_tbEUlRKdE_EESM_SQ_SR_mSS_SV_bEUlT_E_NS1_11comp_targetILNS1_3genE5ELNS1_11target_archE942ELNS1_3gpuE9ELNS1_3repE0EEENS1_30default_config_static_selectorELNS0_4arch9wavefront6targetE0EEEvSP_,"axG",@progbits,_ZN7rocprim17ROCPRIM_400000_NS6detail17trampoline_kernelINS0_14default_configENS1_27upper_bound_config_selectorIdiEEZNS1_14transform_implILb0ES3_S5_N6thrust23THRUST_200600_302600_NS6detail15normal_iteratorINS8_10device_ptrIdEEEENSA_INSB_IiEEEEZNS1_13binary_searchIS3_S5_SD_SD_SF_NS1_21upper_bound_search_opENS9_16wrapped_functionINS0_4lessIvEEbEEEE10hipError_tPvRmT1_T2_T3_mmT4_T5_P12ihipStream_tbEUlRKdE_EESM_SQ_SR_mSS_SV_bEUlT_E_NS1_11comp_targetILNS1_3genE5ELNS1_11target_archE942ELNS1_3gpuE9ELNS1_3repE0EEENS1_30default_config_static_selectorELNS0_4arch9wavefront6targetE0EEEvSP_,comdat
	.protected	_ZN7rocprim17ROCPRIM_400000_NS6detail17trampoline_kernelINS0_14default_configENS1_27upper_bound_config_selectorIdiEEZNS1_14transform_implILb0ES3_S5_N6thrust23THRUST_200600_302600_NS6detail15normal_iteratorINS8_10device_ptrIdEEEENSA_INSB_IiEEEEZNS1_13binary_searchIS3_S5_SD_SD_SF_NS1_21upper_bound_search_opENS9_16wrapped_functionINS0_4lessIvEEbEEEE10hipError_tPvRmT1_T2_T3_mmT4_T5_P12ihipStream_tbEUlRKdE_EESM_SQ_SR_mSS_SV_bEUlT_E_NS1_11comp_targetILNS1_3genE5ELNS1_11target_archE942ELNS1_3gpuE9ELNS1_3repE0EEENS1_30default_config_static_selectorELNS0_4arch9wavefront6targetE0EEEvSP_ ; -- Begin function _ZN7rocprim17ROCPRIM_400000_NS6detail17trampoline_kernelINS0_14default_configENS1_27upper_bound_config_selectorIdiEEZNS1_14transform_implILb0ES3_S5_N6thrust23THRUST_200600_302600_NS6detail15normal_iteratorINS8_10device_ptrIdEEEENSA_INSB_IiEEEEZNS1_13binary_searchIS3_S5_SD_SD_SF_NS1_21upper_bound_search_opENS9_16wrapped_functionINS0_4lessIvEEbEEEE10hipError_tPvRmT1_T2_T3_mmT4_T5_P12ihipStream_tbEUlRKdE_EESM_SQ_SR_mSS_SV_bEUlT_E_NS1_11comp_targetILNS1_3genE5ELNS1_11target_archE942ELNS1_3gpuE9ELNS1_3repE0EEENS1_30default_config_static_selectorELNS0_4arch9wavefront6targetE0EEEvSP_
	.globl	_ZN7rocprim17ROCPRIM_400000_NS6detail17trampoline_kernelINS0_14default_configENS1_27upper_bound_config_selectorIdiEEZNS1_14transform_implILb0ES3_S5_N6thrust23THRUST_200600_302600_NS6detail15normal_iteratorINS8_10device_ptrIdEEEENSA_INSB_IiEEEEZNS1_13binary_searchIS3_S5_SD_SD_SF_NS1_21upper_bound_search_opENS9_16wrapped_functionINS0_4lessIvEEbEEEE10hipError_tPvRmT1_T2_T3_mmT4_T5_P12ihipStream_tbEUlRKdE_EESM_SQ_SR_mSS_SV_bEUlT_E_NS1_11comp_targetILNS1_3genE5ELNS1_11target_archE942ELNS1_3gpuE9ELNS1_3repE0EEENS1_30default_config_static_selectorELNS0_4arch9wavefront6targetE0EEEvSP_
	.p2align	8
	.type	_ZN7rocprim17ROCPRIM_400000_NS6detail17trampoline_kernelINS0_14default_configENS1_27upper_bound_config_selectorIdiEEZNS1_14transform_implILb0ES3_S5_N6thrust23THRUST_200600_302600_NS6detail15normal_iteratorINS8_10device_ptrIdEEEENSA_INSB_IiEEEEZNS1_13binary_searchIS3_S5_SD_SD_SF_NS1_21upper_bound_search_opENS9_16wrapped_functionINS0_4lessIvEEbEEEE10hipError_tPvRmT1_T2_T3_mmT4_T5_P12ihipStream_tbEUlRKdE_EESM_SQ_SR_mSS_SV_bEUlT_E_NS1_11comp_targetILNS1_3genE5ELNS1_11target_archE942ELNS1_3gpuE9ELNS1_3repE0EEENS1_30default_config_static_selectorELNS0_4arch9wavefront6targetE0EEEvSP_,@function
_ZN7rocprim17ROCPRIM_400000_NS6detail17trampoline_kernelINS0_14default_configENS1_27upper_bound_config_selectorIdiEEZNS1_14transform_implILb0ES3_S5_N6thrust23THRUST_200600_302600_NS6detail15normal_iteratorINS8_10device_ptrIdEEEENSA_INSB_IiEEEEZNS1_13binary_searchIS3_S5_SD_SD_SF_NS1_21upper_bound_search_opENS9_16wrapped_functionINS0_4lessIvEEbEEEE10hipError_tPvRmT1_T2_T3_mmT4_T5_P12ihipStream_tbEUlRKdE_EESM_SQ_SR_mSS_SV_bEUlT_E_NS1_11comp_targetILNS1_3genE5ELNS1_11target_archE942ELNS1_3gpuE9ELNS1_3repE0EEENS1_30default_config_static_selectorELNS0_4arch9wavefront6targetE0EEEvSP_: ; @_ZN7rocprim17ROCPRIM_400000_NS6detail17trampoline_kernelINS0_14default_configENS1_27upper_bound_config_selectorIdiEEZNS1_14transform_implILb0ES3_S5_N6thrust23THRUST_200600_302600_NS6detail15normal_iteratorINS8_10device_ptrIdEEEENSA_INSB_IiEEEEZNS1_13binary_searchIS3_S5_SD_SD_SF_NS1_21upper_bound_search_opENS9_16wrapped_functionINS0_4lessIvEEbEEEE10hipError_tPvRmT1_T2_T3_mmT4_T5_P12ihipStream_tbEUlRKdE_EESM_SQ_SR_mSS_SV_bEUlT_E_NS1_11comp_targetILNS1_3genE5ELNS1_11target_archE942ELNS1_3gpuE9ELNS1_3repE0EEENS1_30default_config_static_selectorELNS0_4arch9wavefront6targetE0EEEvSP_
; %bb.0:
	.section	.rodata,"a",@progbits
	.p2align	6, 0x0
	.amdhsa_kernel _ZN7rocprim17ROCPRIM_400000_NS6detail17trampoline_kernelINS0_14default_configENS1_27upper_bound_config_selectorIdiEEZNS1_14transform_implILb0ES3_S5_N6thrust23THRUST_200600_302600_NS6detail15normal_iteratorINS8_10device_ptrIdEEEENSA_INSB_IiEEEEZNS1_13binary_searchIS3_S5_SD_SD_SF_NS1_21upper_bound_search_opENS9_16wrapped_functionINS0_4lessIvEEbEEEE10hipError_tPvRmT1_T2_T3_mmT4_T5_P12ihipStream_tbEUlRKdE_EESM_SQ_SR_mSS_SV_bEUlT_E_NS1_11comp_targetILNS1_3genE5ELNS1_11target_archE942ELNS1_3gpuE9ELNS1_3repE0EEENS1_30default_config_static_selectorELNS0_4arch9wavefront6targetE0EEEvSP_
		.amdhsa_group_segment_fixed_size 0
		.amdhsa_private_segment_fixed_size 0
		.amdhsa_kernarg_size 56
		.amdhsa_user_sgpr_count 15
		.amdhsa_user_sgpr_dispatch_ptr 0
		.amdhsa_user_sgpr_queue_ptr 0
		.amdhsa_user_sgpr_kernarg_segment_ptr 1
		.amdhsa_user_sgpr_dispatch_id 0
		.amdhsa_user_sgpr_private_segment_size 0
		.amdhsa_wavefront_size32 1
		.amdhsa_uses_dynamic_stack 0
		.amdhsa_enable_private_segment 0
		.amdhsa_system_sgpr_workgroup_id_x 1
		.amdhsa_system_sgpr_workgroup_id_y 0
		.amdhsa_system_sgpr_workgroup_id_z 0
		.amdhsa_system_sgpr_workgroup_info 0
		.amdhsa_system_vgpr_workitem_id 0
		.amdhsa_next_free_vgpr 1
		.amdhsa_next_free_sgpr 1
		.amdhsa_reserve_vcc 0
		.amdhsa_float_round_mode_32 0
		.amdhsa_float_round_mode_16_64 0
		.amdhsa_float_denorm_mode_32 3
		.amdhsa_float_denorm_mode_16_64 3
		.amdhsa_dx10_clamp 1
		.amdhsa_ieee_mode 1
		.amdhsa_fp16_overflow 0
		.amdhsa_workgroup_processor_mode 1
		.amdhsa_memory_ordered 1
		.amdhsa_forward_progress 0
		.amdhsa_shared_vgpr_count 0
		.amdhsa_exception_fp_ieee_invalid_op 0
		.amdhsa_exception_fp_denorm_src 0
		.amdhsa_exception_fp_ieee_div_zero 0
		.amdhsa_exception_fp_ieee_overflow 0
		.amdhsa_exception_fp_ieee_underflow 0
		.amdhsa_exception_fp_ieee_inexact 0
		.amdhsa_exception_int_div_zero 0
	.end_amdhsa_kernel
	.section	.text._ZN7rocprim17ROCPRIM_400000_NS6detail17trampoline_kernelINS0_14default_configENS1_27upper_bound_config_selectorIdiEEZNS1_14transform_implILb0ES3_S5_N6thrust23THRUST_200600_302600_NS6detail15normal_iteratorINS8_10device_ptrIdEEEENSA_INSB_IiEEEEZNS1_13binary_searchIS3_S5_SD_SD_SF_NS1_21upper_bound_search_opENS9_16wrapped_functionINS0_4lessIvEEbEEEE10hipError_tPvRmT1_T2_T3_mmT4_T5_P12ihipStream_tbEUlRKdE_EESM_SQ_SR_mSS_SV_bEUlT_E_NS1_11comp_targetILNS1_3genE5ELNS1_11target_archE942ELNS1_3gpuE9ELNS1_3repE0EEENS1_30default_config_static_selectorELNS0_4arch9wavefront6targetE0EEEvSP_,"axG",@progbits,_ZN7rocprim17ROCPRIM_400000_NS6detail17trampoline_kernelINS0_14default_configENS1_27upper_bound_config_selectorIdiEEZNS1_14transform_implILb0ES3_S5_N6thrust23THRUST_200600_302600_NS6detail15normal_iteratorINS8_10device_ptrIdEEEENSA_INSB_IiEEEEZNS1_13binary_searchIS3_S5_SD_SD_SF_NS1_21upper_bound_search_opENS9_16wrapped_functionINS0_4lessIvEEbEEEE10hipError_tPvRmT1_T2_T3_mmT4_T5_P12ihipStream_tbEUlRKdE_EESM_SQ_SR_mSS_SV_bEUlT_E_NS1_11comp_targetILNS1_3genE5ELNS1_11target_archE942ELNS1_3gpuE9ELNS1_3repE0EEENS1_30default_config_static_selectorELNS0_4arch9wavefront6targetE0EEEvSP_,comdat
.Lfunc_end331:
	.size	_ZN7rocprim17ROCPRIM_400000_NS6detail17trampoline_kernelINS0_14default_configENS1_27upper_bound_config_selectorIdiEEZNS1_14transform_implILb0ES3_S5_N6thrust23THRUST_200600_302600_NS6detail15normal_iteratorINS8_10device_ptrIdEEEENSA_INSB_IiEEEEZNS1_13binary_searchIS3_S5_SD_SD_SF_NS1_21upper_bound_search_opENS9_16wrapped_functionINS0_4lessIvEEbEEEE10hipError_tPvRmT1_T2_T3_mmT4_T5_P12ihipStream_tbEUlRKdE_EESM_SQ_SR_mSS_SV_bEUlT_E_NS1_11comp_targetILNS1_3genE5ELNS1_11target_archE942ELNS1_3gpuE9ELNS1_3repE0EEENS1_30default_config_static_selectorELNS0_4arch9wavefront6targetE0EEEvSP_, .Lfunc_end331-_ZN7rocprim17ROCPRIM_400000_NS6detail17trampoline_kernelINS0_14default_configENS1_27upper_bound_config_selectorIdiEEZNS1_14transform_implILb0ES3_S5_N6thrust23THRUST_200600_302600_NS6detail15normal_iteratorINS8_10device_ptrIdEEEENSA_INSB_IiEEEEZNS1_13binary_searchIS3_S5_SD_SD_SF_NS1_21upper_bound_search_opENS9_16wrapped_functionINS0_4lessIvEEbEEEE10hipError_tPvRmT1_T2_T3_mmT4_T5_P12ihipStream_tbEUlRKdE_EESM_SQ_SR_mSS_SV_bEUlT_E_NS1_11comp_targetILNS1_3genE5ELNS1_11target_archE942ELNS1_3gpuE9ELNS1_3repE0EEENS1_30default_config_static_selectorELNS0_4arch9wavefront6targetE0EEEvSP_
                                        ; -- End function
	.section	.AMDGPU.csdata,"",@progbits
; Kernel info:
; codeLenInByte = 0
; NumSgprs: 0
; NumVgprs: 0
; ScratchSize: 0
; MemoryBound: 0
; FloatMode: 240
; IeeeMode: 1
; LDSByteSize: 0 bytes/workgroup (compile time only)
; SGPRBlocks: 0
; VGPRBlocks: 0
; NumSGPRsForWavesPerEU: 1
; NumVGPRsForWavesPerEU: 1
; Occupancy: 16
; WaveLimiterHint : 0
; COMPUTE_PGM_RSRC2:SCRATCH_EN: 0
; COMPUTE_PGM_RSRC2:USER_SGPR: 15
; COMPUTE_PGM_RSRC2:TRAP_HANDLER: 0
; COMPUTE_PGM_RSRC2:TGID_X_EN: 1
; COMPUTE_PGM_RSRC2:TGID_Y_EN: 0
; COMPUTE_PGM_RSRC2:TGID_Z_EN: 0
; COMPUTE_PGM_RSRC2:TIDIG_COMP_CNT: 0
	.section	.text._ZN7rocprim17ROCPRIM_400000_NS6detail17trampoline_kernelINS0_14default_configENS1_27upper_bound_config_selectorIdiEEZNS1_14transform_implILb0ES3_S5_N6thrust23THRUST_200600_302600_NS6detail15normal_iteratorINS8_10device_ptrIdEEEENSA_INSB_IiEEEEZNS1_13binary_searchIS3_S5_SD_SD_SF_NS1_21upper_bound_search_opENS9_16wrapped_functionINS0_4lessIvEEbEEEE10hipError_tPvRmT1_T2_T3_mmT4_T5_P12ihipStream_tbEUlRKdE_EESM_SQ_SR_mSS_SV_bEUlT_E_NS1_11comp_targetILNS1_3genE4ELNS1_11target_archE910ELNS1_3gpuE8ELNS1_3repE0EEENS1_30default_config_static_selectorELNS0_4arch9wavefront6targetE0EEEvSP_,"axG",@progbits,_ZN7rocprim17ROCPRIM_400000_NS6detail17trampoline_kernelINS0_14default_configENS1_27upper_bound_config_selectorIdiEEZNS1_14transform_implILb0ES3_S5_N6thrust23THRUST_200600_302600_NS6detail15normal_iteratorINS8_10device_ptrIdEEEENSA_INSB_IiEEEEZNS1_13binary_searchIS3_S5_SD_SD_SF_NS1_21upper_bound_search_opENS9_16wrapped_functionINS0_4lessIvEEbEEEE10hipError_tPvRmT1_T2_T3_mmT4_T5_P12ihipStream_tbEUlRKdE_EESM_SQ_SR_mSS_SV_bEUlT_E_NS1_11comp_targetILNS1_3genE4ELNS1_11target_archE910ELNS1_3gpuE8ELNS1_3repE0EEENS1_30default_config_static_selectorELNS0_4arch9wavefront6targetE0EEEvSP_,comdat
	.protected	_ZN7rocprim17ROCPRIM_400000_NS6detail17trampoline_kernelINS0_14default_configENS1_27upper_bound_config_selectorIdiEEZNS1_14transform_implILb0ES3_S5_N6thrust23THRUST_200600_302600_NS6detail15normal_iteratorINS8_10device_ptrIdEEEENSA_INSB_IiEEEEZNS1_13binary_searchIS3_S5_SD_SD_SF_NS1_21upper_bound_search_opENS9_16wrapped_functionINS0_4lessIvEEbEEEE10hipError_tPvRmT1_T2_T3_mmT4_T5_P12ihipStream_tbEUlRKdE_EESM_SQ_SR_mSS_SV_bEUlT_E_NS1_11comp_targetILNS1_3genE4ELNS1_11target_archE910ELNS1_3gpuE8ELNS1_3repE0EEENS1_30default_config_static_selectorELNS0_4arch9wavefront6targetE0EEEvSP_ ; -- Begin function _ZN7rocprim17ROCPRIM_400000_NS6detail17trampoline_kernelINS0_14default_configENS1_27upper_bound_config_selectorIdiEEZNS1_14transform_implILb0ES3_S5_N6thrust23THRUST_200600_302600_NS6detail15normal_iteratorINS8_10device_ptrIdEEEENSA_INSB_IiEEEEZNS1_13binary_searchIS3_S5_SD_SD_SF_NS1_21upper_bound_search_opENS9_16wrapped_functionINS0_4lessIvEEbEEEE10hipError_tPvRmT1_T2_T3_mmT4_T5_P12ihipStream_tbEUlRKdE_EESM_SQ_SR_mSS_SV_bEUlT_E_NS1_11comp_targetILNS1_3genE4ELNS1_11target_archE910ELNS1_3gpuE8ELNS1_3repE0EEENS1_30default_config_static_selectorELNS0_4arch9wavefront6targetE0EEEvSP_
	.globl	_ZN7rocprim17ROCPRIM_400000_NS6detail17trampoline_kernelINS0_14default_configENS1_27upper_bound_config_selectorIdiEEZNS1_14transform_implILb0ES3_S5_N6thrust23THRUST_200600_302600_NS6detail15normal_iteratorINS8_10device_ptrIdEEEENSA_INSB_IiEEEEZNS1_13binary_searchIS3_S5_SD_SD_SF_NS1_21upper_bound_search_opENS9_16wrapped_functionINS0_4lessIvEEbEEEE10hipError_tPvRmT1_T2_T3_mmT4_T5_P12ihipStream_tbEUlRKdE_EESM_SQ_SR_mSS_SV_bEUlT_E_NS1_11comp_targetILNS1_3genE4ELNS1_11target_archE910ELNS1_3gpuE8ELNS1_3repE0EEENS1_30default_config_static_selectorELNS0_4arch9wavefront6targetE0EEEvSP_
	.p2align	8
	.type	_ZN7rocprim17ROCPRIM_400000_NS6detail17trampoline_kernelINS0_14default_configENS1_27upper_bound_config_selectorIdiEEZNS1_14transform_implILb0ES3_S5_N6thrust23THRUST_200600_302600_NS6detail15normal_iteratorINS8_10device_ptrIdEEEENSA_INSB_IiEEEEZNS1_13binary_searchIS3_S5_SD_SD_SF_NS1_21upper_bound_search_opENS9_16wrapped_functionINS0_4lessIvEEbEEEE10hipError_tPvRmT1_T2_T3_mmT4_T5_P12ihipStream_tbEUlRKdE_EESM_SQ_SR_mSS_SV_bEUlT_E_NS1_11comp_targetILNS1_3genE4ELNS1_11target_archE910ELNS1_3gpuE8ELNS1_3repE0EEENS1_30default_config_static_selectorELNS0_4arch9wavefront6targetE0EEEvSP_,@function
_ZN7rocprim17ROCPRIM_400000_NS6detail17trampoline_kernelINS0_14default_configENS1_27upper_bound_config_selectorIdiEEZNS1_14transform_implILb0ES3_S5_N6thrust23THRUST_200600_302600_NS6detail15normal_iteratorINS8_10device_ptrIdEEEENSA_INSB_IiEEEEZNS1_13binary_searchIS3_S5_SD_SD_SF_NS1_21upper_bound_search_opENS9_16wrapped_functionINS0_4lessIvEEbEEEE10hipError_tPvRmT1_T2_T3_mmT4_T5_P12ihipStream_tbEUlRKdE_EESM_SQ_SR_mSS_SV_bEUlT_E_NS1_11comp_targetILNS1_3genE4ELNS1_11target_archE910ELNS1_3gpuE8ELNS1_3repE0EEENS1_30default_config_static_selectorELNS0_4arch9wavefront6targetE0EEEvSP_: ; @_ZN7rocprim17ROCPRIM_400000_NS6detail17trampoline_kernelINS0_14default_configENS1_27upper_bound_config_selectorIdiEEZNS1_14transform_implILb0ES3_S5_N6thrust23THRUST_200600_302600_NS6detail15normal_iteratorINS8_10device_ptrIdEEEENSA_INSB_IiEEEEZNS1_13binary_searchIS3_S5_SD_SD_SF_NS1_21upper_bound_search_opENS9_16wrapped_functionINS0_4lessIvEEbEEEE10hipError_tPvRmT1_T2_T3_mmT4_T5_P12ihipStream_tbEUlRKdE_EESM_SQ_SR_mSS_SV_bEUlT_E_NS1_11comp_targetILNS1_3genE4ELNS1_11target_archE910ELNS1_3gpuE8ELNS1_3repE0EEENS1_30default_config_static_selectorELNS0_4arch9wavefront6targetE0EEEvSP_
; %bb.0:
	.section	.rodata,"a",@progbits
	.p2align	6, 0x0
	.amdhsa_kernel _ZN7rocprim17ROCPRIM_400000_NS6detail17trampoline_kernelINS0_14default_configENS1_27upper_bound_config_selectorIdiEEZNS1_14transform_implILb0ES3_S5_N6thrust23THRUST_200600_302600_NS6detail15normal_iteratorINS8_10device_ptrIdEEEENSA_INSB_IiEEEEZNS1_13binary_searchIS3_S5_SD_SD_SF_NS1_21upper_bound_search_opENS9_16wrapped_functionINS0_4lessIvEEbEEEE10hipError_tPvRmT1_T2_T3_mmT4_T5_P12ihipStream_tbEUlRKdE_EESM_SQ_SR_mSS_SV_bEUlT_E_NS1_11comp_targetILNS1_3genE4ELNS1_11target_archE910ELNS1_3gpuE8ELNS1_3repE0EEENS1_30default_config_static_selectorELNS0_4arch9wavefront6targetE0EEEvSP_
		.amdhsa_group_segment_fixed_size 0
		.amdhsa_private_segment_fixed_size 0
		.amdhsa_kernarg_size 56
		.amdhsa_user_sgpr_count 15
		.amdhsa_user_sgpr_dispatch_ptr 0
		.amdhsa_user_sgpr_queue_ptr 0
		.amdhsa_user_sgpr_kernarg_segment_ptr 1
		.amdhsa_user_sgpr_dispatch_id 0
		.amdhsa_user_sgpr_private_segment_size 0
		.amdhsa_wavefront_size32 1
		.amdhsa_uses_dynamic_stack 0
		.amdhsa_enable_private_segment 0
		.amdhsa_system_sgpr_workgroup_id_x 1
		.amdhsa_system_sgpr_workgroup_id_y 0
		.amdhsa_system_sgpr_workgroup_id_z 0
		.amdhsa_system_sgpr_workgroup_info 0
		.amdhsa_system_vgpr_workitem_id 0
		.amdhsa_next_free_vgpr 1
		.amdhsa_next_free_sgpr 1
		.amdhsa_reserve_vcc 0
		.amdhsa_float_round_mode_32 0
		.amdhsa_float_round_mode_16_64 0
		.amdhsa_float_denorm_mode_32 3
		.amdhsa_float_denorm_mode_16_64 3
		.amdhsa_dx10_clamp 1
		.amdhsa_ieee_mode 1
		.amdhsa_fp16_overflow 0
		.amdhsa_workgroup_processor_mode 1
		.amdhsa_memory_ordered 1
		.amdhsa_forward_progress 0
		.amdhsa_shared_vgpr_count 0
		.amdhsa_exception_fp_ieee_invalid_op 0
		.amdhsa_exception_fp_denorm_src 0
		.amdhsa_exception_fp_ieee_div_zero 0
		.amdhsa_exception_fp_ieee_overflow 0
		.amdhsa_exception_fp_ieee_underflow 0
		.amdhsa_exception_fp_ieee_inexact 0
		.amdhsa_exception_int_div_zero 0
	.end_amdhsa_kernel
	.section	.text._ZN7rocprim17ROCPRIM_400000_NS6detail17trampoline_kernelINS0_14default_configENS1_27upper_bound_config_selectorIdiEEZNS1_14transform_implILb0ES3_S5_N6thrust23THRUST_200600_302600_NS6detail15normal_iteratorINS8_10device_ptrIdEEEENSA_INSB_IiEEEEZNS1_13binary_searchIS3_S5_SD_SD_SF_NS1_21upper_bound_search_opENS9_16wrapped_functionINS0_4lessIvEEbEEEE10hipError_tPvRmT1_T2_T3_mmT4_T5_P12ihipStream_tbEUlRKdE_EESM_SQ_SR_mSS_SV_bEUlT_E_NS1_11comp_targetILNS1_3genE4ELNS1_11target_archE910ELNS1_3gpuE8ELNS1_3repE0EEENS1_30default_config_static_selectorELNS0_4arch9wavefront6targetE0EEEvSP_,"axG",@progbits,_ZN7rocprim17ROCPRIM_400000_NS6detail17trampoline_kernelINS0_14default_configENS1_27upper_bound_config_selectorIdiEEZNS1_14transform_implILb0ES3_S5_N6thrust23THRUST_200600_302600_NS6detail15normal_iteratorINS8_10device_ptrIdEEEENSA_INSB_IiEEEEZNS1_13binary_searchIS3_S5_SD_SD_SF_NS1_21upper_bound_search_opENS9_16wrapped_functionINS0_4lessIvEEbEEEE10hipError_tPvRmT1_T2_T3_mmT4_T5_P12ihipStream_tbEUlRKdE_EESM_SQ_SR_mSS_SV_bEUlT_E_NS1_11comp_targetILNS1_3genE4ELNS1_11target_archE910ELNS1_3gpuE8ELNS1_3repE0EEENS1_30default_config_static_selectorELNS0_4arch9wavefront6targetE0EEEvSP_,comdat
.Lfunc_end332:
	.size	_ZN7rocprim17ROCPRIM_400000_NS6detail17trampoline_kernelINS0_14default_configENS1_27upper_bound_config_selectorIdiEEZNS1_14transform_implILb0ES3_S5_N6thrust23THRUST_200600_302600_NS6detail15normal_iteratorINS8_10device_ptrIdEEEENSA_INSB_IiEEEEZNS1_13binary_searchIS3_S5_SD_SD_SF_NS1_21upper_bound_search_opENS9_16wrapped_functionINS0_4lessIvEEbEEEE10hipError_tPvRmT1_T2_T3_mmT4_T5_P12ihipStream_tbEUlRKdE_EESM_SQ_SR_mSS_SV_bEUlT_E_NS1_11comp_targetILNS1_3genE4ELNS1_11target_archE910ELNS1_3gpuE8ELNS1_3repE0EEENS1_30default_config_static_selectorELNS0_4arch9wavefront6targetE0EEEvSP_, .Lfunc_end332-_ZN7rocprim17ROCPRIM_400000_NS6detail17trampoline_kernelINS0_14default_configENS1_27upper_bound_config_selectorIdiEEZNS1_14transform_implILb0ES3_S5_N6thrust23THRUST_200600_302600_NS6detail15normal_iteratorINS8_10device_ptrIdEEEENSA_INSB_IiEEEEZNS1_13binary_searchIS3_S5_SD_SD_SF_NS1_21upper_bound_search_opENS9_16wrapped_functionINS0_4lessIvEEbEEEE10hipError_tPvRmT1_T2_T3_mmT4_T5_P12ihipStream_tbEUlRKdE_EESM_SQ_SR_mSS_SV_bEUlT_E_NS1_11comp_targetILNS1_3genE4ELNS1_11target_archE910ELNS1_3gpuE8ELNS1_3repE0EEENS1_30default_config_static_selectorELNS0_4arch9wavefront6targetE0EEEvSP_
                                        ; -- End function
	.section	.AMDGPU.csdata,"",@progbits
; Kernel info:
; codeLenInByte = 0
; NumSgprs: 0
; NumVgprs: 0
; ScratchSize: 0
; MemoryBound: 0
; FloatMode: 240
; IeeeMode: 1
; LDSByteSize: 0 bytes/workgroup (compile time only)
; SGPRBlocks: 0
; VGPRBlocks: 0
; NumSGPRsForWavesPerEU: 1
; NumVGPRsForWavesPerEU: 1
; Occupancy: 16
; WaveLimiterHint : 0
; COMPUTE_PGM_RSRC2:SCRATCH_EN: 0
; COMPUTE_PGM_RSRC2:USER_SGPR: 15
; COMPUTE_PGM_RSRC2:TRAP_HANDLER: 0
; COMPUTE_PGM_RSRC2:TGID_X_EN: 1
; COMPUTE_PGM_RSRC2:TGID_Y_EN: 0
; COMPUTE_PGM_RSRC2:TGID_Z_EN: 0
; COMPUTE_PGM_RSRC2:TIDIG_COMP_CNT: 0
	.section	.text._ZN7rocprim17ROCPRIM_400000_NS6detail17trampoline_kernelINS0_14default_configENS1_27upper_bound_config_selectorIdiEEZNS1_14transform_implILb0ES3_S5_N6thrust23THRUST_200600_302600_NS6detail15normal_iteratorINS8_10device_ptrIdEEEENSA_INSB_IiEEEEZNS1_13binary_searchIS3_S5_SD_SD_SF_NS1_21upper_bound_search_opENS9_16wrapped_functionINS0_4lessIvEEbEEEE10hipError_tPvRmT1_T2_T3_mmT4_T5_P12ihipStream_tbEUlRKdE_EESM_SQ_SR_mSS_SV_bEUlT_E_NS1_11comp_targetILNS1_3genE3ELNS1_11target_archE908ELNS1_3gpuE7ELNS1_3repE0EEENS1_30default_config_static_selectorELNS0_4arch9wavefront6targetE0EEEvSP_,"axG",@progbits,_ZN7rocprim17ROCPRIM_400000_NS6detail17trampoline_kernelINS0_14default_configENS1_27upper_bound_config_selectorIdiEEZNS1_14transform_implILb0ES3_S5_N6thrust23THRUST_200600_302600_NS6detail15normal_iteratorINS8_10device_ptrIdEEEENSA_INSB_IiEEEEZNS1_13binary_searchIS3_S5_SD_SD_SF_NS1_21upper_bound_search_opENS9_16wrapped_functionINS0_4lessIvEEbEEEE10hipError_tPvRmT1_T2_T3_mmT4_T5_P12ihipStream_tbEUlRKdE_EESM_SQ_SR_mSS_SV_bEUlT_E_NS1_11comp_targetILNS1_3genE3ELNS1_11target_archE908ELNS1_3gpuE7ELNS1_3repE0EEENS1_30default_config_static_selectorELNS0_4arch9wavefront6targetE0EEEvSP_,comdat
	.protected	_ZN7rocprim17ROCPRIM_400000_NS6detail17trampoline_kernelINS0_14default_configENS1_27upper_bound_config_selectorIdiEEZNS1_14transform_implILb0ES3_S5_N6thrust23THRUST_200600_302600_NS6detail15normal_iteratorINS8_10device_ptrIdEEEENSA_INSB_IiEEEEZNS1_13binary_searchIS3_S5_SD_SD_SF_NS1_21upper_bound_search_opENS9_16wrapped_functionINS0_4lessIvEEbEEEE10hipError_tPvRmT1_T2_T3_mmT4_T5_P12ihipStream_tbEUlRKdE_EESM_SQ_SR_mSS_SV_bEUlT_E_NS1_11comp_targetILNS1_3genE3ELNS1_11target_archE908ELNS1_3gpuE7ELNS1_3repE0EEENS1_30default_config_static_selectorELNS0_4arch9wavefront6targetE0EEEvSP_ ; -- Begin function _ZN7rocprim17ROCPRIM_400000_NS6detail17trampoline_kernelINS0_14default_configENS1_27upper_bound_config_selectorIdiEEZNS1_14transform_implILb0ES3_S5_N6thrust23THRUST_200600_302600_NS6detail15normal_iteratorINS8_10device_ptrIdEEEENSA_INSB_IiEEEEZNS1_13binary_searchIS3_S5_SD_SD_SF_NS1_21upper_bound_search_opENS9_16wrapped_functionINS0_4lessIvEEbEEEE10hipError_tPvRmT1_T2_T3_mmT4_T5_P12ihipStream_tbEUlRKdE_EESM_SQ_SR_mSS_SV_bEUlT_E_NS1_11comp_targetILNS1_3genE3ELNS1_11target_archE908ELNS1_3gpuE7ELNS1_3repE0EEENS1_30default_config_static_selectorELNS0_4arch9wavefront6targetE0EEEvSP_
	.globl	_ZN7rocprim17ROCPRIM_400000_NS6detail17trampoline_kernelINS0_14default_configENS1_27upper_bound_config_selectorIdiEEZNS1_14transform_implILb0ES3_S5_N6thrust23THRUST_200600_302600_NS6detail15normal_iteratorINS8_10device_ptrIdEEEENSA_INSB_IiEEEEZNS1_13binary_searchIS3_S5_SD_SD_SF_NS1_21upper_bound_search_opENS9_16wrapped_functionINS0_4lessIvEEbEEEE10hipError_tPvRmT1_T2_T3_mmT4_T5_P12ihipStream_tbEUlRKdE_EESM_SQ_SR_mSS_SV_bEUlT_E_NS1_11comp_targetILNS1_3genE3ELNS1_11target_archE908ELNS1_3gpuE7ELNS1_3repE0EEENS1_30default_config_static_selectorELNS0_4arch9wavefront6targetE0EEEvSP_
	.p2align	8
	.type	_ZN7rocprim17ROCPRIM_400000_NS6detail17trampoline_kernelINS0_14default_configENS1_27upper_bound_config_selectorIdiEEZNS1_14transform_implILb0ES3_S5_N6thrust23THRUST_200600_302600_NS6detail15normal_iteratorINS8_10device_ptrIdEEEENSA_INSB_IiEEEEZNS1_13binary_searchIS3_S5_SD_SD_SF_NS1_21upper_bound_search_opENS9_16wrapped_functionINS0_4lessIvEEbEEEE10hipError_tPvRmT1_T2_T3_mmT4_T5_P12ihipStream_tbEUlRKdE_EESM_SQ_SR_mSS_SV_bEUlT_E_NS1_11comp_targetILNS1_3genE3ELNS1_11target_archE908ELNS1_3gpuE7ELNS1_3repE0EEENS1_30default_config_static_selectorELNS0_4arch9wavefront6targetE0EEEvSP_,@function
_ZN7rocprim17ROCPRIM_400000_NS6detail17trampoline_kernelINS0_14default_configENS1_27upper_bound_config_selectorIdiEEZNS1_14transform_implILb0ES3_S5_N6thrust23THRUST_200600_302600_NS6detail15normal_iteratorINS8_10device_ptrIdEEEENSA_INSB_IiEEEEZNS1_13binary_searchIS3_S5_SD_SD_SF_NS1_21upper_bound_search_opENS9_16wrapped_functionINS0_4lessIvEEbEEEE10hipError_tPvRmT1_T2_T3_mmT4_T5_P12ihipStream_tbEUlRKdE_EESM_SQ_SR_mSS_SV_bEUlT_E_NS1_11comp_targetILNS1_3genE3ELNS1_11target_archE908ELNS1_3gpuE7ELNS1_3repE0EEENS1_30default_config_static_selectorELNS0_4arch9wavefront6targetE0EEEvSP_: ; @_ZN7rocprim17ROCPRIM_400000_NS6detail17trampoline_kernelINS0_14default_configENS1_27upper_bound_config_selectorIdiEEZNS1_14transform_implILb0ES3_S5_N6thrust23THRUST_200600_302600_NS6detail15normal_iteratorINS8_10device_ptrIdEEEENSA_INSB_IiEEEEZNS1_13binary_searchIS3_S5_SD_SD_SF_NS1_21upper_bound_search_opENS9_16wrapped_functionINS0_4lessIvEEbEEEE10hipError_tPvRmT1_T2_T3_mmT4_T5_P12ihipStream_tbEUlRKdE_EESM_SQ_SR_mSS_SV_bEUlT_E_NS1_11comp_targetILNS1_3genE3ELNS1_11target_archE908ELNS1_3gpuE7ELNS1_3repE0EEENS1_30default_config_static_selectorELNS0_4arch9wavefront6targetE0EEEvSP_
; %bb.0:
	.section	.rodata,"a",@progbits
	.p2align	6, 0x0
	.amdhsa_kernel _ZN7rocprim17ROCPRIM_400000_NS6detail17trampoline_kernelINS0_14default_configENS1_27upper_bound_config_selectorIdiEEZNS1_14transform_implILb0ES3_S5_N6thrust23THRUST_200600_302600_NS6detail15normal_iteratorINS8_10device_ptrIdEEEENSA_INSB_IiEEEEZNS1_13binary_searchIS3_S5_SD_SD_SF_NS1_21upper_bound_search_opENS9_16wrapped_functionINS0_4lessIvEEbEEEE10hipError_tPvRmT1_T2_T3_mmT4_T5_P12ihipStream_tbEUlRKdE_EESM_SQ_SR_mSS_SV_bEUlT_E_NS1_11comp_targetILNS1_3genE3ELNS1_11target_archE908ELNS1_3gpuE7ELNS1_3repE0EEENS1_30default_config_static_selectorELNS0_4arch9wavefront6targetE0EEEvSP_
		.amdhsa_group_segment_fixed_size 0
		.amdhsa_private_segment_fixed_size 0
		.amdhsa_kernarg_size 56
		.amdhsa_user_sgpr_count 15
		.amdhsa_user_sgpr_dispatch_ptr 0
		.amdhsa_user_sgpr_queue_ptr 0
		.amdhsa_user_sgpr_kernarg_segment_ptr 1
		.amdhsa_user_sgpr_dispatch_id 0
		.amdhsa_user_sgpr_private_segment_size 0
		.amdhsa_wavefront_size32 1
		.amdhsa_uses_dynamic_stack 0
		.amdhsa_enable_private_segment 0
		.amdhsa_system_sgpr_workgroup_id_x 1
		.amdhsa_system_sgpr_workgroup_id_y 0
		.amdhsa_system_sgpr_workgroup_id_z 0
		.amdhsa_system_sgpr_workgroup_info 0
		.amdhsa_system_vgpr_workitem_id 0
		.amdhsa_next_free_vgpr 1
		.amdhsa_next_free_sgpr 1
		.amdhsa_reserve_vcc 0
		.amdhsa_float_round_mode_32 0
		.amdhsa_float_round_mode_16_64 0
		.amdhsa_float_denorm_mode_32 3
		.amdhsa_float_denorm_mode_16_64 3
		.amdhsa_dx10_clamp 1
		.amdhsa_ieee_mode 1
		.amdhsa_fp16_overflow 0
		.amdhsa_workgroup_processor_mode 1
		.amdhsa_memory_ordered 1
		.amdhsa_forward_progress 0
		.amdhsa_shared_vgpr_count 0
		.amdhsa_exception_fp_ieee_invalid_op 0
		.amdhsa_exception_fp_denorm_src 0
		.amdhsa_exception_fp_ieee_div_zero 0
		.amdhsa_exception_fp_ieee_overflow 0
		.amdhsa_exception_fp_ieee_underflow 0
		.amdhsa_exception_fp_ieee_inexact 0
		.amdhsa_exception_int_div_zero 0
	.end_amdhsa_kernel
	.section	.text._ZN7rocprim17ROCPRIM_400000_NS6detail17trampoline_kernelINS0_14default_configENS1_27upper_bound_config_selectorIdiEEZNS1_14transform_implILb0ES3_S5_N6thrust23THRUST_200600_302600_NS6detail15normal_iteratorINS8_10device_ptrIdEEEENSA_INSB_IiEEEEZNS1_13binary_searchIS3_S5_SD_SD_SF_NS1_21upper_bound_search_opENS9_16wrapped_functionINS0_4lessIvEEbEEEE10hipError_tPvRmT1_T2_T3_mmT4_T5_P12ihipStream_tbEUlRKdE_EESM_SQ_SR_mSS_SV_bEUlT_E_NS1_11comp_targetILNS1_3genE3ELNS1_11target_archE908ELNS1_3gpuE7ELNS1_3repE0EEENS1_30default_config_static_selectorELNS0_4arch9wavefront6targetE0EEEvSP_,"axG",@progbits,_ZN7rocprim17ROCPRIM_400000_NS6detail17trampoline_kernelINS0_14default_configENS1_27upper_bound_config_selectorIdiEEZNS1_14transform_implILb0ES3_S5_N6thrust23THRUST_200600_302600_NS6detail15normal_iteratorINS8_10device_ptrIdEEEENSA_INSB_IiEEEEZNS1_13binary_searchIS3_S5_SD_SD_SF_NS1_21upper_bound_search_opENS9_16wrapped_functionINS0_4lessIvEEbEEEE10hipError_tPvRmT1_T2_T3_mmT4_T5_P12ihipStream_tbEUlRKdE_EESM_SQ_SR_mSS_SV_bEUlT_E_NS1_11comp_targetILNS1_3genE3ELNS1_11target_archE908ELNS1_3gpuE7ELNS1_3repE0EEENS1_30default_config_static_selectorELNS0_4arch9wavefront6targetE0EEEvSP_,comdat
.Lfunc_end333:
	.size	_ZN7rocprim17ROCPRIM_400000_NS6detail17trampoline_kernelINS0_14default_configENS1_27upper_bound_config_selectorIdiEEZNS1_14transform_implILb0ES3_S5_N6thrust23THRUST_200600_302600_NS6detail15normal_iteratorINS8_10device_ptrIdEEEENSA_INSB_IiEEEEZNS1_13binary_searchIS3_S5_SD_SD_SF_NS1_21upper_bound_search_opENS9_16wrapped_functionINS0_4lessIvEEbEEEE10hipError_tPvRmT1_T2_T3_mmT4_T5_P12ihipStream_tbEUlRKdE_EESM_SQ_SR_mSS_SV_bEUlT_E_NS1_11comp_targetILNS1_3genE3ELNS1_11target_archE908ELNS1_3gpuE7ELNS1_3repE0EEENS1_30default_config_static_selectorELNS0_4arch9wavefront6targetE0EEEvSP_, .Lfunc_end333-_ZN7rocprim17ROCPRIM_400000_NS6detail17trampoline_kernelINS0_14default_configENS1_27upper_bound_config_selectorIdiEEZNS1_14transform_implILb0ES3_S5_N6thrust23THRUST_200600_302600_NS6detail15normal_iteratorINS8_10device_ptrIdEEEENSA_INSB_IiEEEEZNS1_13binary_searchIS3_S5_SD_SD_SF_NS1_21upper_bound_search_opENS9_16wrapped_functionINS0_4lessIvEEbEEEE10hipError_tPvRmT1_T2_T3_mmT4_T5_P12ihipStream_tbEUlRKdE_EESM_SQ_SR_mSS_SV_bEUlT_E_NS1_11comp_targetILNS1_3genE3ELNS1_11target_archE908ELNS1_3gpuE7ELNS1_3repE0EEENS1_30default_config_static_selectorELNS0_4arch9wavefront6targetE0EEEvSP_
                                        ; -- End function
	.section	.AMDGPU.csdata,"",@progbits
; Kernel info:
; codeLenInByte = 0
; NumSgprs: 0
; NumVgprs: 0
; ScratchSize: 0
; MemoryBound: 0
; FloatMode: 240
; IeeeMode: 1
; LDSByteSize: 0 bytes/workgroup (compile time only)
; SGPRBlocks: 0
; VGPRBlocks: 0
; NumSGPRsForWavesPerEU: 1
; NumVGPRsForWavesPerEU: 1
; Occupancy: 16
; WaveLimiterHint : 0
; COMPUTE_PGM_RSRC2:SCRATCH_EN: 0
; COMPUTE_PGM_RSRC2:USER_SGPR: 15
; COMPUTE_PGM_RSRC2:TRAP_HANDLER: 0
; COMPUTE_PGM_RSRC2:TGID_X_EN: 1
; COMPUTE_PGM_RSRC2:TGID_Y_EN: 0
; COMPUTE_PGM_RSRC2:TGID_Z_EN: 0
; COMPUTE_PGM_RSRC2:TIDIG_COMP_CNT: 0
	.section	.text._ZN7rocprim17ROCPRIM_400000_NS6detail17trampoline_kernelINS0_14default_configENS1_27upper_bound_config_selectorIdiEEZNS1_14transform_implILb0ES3_S5_N6thrust23THRUST_200600_302600_NS6detail15normal_iteratorINS8_10device_ptrIdEEEENSA_INSB_IiEEEEZNS1_13binary_searchIS3_S5_SD_SD_SF_NS1_21upper_bound_search_opENS9_16wrapped_functionINS0_4lessIvEEbEEEE10hipError_tPvRmT1_T2_T3_mmT4_T5_P12ihipStream_tbEUlRKdE_EESM_SQ_SR_mSS_SV_bEUlT_E_NS1_11comp_targetILNS1_3genE2ELNS1_11target_archE906ELNS1_3gpuE6ELNS1_3repE0EEENS1_30default_config_static_selectorELNS0_4arch9wavefront6targetE0EEEvSP_,"axG",@progbits,_ZN7rocprim17ROCPRIM_400000_NS6detail17trampoline_kernelINS0_14default_configENS1_27upper_bound_config_selectorIdiEEZNS1_14transform_implILb0ES3_S5_N6thrust23THRUST_200600_302600_NS6detail15normal_iteratorINS8_10device_ptrIdEEEENSA_INSB_IiEEEEZNS1_13binary_searchIS3_S5_SD_SD_SF_NS1_21upper_bound_search_opENS9_16wrapped_functionINS0_4lessIvEEbEEEE10hipError_tPvRmT1_T2_T3_mmT4_T5_P12ihipStream_tbEUlRKdE_EESM_SQ_SR_mSS_SV_bEUlT_E_NS1_11comp_targetILNS1_3genE2ELNS1_11target_archE906ELNS1_3gpuE6ELNS1_3repE0EEENS1_30default_config_static_selectorELNS0_4arch9wavefront6targetE0EEEvSP_,comdat
	.protected	_ZN7rocprim17ROCPRIM_400000_NS6detail17trampoline_kernelINS0_14default_configENS1_27upper_bound_config_selectorIdiEEZNS1_14transform_implILb0ES3_S5_N6thrust23THRUST_200600_302600_NS6detail15normal_iteratorINS8_10device_ptrIdEEEENSA_INSB_IiEEEEZNS1_13binary_searchIS3_S5_SD_SD_SF_NS1_21upper_bound_search_opENS9_16wrapped_functionINS0_4lessIvEEbEEEE10hipError_tPvRmT1_T2_T3_mmT4_T5_P12ihipStream_tbEUlRKdE_EESM_SQ_SR_mSS_SV_bEUlT_E_NS1_11comp_targetILNS1_3genE2ELNS1_11target_archE906ELNS1_3gpuE6ELNS1_3repE0EEENS1_30default_config_static_selectorELNS0_4arch9wavefront6targetE0EEEvSP_ ; -- Begin function _ZN7rocprim17ROCPRIM_400000_NS6detail17trampoline_kernelINS0_14default_configENS1_27upper_bound_config_selectorIdiEEZNS1_14transform_implILb0ES3_S5_N6thrust23THRUST_200600_302600_NS6detail15normal_iteratorINS8_10device_ptrIdEEEENSA_INSB_IiEEEEZNS1_13binary_searchIS3_S5_SD_SD_SF_NS1_21upper_bound_search_opENS9_16wrapped_functionINS0_4lessIvEEbEEEE10hipError_tPvRmT1_T2_T3_mmT4_T5_P12ihipStream_tbEUlRKdE_EESM_SQ_SR_mSS_SV_bEUlT_E_NS1_11comp_targetILNS1_3genE2ELNS1_11target_archE906ELNS1_3gpuE6ELNS1_3repE0EEENS1_30default_config_static_selectorELNS0_4arch9wavefront6targetE0EEEvSP_
	.globl	_ZN7rocprim17ROCPRIM_400000_NS6detail17trampoline_kernelINS0_14default_configENS1_27upper_bound_config_selectorIdiEEZNS1_14transform_implILb0ES3_S5_N6thrust23THRUST_200600_302600_NS6detail15normal_iteratorINS8_10device_ptrIdEEEENSA_INSB_IiEEEEZNS1_13binary_searchIS3_S5_SD_SD_SF_NS1_21upper_bound_search_opENS9_16wrapped_functionINS0_4lessIvEEbEEEE10hipError_tPvRmT1_T2_T3_mmT4_T5_P12ihipStream_tbEUlRKdE_EESM_SQ_SR_mSS_SV_bEUlT_E_NS1_11comp_targetILNS1_3genE2ELNS1_11target_archE906ELNS1_3gpuE6ELNS1_3repE0EEENS1_30default_config_static_selectorELNS0_4arch9wavefront6targetE0EEEvSP_
	.p2align	8
	.type	_ZN7rocprim17ROCPRIM_400000_NS6detail17trampoline_kernelINS0_14default_configENS1_27upper_bound_config_selectorIdiEEZNS1_14transform_implILb0ES3_S5_N6thrust23THRUST_200600_302600_NS6detail15normal_iteratorINS8_10device_ptrIdEEEENSA_INSB_IiEEEEZNS1_13binary_searchIS3_S5_SD_SD_SF_NS1_21upper_bound_search_opENS9_16wrapped_functionINS0_4lessIvEEbEEEE10hipError_tPvRmT1_T2_T3_mmT4_T5_P12ihipStream_tbEUlRKdE_EESM_SQ_SR_mSS_SV_bEUlT_E_NS1_11comp_targetILNS1_3genE2ELNS1_11target_archE906ELNS1_3gpuE6ELNS1_3repE0EEENS1_30default_config_static_selectorELNS0_4arch9wavefront6targetE0EEEvSP_,@function
_ZN7rocprim17ROCPRIM_400000_NS6detail17trampoline_kernelINS0_14default_configENS1_27upper_bound_config_selectorIdiEEZNS1_14transform_implILb0ES3_S5_N6thrust23THRUST_200600_302600_NS6detail15normal_iteratorINS8_10device_ptrIdEEEENSA_INSB_IiEEEEZNS1_13binary_searchIS3_S5_SD_SD_SF_NS1_21upper_bound_search_opENS9_16wrapped_functionINS0_4lessIvEEbEEEE10hipError_tPvRmT1_T2_T3_mmT4_T5_P12ihipStream_tbEUlRKdE_EESM_SQ_SR_mSS_SV_bEUlT_E_NS1_11comp_targetILNS1_3genE2ELNS1_11target_archE906ELNS1_3gpuE6ELNS1_3repE0EEENS1_30default_config_static_selectorELNS0_4arch9wavefront6targetE0EEEvSP_: ; @_ZN7rocprim17ROCPRIM_400000_NS6detail17trampoline_kernelINS0_14default_configENS1_27upper_bound_config_selectorIdiEEZNS1_14transform_implILb0ES3_S5_N6thrust23THRUST_200600_302600_NS6detail15normal_iteratorINS8_10device_ptrIdEEEENSA_INSB_IiEEEEZNS1_13binary_searchIS3_S5_SD_SD_SF_NS1_21upper_bound_search_opENS9_16wrapped_functionINS0_4lessIvEEbEEEE10hipError_tPvRmT1_T2_T3_mmT4_T5_P12ihipStream_tbEUlRKdE_EESM_SQ_SR_mSS_SV_bEUlT_E_NS1_11comp_targetILNS1_3genE2ELNS1_11target_archE906ELNS1_3gpuE6ELNS1_3repE0EEENS1_30default_config_static_selectorELNS0_4arch9wavefront6targetE0EEEvSP_
; %bb.0:
	.section	.rodata,"a",@progbits
	.p2align	6, 0x0
	.amdhsa_kernel _ZN7rocprim17ROCPRIM_400000_NS6detail17trampoline_kernelINS0_14default_configENS1_27upper_bound_config_selectorIdiEEZNS1_14transform_implILb0ES3_S5_N6thrust23THRUST_200600_302600_NS6detail15normal_iteratorINS8_10device_ptrIdEEEENSA_INSB_IiEEEEZNS1_13binary_searchIS3_S5_SD_SD_SF_NS1_21upper_bound_search_opENS9_16wrapped_functionINS0_4lessIvEEbEEEE10hipError_tPvRmT1_T2_T3_mmT4_T5_P12ihipStream_tbEUlRKdE_EESM_SQ_SR_mSS_SV_bEUlT_E_NS1_11comp_targetILNS1_3genE2ELNS1_11target_archE906ELNS1_3gpuE6ELNS1_3repE0EEENS1_30default_config_static_selectorELNS0_4arch9wavefront6targetE0EEEvSP_
		.amdhsa_group_segment_fixed_size 0
		.amdhsa_private_segment_fixed_size 0
		.amdhsa_kernarg_size 56
		.amdhsa_user_sgpr_count 15
		.amdhsa_user_sgpr_dispatch_ptr 0
		.amdhsa_user_sgpr_queue_ptr 0
		.amdhsa_user_sgpr_kernarg_segment_ptr 1
		.amdhsa_user_sgpr_dispatch_id 0
		.amdhsa_user_sgpr_private_segment_size 0
		.amdhsa_wavefront_size32 1
		.amdhsa_uses_dynamic_stack 0
		.amdhsa_enable_private_segment 0
		.amdhsa_system_sgpr_workgroup_id_x 1
		.amdhsa_system_sgpr_workgroup_id_y 0
		.amdhsa_system_sgpr_workgroup_id_z 0
		.amdhsa_system_sgpr_workgroup_info 0
		.amdhsa_system_vgpr_workitem_id 0
		.amdhsa_next_free_vgpr 1
		.amdhsa_next_free_sgpr 1
		.amdhsa_reserve_vcc 0
		.amdhsa_float_round_mode_32 0
		.amdhsa_float_round_mode_16_64 0
		.amdhsa_float_denorm_mode_32 3
		.amdhsa_float_denorm_mode_16_64 3
		.amdhsa_dx10_clamp 1
		.amdhsa_ieee_mode 1
		.amdhsa_fp16_overflow 0
		.amdhsa_workgroup_processor_mode 1
		.amdhsa_memory_ordered 1
		.amdhsa_forward_progress 0
		.amdhsa_shared_vgpr_count 0
		.amdhsa_exception_fp_ieee_invalid_op 0
		.amdhsa_exception_fp_denorm_src 0
		.amdhsa_exception_fp_ieee_div_zero 0
		.amdhsa_exception_fp_ieee_overflow 0
		.amdhsa_exception_fp_ieee_underflow 0
		.amdhsa_exception_fp_ieee_inexact 0
		.amdhsa_exception_int_div_zero 0
	.end_amdhsa_kernel
	.section	.text._ZN7rocprim17ROCPRIM_400000_NS6detail17trampoline_kernelINS0_14default_configENS1_27upper_bound_config_selectorIdiEEZNS1_14transform_implILb0ES3_S5_N6thrust23THRUST_200600_302600_NS6detail15normal_iteratorINS8_10device_ptrIdEEEENSA_INSB_IiEEEEZNS1_13binary_searchIS3_S5_SD_SD_SF_NS1_21upper_bound_search_opENS9_16wrapped_functionINS0_4lessIvEEbEEEE10hipError_tPvRmT1_T2_T3_mmT4_T5_P12ihipStream_tbEUlRKdE_EESM_SQ_SR_mSS_SV_bEUlT_E_NS1_11comp_targetILNS1_3genE2ELNS1_11target_archE906ELNS1_3gpuE6ELNS1_3repE0EEENS1_30default_config_static_selectorELNS0_4arch9wavefront6targetE0EEEvSP_,"axG",@progbits,_ZN7rocprim17ROCPRIM_400000_NS6detail17trampoline_kernelINS0_14default_configENS1_27upper_bound_config_selectorIdiEEZNS1_14transform_implILb0ES3_S5_N6thrust23THRUST_200600_302600_NS6detail15normal_iteratorINS8_10device_ptrIdEEEENSA_INSB_IiEEEEZNS1_13binary_searchIS3_S5_SD_SD_SF_NS1_21upper_bound_search_opENS9_16wrapped_functionINS0_4lessIvEEbEEEE10hipError_tPvRmT1_T2_T3_mmT4_T5_P12ihipStream_tbEUlRKdE_EESM_SQ_SR_mSS_SV_bEUlT_E_NS1_11comp_targetILNS1_3genE2ELNS1_11target_archE906ELNS1_3gpuE6ELNS1_3repE0EEENS1_30default_config_static_selectorELNS0_4arch9wavefront6targetE0EEEvSP_,comdat
.Lfunc_end334:
	.size	_ZN7rocprim17ROCPRIM_400000_NS6detail17trampoline_kernelINS0_14default_configENS1_27upper_bound_config_selectorIdiEEZNS1_14transform_implILb0ES3_S5_N6thrust23THRUST_200600_302600_NS6detail15normal_iteratorINS8_10device_ptrIdEEEENSA_INSB_IiEEEEZNS1_13binary_searchIS3_S5_SD_SD_SF_NS1_21upper_bound_search_opENS9_16wrapped_functionINS0_4lessIvEEbEEEE10hipError_tPvRmT1_T2_T3_mmT4_T5_P12ihipStream_tbEUlRKdE_EESM_SQ_SR_mSS_SV_bEUlT_E_NS1_11comp_targetILNS1_3genE2ELNS1_11target_archE906ELNS1_3gpuE6ELNS1_3repE0EEENS1_30default_config_static_selectorELNS0_4arch9wavefront6targetE0EEEvSP_, .Lfunc_end334-_ZN7rocprim17ROCPRIM_400000_NS6detail17trampoline_kernelINS0_14default_configENS1_27upper_bound_config_selectorIdiEEZNS1_14transform_implILb0ES3_S5_N6thrust23THRUST_200600_302600_NS6detail15normal_iteratorINS8_10device_ptrIdEEEENSA_INSB_IiEEEEZNS1_13binary_searchIS3_S5_SD_SD_SF_NS1_21upper_bound_search_opENS9_16wrapped_functionINS0_4lessIvEEbEEEE10hipError_tPvRmT1_T2_T3_mmT4_T5_P12ihipStream_tbEUlRKdE_EESM_SQ_SR_mSS_SV_bEUlT_E_NS1_11comp_targetILNS1_3genE2ELNS1_11target_archE906ELNS1_3gpuE6ELNS1_3repE0EEENS1_30default_config_static_selectorELNS0_4arch9wavefront6targetE0EEEvSP_
                                        ; -- End function
	.section	.AMDGPU.csdata,"",@progbits
; Kernel info:
; codeLenInByte = 0
; NumSgprs: 0
; NumVgprs: 0
; ScratchSize: 0
; MemoryBound: 0
; FloatMode: 240
; IeeeMode: 1
; LDSByteSize: 0 bytes/workgroup (compile time only)
; SGPRBlocks: 0
; VGPRBlocks: 0
; NumSGPRsForWavesPerEU: 1
; NumVGPRsForWavesPerEU: 1
; Occupancy: 16
; WaveLimiterHint : 0
; COMPUTE_PGM_RSRC2:SCRATCH_EN: 0
; COMPUTE_PGM_RSRC2:USER_SGPR: 15
; COMPUTE_PGM_RSRC2:TRAP_HANDLER: 0
; COMPUTE_PGM_RSRC2:TGID_X_EN: 1
; COMPUTE_PGM_RSRC2:TGID_Y_EN: 0
; COMPUTE_PGM_RSRC2:TGID_Z_EN: 0
; COMPUTE_PGM_RSRC2:TIDIG_COMP_CNT: 0
	.section	.text._ZN7rocprim17ROCPRIM_400000_NS6detail17trampoline_kernelINS0_14default_configENS1_27upper_bound_config_selectorIdiEEZNS1_14transform_implILb0ES3_S5_N6thrust23THRUST_200600_302600_NS6detail15normal_iteratorINS8_10device_ptrIdEEEENSA_INSB_IiEEEEZNS1_13binary_searchIS3_S5_SD_SD_SF_NS1_21upper_bound_search_opENS9_16wrapped_functionINS0_4lessIvEEbEEEE10hipError_tPvRmT1_T2_T3_mmT4_T5_P12ihipStream_tbEUlRKdE_EESM_SQ_SR_mSS_SV_bEUlT_E_NS1_11comp_targetILNS1_3genE10ELNS1_11target_archE1201ELNS1_3gpuE5ELNS1_3repE0EEENS1_30default_config_static_selectorELNS0_4arch9wavefront6targetE0EEEvSP_,"axG",@progbits,_ZN7rocprim17ROCPRIM_400000_NS6detail17trampoline_kernelINS0_14default_configENS1_27upper_bound_config_selectorIdiEEZNS1_14transform_implILb0ES3_S5_N6thrust23THRUST_200600_302600_NS6detail15normal_iteratorINS8_10device_ptrIdEEEENSA_INSB_IiEEEEZNS1_13binary_searchIS3_S5_SD_SD_SF_NS1_21upper_bound_search_opENS9_16wrapped_functionINS0_4lessIvEEbEEEE10hipError_tPvRmT1_T2_T3_mmT4_T5_P12ihipStream_tbEUlRKdE_EESM_SQ_SR_mSS_SV_bEUlT_E_NS1_11comp_targetILNS1_3genE10ELNS1_11target_archE1201ELNS1_3gpuE5ELNS1_3repE0EEENS1_30default_config_static_selectorELNS0_4arch9wavefront6targetE0EEEvSP_,comdat
	.protected	_ZN7rocprim17ROCPRIM_400000_NS6detail17trampoline_kernelINS0_14default_configENS1_27upper_bound_config_selectorIdiEEZNS1_14transform_implILb0ES3_S5_N6thrust23THRUST_200600_302600_NS6detail15normal_iteratorINS8_10device_ptrIdEEEENSA_INSB_IiEEEEZNS1_13binary_searchIS3_S5_SD_SD_SF_NS1_21upper_bound_search_opENS9_16wrapped_functionINS0_4lessIvEEbEEEE10hipError_tPvRmT1_T2_T3_mmT4_T5_P12ihipStream_tbEUlRKdE_EESM_SQ_SR_mSS_SV_bEUlT_E_NS1_11comp_targetILNS1_3genE10ELNS1_11target_archE1201ELNS1_3gpuE5ELNS1_3repE0EEENS1_30default_config_static_selectorELNS0_4arch9wavefront6targetE0EEEvSP_ ; -- Begin function _ZN7rocprim17ROCPRIM_400000_NS6detail17trampoline_kernelINS0_14default_configENS1_27upper_bound_config_selectorIdiEEZNS1_14transform_implILb0ES3_S5_N6thrust23THRUST_200600_302600_NS6detail15normal_iteratorINS8_10device_ptrIdEEEENSA_INSB_IiEEEEZNS1_13binary_searchIS3_S5_SD_SD_SF_NS1_21upper_bound_search_opENS9_16wrapped_functionINS0_4lessIvEEbEEEE10hipError_tPvRmT1_T2_T3_mmT4_T5_P12ihipStream_tbEUlRKdE_EESM_SQ_SR_mSS_SV_bEUlT_E_NS1_11comp_targetILNS1_3genE10ELNS1_11target_archE1201ELNS1_3gpuE5ELNS1_3repE0EEENS1_30default_config_static_selectorELNS0_4arch9wavefront6targetE0EEEvSP_
	.globl	_ZN7rocprim17ROCPRIM_400000_NS6detail17trampoline_kernelINS0_14default_configENS1_27upper_bound_config_selectorIdiEEZNS1_14transform_implILb0ES3_S5_N6thrust23THRUST_200600_302600_NS6detail15normal_iteratorINS8_10device_ptrIdEEEENSA_INSB_IiEEEEZNS1_13binary_searchIS3_S5_SD_SD_SF_NS1_21upper_bound_search_opENS9_16wrapped_functionINS0_4lessIvEEbEEEE10hipError_tPvRmT1_T2_T3_mmT4_T5_P12ihipStream_tbEUlRKdE_EESM_SQ_SR_mSS_SV_bEUlT_E_NS1_11comp_targetILNS1_3genE10ELNS1_11target_archE1201ELNS1_3gpuE5ELNS1_3repE0EEENS1_30default_config_static_selectorELNS0_4arch9wavefront6targetE0EEEvSP_
	.p2align	8
	.type	_ZN7rocprim17ROCPRIM_400000_NS6detail17trampoline_kernelINS0_14default_configENS1_27upper_bound_config_selectorIdiEEZNS1_14transform_implILb0ES3_S5_N6thrust23THRUST_200600_302600_NS6detail15normal_iteratorINS8_10device_ptrIdEEEENSA_INSB_IiEEEEZNS1_13binary_searchIS3_S5_SD_SD_SF_NS1_21upper_bound_search_opENS9_16wrapped_functionINS0_4lessIvEEbEEEE10hipError_tPvRmT1_T2_T3_mmT4_T5_P12ihipStream_tbEUlRKdE_EESM_SQ_SR_mSS_SV_bEUlT_E_NS1_11comp_targetILNS1_3genE10ELNS1_11target_archE1201ELNS1_3gpuE5ELNS1_3repE0EEENS1_30default_config_static_selectorELNS0_4arch9wavefront6targetE0EEEvSP_,@function
_ZN7rocprim17ROCPRIM_400000_NS6detail17trampoline_kernelINS0_14default_configENS1_27upper_bound_config_selectorIdiEEZNS1_14transform_implILb0ES3_S5_N6thrust23THRUST_200600_302600_NS6detail15normal_iteratorINS8_10device_ptrIdEEEENSA_INSB_IiEEEEZNS1_13binary_searchIS3_S5_SD_SD_SF_NS1_21upper_bound_search_opENS9_16wrapped_functionINS0_4lessIvEEbEEEE10hipError_tPvRmT1_T2_T3_mmT4_T5_P12ihipStream_tbEUlRKdE_EESM_SQ_SR_mSS_SV_bEUlT_E_NS1_11comp_targetILNS1_3genE10ELNS1_11target_archE1201ELNS1_3gpuE5ELNS1_3repE0EEENS1_30default_config_static_selectorELNS0_4arch9wavefront6targetE0EEEvSP_: ; @_ZN7rocprim17ROCPRIM_400000_NS6detail17trampoline_kernelINS0_14default_configENS1_27upper_bound_config_selectorIdiEEZNS1_14transform_implILb0ES3_S5_N6thrust23THRUST_200600_302600_NS6detail15normal_iteratorINS8_10device_ptrIdEEEENSA_INSB_IiEEEEZNS1_13binary_searchIS3_S5_SD_SD_SF_NS1_21upper_bound_search_opENS9_16wrapped_functionINS0_4lessIvEEbEEEE10hipError_tPvRmT1_T2_T3_mmT4_T5_P12ihipStream_tbEUlRKdE_EESM_SQ_SR_mSS_SV_bEUlT_E_NS1_11comp_targetILNS1_3genE10ELNS1_11target_archE1201ELNS1_3gpuE5ELNS1_3repE0EEENS1_30default_config_static_selectorELNS0_4arch9wavefront6targetE0EEEvSP_
; %bb.0:
	.section	.rodata,"a",@progbits
	.p2align	6, 0x0
	.amdhsa_kernel _ZN7rocprim17ROCPRIM_400000_NS6detail17trampoline_kernelINS0_14default_configENS1_27upper_bound_config_selectorIdiEEZNS1_14transform_implILb0ES3_S5_N6thrust23THRUST_200600_302600_NS6detail15normal_iteratorINS8_10device_ptrIdEEEENSA_INSB_IiEEEEZNS1_13binary_searchIS3_S5_SD_SD_SF_NS1_21upper_bound_search_opENS9_16wrapped_functionINS0_4lessIvEEbEEEE10hipError_tPvRmT1_T2_T3_mmT4_T5_P12ihipStream_tbEUlRKdE_EESM_SQ_SR_mSS_SV_bEUlT_E_NS1_11comp_targetILNS1_3genE10ELNS1_11target_archE1201ELNS1_3gpuE5ELNS1_3repE0EEENS1_30default_config_static_selectorELNS0_4arch9wavefront6targetE0EEEvSP_
		.amdhsa_group_segment_fixed_size 0
		.amdhsa_private_segment_fixed_size 0
		.amdhsa_kernarg_size 56
		.amdhsa_user_sgpr_count 15
		.amdhsa_user_sgpr_dispatch_ptr 0
		.amdhsa_user_sgpr_queue_ptr 0
		.amdhsa_user_sgpr_kernarg_segment_ptr 1
		.amdhsa_user_sgpr_dispatch_id 0
		.amdhsa_user_sgpr_private_segment_size 0
		.amdhsa_wavefront_size32 1
		.amdhsa_uses_dynamic_stack 0
		.amdhsa_enable_private_segment 0
		.amdhsa_system_sgpr_workgroup_id_x 1
		.amdhsa_system_sgpr_workgroup_id_y 0
		.amdhsa_system_sgpr_workgroup_id_z 0
		.amdhsa_system_sgpr_workgroup_info 0
		.amdhsa_system_vgpr_workitem_id 0
		.amdhsa_next_free_vgpr 1
		.amdhsa_next_free_sgpr 1
		.amdhsa_reserve_vcc 0
		.amdhsa_float_round_mode_32 0
		.amdhsa_float_round_mode_16_64 0
		.amdhsa_float_denorm_mode_32 3
		.amdhsa_float_denorm_mode_16_64 3
		.amdhsa_dx10_clamp 1
		.amdhsa_ieee_mode 1
		.amdhsa_fp16_overflow 0
		.amdhsa_workgroup_processor_mode 1
		.amdhsa_memory_ordered 1
		.amdhsa_forward_progress 0
		.amdhsa_shared_vgpr_count 0
		.amdhsa_exception_fp_ieee_invalid_op 0
		.amdhsa_exception_fp_denorm_src 0
		.amdhsa_exception_fp_ieee_div_zero 0
		.amdhsa_exception_fp_ieee_overflow 0
		.amdhsa_exception_fp_ieee_underflow 0
		.amdhsa_exception_fp_ieee_inexact 0
		.amdhsa_exception_int_div_zero 0
	.end_amdhsa_kernel
	.section	.text._ZN7rocprim17ROCPRIM_400000_NS6detail17trampoline_kernelINS0_14default_configENS1_27upper_bound_config_selectorIdiEEZNS1_14transform_implILb0ES3_S5_N6thrust23THRUST_200600_302600_NS6detail15normal_iteratorINS8_10device_ptrIdEEEENSA_INSB_IiEEEEZNS1_13binary_searchIS3_S5_SD_SD_SF_NS1_21upper_bound_search_opENS9_16wrapped_functionINS0_4lessIvEEbEEEE10hipError_tPvRmT1_T2_T3_mmT4_T5_P12ihipStream_tbEUlRKdE_EESM_SQ_SR_mSS_SV_bEUlT_E_NS1_11comp_targetILNS1_3genE10ELNS1_11target_archE1201ELNS1_3gpuE5ELNS1_3repE0EEENS1_30default_config_static_selectorELNS0_4arch9wavefront6targetE0EEEvSP_,"axG",@progbits,_ZN7rocprim17ROCPRIM_400000_NS6detail17trampoline_kernelINS0_14default_configENS1_27upper_bound_config_selectorIdiEEZNS1_14transform_implILb0ES3_S5_N6thrust23THRUST_200600_302600_NS6detail15normal_iteratorINS8_10device_ptrIdEEEENSA_INSB_IiEEEEZNS1_13binary_searchIS3_S5_SD_SD_SF_NS1_21upper_bound_search_opENS9_16wrapped_functionINS0_4lessIvEEbEEEE10hipError_tPvRmT1_T2_T3_mmT4_T5_P12ihipStream_tbEUlRKdE_EESM_SQ_SR_mSS_SV_bEUlT_E_NS1_11comp_targetILNS1_3genE10ELNS1_11target_archE1201ELNS1_3gpuE5ELNS1_3repE0EEENS1_30default_config_static_selectorELNS0_4arch9wavefront6targetE0EEEvSP_,comdat
.Lfunc_end335:
	.size	_ZN7rocprim17ROCPRIM_400000_NS6detail17trampoline_kernelINS0_14default_configENS1_27upper_bound_config_selectorIdiEEZNS1_14transform_implILb0ES3_S5_N6thrust23THRUST_200600_302600_NS6detail15normal_iteratorINS8_10device_ptrIdEEEENSA_INSB_IiEEEEZNS1_13binary_searchIS3_S5_SD_SD_SF_NS1_21upper_bound_search_opENS9_16wrapped_functionINS0_4lessIvEEbEEEE10hipError_tPvRmT1_T2_T3_mmT4_T5_P12ihipStream_tbEUlRKdE_EESM_SQ_SR_mSS_SV_bEUlT_E_NS1_11comp_targetILNS1_3genE10ELNS1_11target_archE1201ELNS1_3gpuE5ELNS1_3repE0EEENS1_30default_config_static_selectorELNS0_4arch9wavefront6targetE0EEEvSP_, .Lfunc_end335-_ZN7rocprim17ROCPRIM_400000_NS6detail17trampoline_kernelINS0_14default_configENS1_27upper_bound_config_selectorIdiEEZNS1_14transform_implILb0ES3_S5_N6thrust23THRUST_200600_302600_NS6detail15normal_iteratorINS8_10device_ptrIdEEEENSA_INSB_IiEEEEZNS1_13binary_searchIS3_S5_SD_SD_SF_NS1_21upper_bound_search_opENS9_16wrapped_functionINS0_4lessIvEEbEEEE10hipError_tPvRmT1_T2_T3_mmT4_T5_P12ihipStream_tbEUlRKdE_EESM_SQ_SR_mSS_SV_bEUlT_E_NS1_11comp_targetILNS1_3genE10ELNS1_11target_archE1201ELNS1_3gpuE5ELNS1_3repE0EEENS1_30default_config_static_selectorELNS0_4arch9wavefront6targetE0EEEvSP_
                                        ; -- End function
	.section	.AMDGPU.csdata,"",@progbits
; Kernel info:
; codeLenInByte = 0
; NumSgprs: 0
; NumVgprs: 0
; ScratchSize: 0
; MemoryBound: 0
; FloatMode: 240
; IeeeMode: 1
; LDSByteSize: 0 bytes/workgroup (compile time only)
; SGPRBlocks: 0
; VGPRBlocks: 0
; NumSGPRsForWavesPerEU: 1
; NumVGPRsForWavesPerEU: 1
; Occupancy: 16
; WaveLimiterHint : 0
; COMPUTE_PGM_RSRC2:SCRATCH_EN: 0
; COMPUTE_PGM_RSRC2:USER_SGPR: 15
; COMPUTE_PGM_RSRC2:TRAP_HANDLER: 0
; COMPUTE_PGM_RSRC2:TGID_X_EN: 1
; COMPUTE_PGM_RSRC2:TGID_Y_EN: 0
; COMPUTE_PGM_RSRC2:TGID_Z_EN: 0
; COMPUTE_PGM_RSRC2:TIDIG_COMP_CNT: 0
	.section	.text._ZN7rocprim17ROCPRIM_400000_NS6detail17trampoline_kernelINS0_14default_configENS1_27upper_bound_config_selectorIdiEEZNS1_14transform_implILb0ES3_S5_N6thrust23THRUST_200600_302600_NS6detail15normal_iteratorINS8_10device_ptrIdEEEENSA_INSB_IiEEEEZNS1_13binary_searchIS3_S5_SD_SD_SF_NS1_21upper_bound_search_opENS9_16wrapped_functionINS0_4lessIvEEbEEEE10hipError_tPvRmT1_T2_T3_mmT4_T5_P12ihipStream_tbEUlRKdE_EESM_SQ_SR_mSS_SV_bEUlT_E_NS1_11comp_targetILNS1_3genE10ELNS1_11target_archE1200ELNS1_3gpuE4ELNS1_3repE0EEENS1_30default_config_static_selectorELNS0_4arch9wavefront6targetE0EEEvSP_,"axG",@progbits,_ZN7rocprim17ROCPRIM_400000_NS6detail17trampoline_kernelINS0_14default_configENS1_27upper_bound_config_selectorIdiEEZNS1_14transform_implILb0ES3_S5_N6thrust23THRUST_200600_302600_NS6detail15normal_iteratorINS8_10device_ptrIdEEEENSA_INSB_IiEEEEZNS1_13binary_searchIS3_S5_SD_SD_SF_NS1_21upper_bound_search_opENS9_16wrapped_functionINS0_4lessIvEEbEEEE10hipError_tPvRmT1_T2_T3_mmT4_T5_P12ihipStream_tbEUlRKdE_EESM_SQ_SR_mSS_SV_bEUlT_E_NS1_11comp_targetILNS1_3genE10ELNS1_11target_archE1200ELNS1_3gpuE4ELNS1_3repE0EEENS1_30default_config_static_selectorELNS0_4arch9wavefront6targetE0EEEvSP_,comdat
	.protected	_ZN7rocprim17ROCPRIM_400000_NS6detail17trampoline_kernelINS0_14default_configENS1_27upper_bound_config_selectorIdiEEZNS1_14transform_implILb0ES3_S5_N6thrust23THRUST_200600_302600_NS6detail15normal_iteratorINS8_10device_ptrIdEEEENSA_INSB_IiEEEEZNS1_13binary_searchIS3_S5_SD_SD_SF_NS1_21upper_bound_search_opENS9_16wrapped_functionINS0_4lessIvEEbEEEE10hipError_tPvRmT1_T2_T3_mmT4_T5_P12ihipStream_tbEUlRKdE_EESM_SQ_SR_mSS_SV_bEUlT_E_NS1_11comp_targetILNS1_3genE10ELNS1_11target_archE1200ELNS1_3gpuE4ELNS1_3repE0EEENS1_30default_config_static_selectorELNS0_4arch9wavefront6targetE0EEEvSP_ ; -- Begin function _ZN7rocprim17ROCPRIM_400000_NS6detail17trampoline_kernelINS0_14default_configENS1_27upper_bound_config_selectorIdiEEZNS1_14transform_implILb0ES3_S5_N6thrust23THRUST_200600_302600_NS6detail15normal_iteratorINS8_10device_ptrIdEEEENSA_INSB_IiEEEEZNS1_13binary_searchIS3_S5_SD_SD_SF_NS1_21upper_bound_search_opENS9_16wrapped_functionINS0_4lessIvEEbEEEE10hipError_tPvRmT1_T2_T3_mmT4_T5_P12ihipStream_tbEUlRKdE_EESM_SQ_SR_mSS_SV_bEUlT_E_NS1_11comp_targetILNS1_3genE10ELNS1_11target_archE1200ELNS1_3gpuE4ELNS1_3repE0EEENS1_30default_config_static_selectorELNS0_4arch9wavefront6targetE0EEEvSP_
	.globl	_ZN7rocprim17ROCPRIM_400000_NS6detail17trampoline_kernelINS0_14default_configENS1_27upper_bound_config_selectorIdiEEZNS1_14transform_implILb0ES3_S5_N6thrust23THRUST_200600_302600_NS6detail15normal_iteratorINS8_10device_ptrIdEEEENSA_INSB_IiEEEEZNS1_13binary_searchIS3_S5_SD_SD_SF_NS1_21upper_bound_search_opENS9_16wrapped_functionINS0_4lessIvEEbEEEE10hipError_tPvRmT1_T2_T3_mmT4_T5_P12ihipStream_tbEUlRKdE_EESM_SQ_SR_mSS_SV_bEUlT_E_NS1_11comp_targetILNS1_3genE10ELNS1_11target_archE1200ELNS1_3gpuE4ELNS1_3repE0EEENS1_30default_config_static_selectorELNS0_4arch9wavefront6targetE0EEEvSP_
	.p2align	8
	.type	_ZN7rocprim17ROCPRIM_400000_NS6detail17trampoline_kernelINS0_14default_configENS1_27upper_bound_config_selectorIdiEEZNS1_14transform_implILb0ES3_S5_N6thrust23THRUST_200600_302600_NS6detail15normal_iteratorINS8_10device_ptrIdEEEENSA_INSB_IiEEEEZNS1_13binary_searchIS3_S5_SD_SD_SF_NS1_21upper_bound_search_opENS9_16wrapped_functionINS0_4lessIvEEbEEEE10hipError_tPvRmT1_T2_T3_mmT4_T5_P12ihipStream_tbEUlRKdE_EESM_SQ_SR_mSS_SV_bEUlT_E_NS1_11comp_targetILNS1_3genE10ELNS1_11target_archE1200ELNS1_3gpuE4ELNS1_3repE0EEENS1_30default_config_static_selectorELNS0_4arch9wavefront6targetE0EEEvSP_,@function
_ZN7rocprim17ROCPRIM_400000_NS6detail17trampoline_kernelINS0_14default_configENS1_27upper_bound_config_selectorIdiEEZNS1_14transform_implILb0ES3_S5_N6thrust23THRUST_200600_302600_NS6detail15normal_iteratorINS8_10device_ptrIdEEEENSA_INSB_IiEEEEZNS1_13binary_searchIS3_S5_SD_SD_SF_NS1_21upper_bound_search_opENS9_16wrapped_functionINS0_4lessIvEEbEEEE10hipError_tPvRmT1_T2_T3_mmT4_T5_P12ihipStream_tbEUlRKdE_EESM_SQ_SR_mSS_SV_bEUlT_E_NS1_11comp_targetILNS1_3genE10ELNS1_11target_archE1200ELNS1_3gpuE4ELNS1_3repE0EEENS1_30default_config_static_selectorELNS0_4arch9wavefront6targetE0EEEvSP_: ; @_ZN7rocprim17ROCPRIM_400000_NS6detail17trampoline_kernelINS0_14default_configENS1_27upper_bound_config_selectorIdiEEZNS1_14transform_implILb0ES3_S5_N6thrust23THRUST_200600_302600_NS6detail15normal_iteratorINS8_10device_ptrIdEEEENSA_INSB_IiEEEEZNS1_13binary_searchIS3_S5_SD_SD_SF_NS1_21upper_bound_search_opENS9_16wrapped_functionINS0_4lessIvEEbEEEE10hipError_tPvRmT1_T2_T3_mmT4_T5_P12ihipStream_tbEUlRKdE_EESM_SQ_SR_mSS_SV_bEUlT_E_NS1_11comp_targetILNS1_3genE10ELNS1_11target_archE1200ELNS1_3gpuE4ELNS1_3repE0EEENS1_30default_config_static_selectorELNS0_4arch9wavefront6targetE0EEEvSP_
; %bb.0:
	.section	.rodata,"a",@progbits
	.p2align	6, 0x0
	.amdhsa_kernel _ZN7rocprim17ROCPRIM_400000_NS6detail17trampoline_kernelINS0_14default_configENS1_27upper_bound_config_selectorIdiEEZNS1_14transform_implILb0ES3_S5_N6thrust23THRUST_200600_302600_NS6detail15normal_iteratorINS8_10device_ptrIdEEEENSA_INSB_IiEEEEZNS1_13binary_searchIS3_S5_SD_SD_SF_NS1_21upper_bound_search_opENS9_16wrapped_functionINS0_4lessIvEEbEEEE10hipError_tPvRmT1_T2_T3_mmT4_T5_P12ihipStream_tbEUlRKdE_EESM_SQ_SR_mSS_SV_bEUlT_E_NS1_11comp_targetILNS1_3genE10ELNS1_11target_archE1200ELNS1_3gpuE4ELNS1_3repE0EEENS1_30default_config_static_selectorELNS0_4arch9wavefront6targetE0EEEvSP_
		.amdhsa_group_segment_fixed_size 0
		.amdhsa_private_segment_fixed_size 0
		.amdhsa_kernarg_size 56
		.amdhsa_user_sgpr_count 15
		.amdhsa_user_sgpr_dispatch_ptr 0
		.amdhsa_user_sgpr_queue_ptr 0
		.amdhsa_user_sgpr_kernarg_segment_ptr 1
		.amdhsa_user_sgpr_dispatch_id 0
		.amdhsa_user_sgpr_private_segment_size 0
		.amdhsa_wavefront_size32 1
		.amdhsa_uses_dynamic_stack 0
		.amdhsa_enable_private_segment 0
		.amdhsa_system_sgpr_workgroup_id_x 1
		.amdhsa_system_sgpr_workgroup_id_y 0
		.amdhsa_system_sgpr_workgroup_id_z 0
		.amdhsa_system_sgpr_workgroup_info 0
		.amdhsa_system_vgpr_workitem_id 0
		.amdhsa_next_free_vgpr 1
		.amdhsa_next_free_sgpr 1
		.amdhsa_reserve_vcc 0
		.amdhsa_float_round_mode_32 0
		.amdhsa_float_round_mode_16_64 0
		.amdhsa_float_denorm_mode_32 3
		.amdhsa_float_denorm_mode_16_64 3
		.amdhsa_dx10_clamp 1
		.amdhsa_ieee_mode 1
		.amdhsa_fp16_overflow 0
		.amdhsa_workgroup_processor_mode 1
		.amdhsa_memory_ordered 1
		.amdhsa_forward_progress 0
		.amdhsa_shared_vgpr_count 0
		.amdhsa_exception_fp_ieee_invalid_op 0
		.amdhsa_exception_fp_denorm_src 0
		.amdhsa_exception_fp_ieee_div_zero 0
		.amdhsa_exception_fp_ieee_overflow 0
		.amdhsa_exception_fp_ieee_underflow 0
		.amdhsa_exception_fp_ieee_inexact 0
		.amdhsa_exception_int_div_zero 0
	.end_amdhsa_kernel
	.section	.text._ZN7rocprim17ROCPRIM_400000_NS6detail17trampoline_kernelINS0_14default_configENS1_27upper_bound_config_selectorIdiEEZNS1_14transform_implILb0ES3_S5_N6thrust23THRUST_200600_302600_NS6detail15normal_iteratorINS8_10device_ptrIdEEEENSA_INSB_IiEEEEZNS1_13binary_searchIS3_S5_SD_SD_SF_NS1_21upper_bound_search_opENS9_16wrapped_functionINS0_4lessIvEEbEEEE10hipError_tPvRmT1_T2_T3_mmT4_T5_P12ihipStream_tbEUlRKdE_EESM_SQ_SR_mSS_SV_bEUlT_E_NS1_11comp_targetILNS1_3genE10ELNS1_11target_archE1200ELNS1_3gpuE4ELNS1_3repE0EEENS1_30default_config_static_selectorELNS0_4arch9wavefront6targetE0EEEvSP_,"axG",@progbits,_ZN7rocprim17ROCPRIM_400000_NS6detail17trampoline_kernelINS0_14default_configENS1_27upper_bound_config_selectorIdiEEZNS1_14transform_implILb0ES3_S5_N6thrust23THRUST_200600_302600_NS6detail15normal_iteratorINS8_10device_ptrIdEEEENSA_INSB_IiEEEEZNS1_13binary_searchIS3_S5_SD_SD_SF_NS1_21upper_bound_search_opENS9_16wrapped_functionINS0_4lessIvEEbEEEE10hipError_tPvRmT1_T2_T3_mmT4_T5_P12ihipStream_tbEUlRKdE_EESM_SQ_SR_mSS_SV_bEUlT_E_NS1_11comp_targetILNS1_3genE10ELNS1_11target_archE1200ELNS1_3gpuE4ELNS1_3repE0EEENS1_30default_config_static_selectorELNS0_4arch9wavefront6targetE0EEEvSP_,comdat
.Lfunc_end336:
	.size	_ZN7rocprim17ROCPRIM_400000_NS6detail17trampoline_kernelINS0_14default_configENS1_27upper_bound_config_selectorIdiEEZNS1_14transform_implILb0ES3_S5_N6thrust23THRUST_200600_302600_NS6detail15normal_iteratorINS8_10device_ptrIdEEEENSA_INSB_IiEEEEZNS1_13binary_searchIS3_S5_SD_SD_SF_NS1_21upper_bound_search_opENS9_16wrapped_functionINS0_4lessIvEEbEEEE10hipError_tPvRmT1_T2_T3_mmT4_T5_P12ihipStream_tbEUlRKdE_EESM_SQ_SR_mSS_SV_bEUlT_E_NS1_11comp_targetILNS1_3genE10ELNS1_11target_archE1200ELNS1_3gpuE4ELNS1_3repE0EEENS1_30default_config_static_selectorELNS0_4arch9wavefront6targetE0EEEvSP_, .Lfunc_end336-_ZN7rocprim17ROCPRIM_400000_NS6detail17trampoline_kernelINS0_14default_configENS1_27upper_bound_config_selectorIdiEEZNS1_14transform_implILb0ES3_S5_N6thrust23THRUST_200600_302600_NS6detail15normal_iteratorINS8_10device_ptrIdEEEENSA_INSB_IiEEEEZNS1_13binary_searchIS3_S5_SD_SD_SF_NS1_21upper_bound_search_opENS9_16wrapped_functionINS0_4lessIvEEbEEEE10hipError_tPvRmT1_T2_T3_mmT4_T5_P12ihipStream_tbEUlRKdE_EESM_SQ_SR_mSS_SV_bEUlT_E_NS1_11comp_targetILNS1_3genE10ELNS1_11target_archE1200ELNS1_3gpuE4ELNS1_3repE0EEENS1_30default_config_static_selectorELNS0_4arch9wavefront6targetE0EEEvSP_
                                        ; -- End function
	.section	.AMDGPU.csdata,"",@progbits
; Kernel info:
; codeLenInByte = 0
; NumSgprs: 0
; NumVgprs: 0
; ScratchSize: 0
; MemoryBound: 0
; FloatMode: 240
; IeeeMode: 1
; LDSByteSize: 0 bytes/workgroup (compile time only)
; SGPRBlocks: 0
; VGPRBlocks: 0
; NumSGPRsForWavesPerEU: 1
; NumVGPRsForWavesPerEU: 1
; Occupancy: 16
; WaveLimiterHint : 0
; COMPUTE_PGM_RSRC2:SCRATCH_EN: 0
; COMPUTE_PGM_RSRC2:USER_SGPR: 15
; COMPUTE_PGM_RSRC2:TRAP_HANDLER: 0
; COMPUTE_PGM_RSRC2:TGID_X_EN: 1
; COMPUTE_PGM_RSRC2:TGID_Y_EN: 0
; COMPUTE_PGM_RSRC2:TGID_Z_EN: 0
; COMPUTE_PGM_RSRC2:TIDIG_COMP_CNT: 0
	.section	.text._ZN7rocprim17ROCPRIM_400000_NS6detail17trampoline_kernelINS0_14default_configENS1_27upper_bound_config_selectorIdiEEZNS1_14transform_implILb0ES3_S5_N6thrust23THRUST_200600_302600_NS6detail15normal_iteratorINS8_10device_ptrIdEEEENSA_INSB_IiEEEEZNS1_13binary_searchIS3_S5_SD_SD_SF_NS1_21upper_bound_search_opENS9_16wrapped_functionINS0_4lessIvEEbEEEE10hipError_tPvRmT1_T2_T3_mmT4_T5_P12ihipStream_tbEUlRKdE_EESM_SQ_SR_mSS_SV_bEUlT_E_NS1_11comp_targetILNS1_3genE9ELNS1_11target_archE1100ELNS1_3gpuE3ELNS1_3repE0EEENS1_30default_config_static_selectorELNS0_4arch9wavefront6targetE0EEEvSP_,"axG",@progbits,_ZN7rocprim17ROCPRIM_400000_NS6detail17trampoline_kernelINS0_14default_configENS1_27upper_bound_config_selectorIdiEEZNS1_14transform_implILb0ES3_S5_N6thrust23THRUST_200600_302600_NS6detail15normal_iteratorINS8_10device_ptrIdEEEENSA_INSB_IiEEEEZNS1_13binary_searchIS3_S5_SD_SD_SF_NS1_21upper_bound_search_opENS9_16wrapped_functionINS0_4lessIvEEbEEEE10hipError_tPvRmT1_T2_T3_mmT4_T5_P12ihipStream_tbEUlRKdE_EESM_SQ_SR_mSS_SV_bEUlT_E_NS1_11comp_targetILNS1_3genE9ELNS1_11target_archE1100ELNS1_3gpuE3ELNS1_3repE0EEENS1_30default_config_static_selectorELNS0_4arch9wavefront6targetE0EEEvSP_,comdat
	.protected	_ZN7rocprim17ROCPRIM_400000_NS6detail17trampoline_kernelINS0_14default_configENS1_27upper_bound_config_selectorIdiEEZNS1_14transform_implILb0ES3_S5_N6thrust23THRUST_200600_302600_NS6detail15normal_iteratorINS8_10device_ptrIdEEEENSA_INSB_IiEEEEZNS1_13binary_searchIS3_S5_SD_SD_SF_NS1_21upper_bound_search_opENS9_16wrapped_functionINS0_4lessIvEEbEEEE10hipError_tPvRmT1_T2_T3_mmT4_T5_P12ihipStream_tbEUlRKdE_EESM_SQ_SR_mSS_SV_bEUlT_E_NS1_11comp_targetILNS1_3genE9ELNS1_11target_archE1100ELNS1_3gpuE3ELNS1_3repE0EEENS1_30default_config_static_selectorELNS0_4arch9wavefront6targetE0EEEvSP_ ; -- Begin function _ZN7rocprim17ROCPRIM_400000_NS6detail17trampoline_kernelINS0_14default_configENS1_27upper_bound_config_selectorIdiEEZNS1_14transform_implILb0ES3_S5_N6thrust23THRUST_200600_302600_NS6detail15normal_iteratorINS8_10device_ptrIdEEEENSA_INSB_IiEEEEZNS1_13binary_searchIS3_S5_SD_SD_SF_NS1_21upper_bound_search_opENS9_16wrapped_functionINS0_4lessIvEEbEEEE10hipError_tPvRmT1_T2_T3_mmT4_T5_P12ihipStream_tbEUlRKdE_EESM_SQ_SR_mSS_SV_bEUlT_E_NS1_11comp_targetILNS1_3genE9ELNS1_11target_archE1100ELNS1_3gpuE3ELNS1_3repE0EEENS1_30default_config_static_selectorELNS0_4arch9wavefront6targetE0EEEvSP_
	.globl	_ZN7rocprim17ROCPRIM_400000_NS6detail17trampoline_kernelINS0_14default_configENS1_27upper_bound_config_selectorIdiEEZNS1_14transform_implILb0ES3_S5_N6thrust23THRUST_200600_302600_NS6detail15normal_iteratorINS8_10device_ptrIdEEEENSA_INSB_IiEEEEZNS1_13binary_searchIS3_S5_SD_SD_SF_NS1_21upper_bound_search_opENS9_16wrapped_functionINS0_4lessIvEEbEEEE10hipError_tPvRmT1_T2_T3_mmT4_T5_P12ihipStream_tbEUlRKdE_EESM_SQ_SR_mSS_SV_bEUlT_E_NS1_11comp_targetILNS1_3genE9ELNS1_11target_archE1100ELNS1_3gpuE3ELNS1_3repE0EEENS1_30default_config_static_selectorELNS0_4arch9wavefront6targetE0EEEvSP_
	.p2align	8
	.type	_ZN7rocprim17ROCPRIM_400000_NS6detail17trampoline_kernelINS0_14default_configENS1_27upper_bound_config_selectorIdiEEZNS1_14transform_implILb0ES3_S5_N6thrust23THRUST_200600_302600_NS6detail15normal_iteratorINS8_10device_ptrIdEEEENSA_INSB_IiEEEEZNS1_13binary_searchIS3_S5_SD_SD_SF_NS1_21upper_bound_search_opENS9_16wrapped_functionINS0_4lessIvEEbEEEE10hipError_tPvRmT1_T2_T3_mmT4_T5_P12ihipStream_tbEUlRKdE_EESM_SQ_SR_mSS_SV_bEUlT_E_NS1_11comp_targetILNS1_3genE9ELNS1_11target_archE1100ELNS1_3gpuE3ELNS1_3repE0EEENS1_30default_config_static_selectorELNS0_4arch9wavefront6targetE0EEEvSP_,@function
_ZN7rocprim17ROCPRIM_400000_NS6detail17trampoline_kernelINS0_14default_configENS1_27upper_bound_config_selectorIdiEEZNS1_14transform_implILb0ES3_S5_N6thrust23THRUST_200600_302600_NS6detail15normal_iteratorINS8_10device_ptrIdEEEENSA_INSB_IiEEEEZNS1_13binary_searchIS3_S5_SD_SD_SF_NS1_21upper_bound_search_opENS9_16wrapped_functionINS0_4lessIvEEbEEEE10hipError_tPvRmT1_T2_T3_mmT4_T5_P12ihipStream_tbEUlRKdE_EESM_SQ_SR_mSS_SV_bEUlT_E_NS1_11comp_targetILNS1_3genE9ELNS1_11target_archE1100ELNS1_3gpuE3ELNS1_3repE0EEENS1_30default_config_static_selectorELNS0_4arch9wavefront6targetE0EEEvSP_: ; @_ZN7rocprim17ROCPRIM_400000_NS6detail17trampoline_kernelINS0_14default_configENS1_27upper_bound_config_selectorIdiEEZNS1_14transform_implILb0ES3_S5_N6thrust23THRUST_200600_302600_NS6detail15normal_iteratorINS8_10device_ptrIdEEEENSA_INSB_IiEEEEZNS1_13binary_searchIS3_S5_SD_SD_SF_NS1_21upper_bound_search_opENS9_16wrapped_functionINS0_4lessIvEEbEEEE10hipError_tPvRmT1_T2_T3_mmT4_T5_P12ihipStream_tbEUlRKdE_EESM_SQ_SR_mSS_SV_bEUlT_E_NS1_11comp_targetILNS1_3genE9ELNS1_11target_archE1100ELNS1_3gpuE3ELNS1_3repE0EEENS1_30default_config_static_selectorELNS0_4arch9wavefront6targetE0EEEvSP_
; %bb.0:
	s_clause 0x2
	s_load_b256 s[4:11], s[0:1], 0x0
	s_load_b32 s2, s[0:1], 0x38
	s_load_b128 s[16:19], s[0:1], 0x20
	s_mov_b32 s21, 0
	s_waitcnt lgkmcnt(0)
	s_lshl_b64 s[0:1], s[6:7], 3
	s_delay_alu instid0(SALU_CYCLE_1) | instskip(SKIP_2) | instid1(SALU_CYCLE_1)
	s_add_u32 s3, s4, s0
	s_addc_u32 s4, s5, s1
	s_lshl_b64 s[0:1], s[6:7], 2
	s_add_u32 s22, s10, s0
	s_addc_u32 s23, s11, s1
	s_lshl_b32 s20, s15, 10
	s_add_i32 s2, s2, -1
	s_lshl_b64 s[0:1], s[20:21], 3
	s_delay_alu instid0(SALU_CYCLE_1)
	s_add_u32 s25, s3, s0
	s_addc_u32 s26, s4, s1
	s_cmp_lg_u32 s15, s2
	s_mov_b32 s0, -1
	s_cbranch_scc0 .LBB337_58
; %bb.1:
	v_lshlrev_b32_e32 v1, 3, v0
	s_cmp_lg_u64 s[18:19], 0
	s_mov_b32 s2, 0
	s_cselect_b32 s1, -1, 0
	s_cmp_eq_u64 s[18:19], 0
	v_add_co_u32 v5, s0, s25, v1
	s_delay_alu instid0(VALU_DEP_1) | instskip(NEXT) | instid1(VALU_DEP_2)
	v_add_co_ci_u32_e64 v6, null, s26, 0, s0
	v_add_co_u32 v1, vcc_lo, 0x1000, v5
	s_delay_alu instid0(VALU_DEP_2)
	v_add_co_ci_u32_e32 v2, vcc_lo, 0, v6, vcc_lo
	s_clause 0xe
	flat_load_b64 v[9:10], v[5:6] offset:512
	flat_load_b64 v[13:14], v[5:6] offset:1024
	;; [unrolled: 1-line block ×7, first 2 shown]
	flat_load_b64 v[31:32], v[1:2]
	flat_load_b64 v[27:28], v[1:2] offset:512
	flat_load_b64 v[23:24], v[1:2] offset:1024
	;; [unrolled: 1-line block ×7, first 2 shown]
	v_mov_b32_e32 v1, 0
	v_mov_b32_e32 v2, 0
	s_cbranch_scc1 .LBB337_5
; %bb.2:
	flat_load_b64 v[5:6], v[5:6]
	v_dual_mov_b32 v1, 0 :: v_dual_mov_b32 v36, s19
	v_dual_mov_b32 v2, 0 :: v_dual_mov_b32 v35, s18
	s_set_inst_prefetch_distance 0x1
	.p2align	6
.LBB337_3:                              ; =>This Inner Loop Header: Depth=1
	s_delay_alu instid0(VALU_DEP_1) | instskip(NEXT) | instid1(VALU_DEP_2)
	v_sub_co_u32 v37, vcc_lo, v35, v1
	v_sub_co_ci_u32_e32 v38, vcc_lo, v36, v2, vcc_lo
	s_delay_alu instid0(VALU_DEP_1) | instskip(SKIP_1) | instid1(VALU_DEP_2)
	v_lshrrev_b64 v[39:40], 1, v[37:38]
	v_lshrrev_b64 v[37:38], 6, v[37:38]
	v_add_co_u32 v39, vcc_lo, v39, v1
	s_delay_alu instid0(VALU_DEP_3) | instskip(NEXT) | instid1(VALU_DEP_2)
	v_add_co_ci_u32_e32 v40, vcc_lo, v40, v2, vcc_lo
	v_add_co_u32 v37, vcc_lo, v39, v37
	s_delay_alu instid0(VALU_DEP_2) | instskip(NEXT) | instid1(VALU_DEP_1)
	v_add_co_ci_u32_e32 v38, vcc_lo, v40, v38, vcc_lo
	v_lshlrev_b64 v[39:40], 3, v[37:38]
	s_delay_alu instid0(VALU_DEP_1) | instskip(NEXT) | instid1(VALU_DEP_2)
	v_add_co_u32 v39, vcc_lo, s16, v39
	v_add_co_ci_u32_e32 v40, vcc_lo, s17, v40, vcc_lo
	global_load_b64 v[39:40], v[39:40], off
	s_waitcnt vmcnt(0) lgkmcnt(0)
	v_cmp_gt_f64_e32 vcc_lo, v[39:40], v[5:6]
	v_add_co_u32 v39, s0, v37, 1
	s_delay_alu instid0(VALU_DEP_1) | instskip(SKIP_1) | instid1(VALU_DEP_2)
	v_add_co_ci_u32_e64 v40, s0, 0, v38, s0
	v_dual_cndmask_b32 v36, v36, v38 :: v_dual_cndmask_b32 v35, v35, v37
	v_dual_cndmask_b32 v2, v40, v2 :: v_dual_cndmask_b32 v1, v39, v1
	s_delay_alu instid0(VALU_DEP_1) | instskip(SKIP_1) | instid1(SALU_CYCLE_1)
	v_cmp_ge_u64_e32 vcc_lo, v[1:2], v[35:36]
	s_or_b32 s2, vcc_lo, s2
	s_and_not1_b32 exec_lo, exec_lo, s2
	s_cbranch_execnz .LBB337_3
; %bb.4:
	s_set_inst_prefetch_distance 0x2
	s_or_b32 exec_lo, exec_lo, s2
.LBB337_5:
	v_mov_b32_e32 v5, 0
	v_cndmask_b32_e64 v2, 0, 1, s1
	v_mov_b32_e32 v6, 0
	s_and_not1_b32 vcc_lo, exec_lo, s1
	s_cbranch_vccnz .LBB337_9
; %bb.6:
	v_dual_mov_b32 v36, s19 :: v_dual_mov_b32 v35, s18
	s_mov_b32 s1, 0
	s_set_inst_prefetch_distance 0x1
	.p2align	6
.LBB337_7:                              ; =>This Inner Loop Header: Depth=1
	s_delay_alu instid0(VALU_DEP_1) | instskip(NEXT) | instid1(VALU_DEP_2)
	v_sub_co_u32 v37, vcc_lo, v35, v5
	v_sub_co_ci_u32_e32 v38, vcc_lo, v36, v6, vcc_lo
	s_delay_alu instid0(VALU_DEP_1) | instskip(SKIP_1) | instid1(VALU_DEP_2)
	v_lshrrev_b64 v[39:40], 1, v[37:38]
	v_lshrrev_b64 v[37:38], 6, v[37:38]
	v_add_co_u32 v39, vcc_lo, v39, v5
	s_delay_alu instid0(VALU_DEP_3) | instskip(NEXT) | instid1(VALU_DEP_2)
	v_add_co_ci_u32_e32 v40, vcc_lo, v40, v6, vcc_lo
	v_add_co_u32 v37, vcc_lo, v39, v37
	s_delay_alu instid0(VALU_DEP_2) | instskip(NEXT) | instid1(VALU_DEP_1)
	v_add_co_ci_u32_e32 v38, vcc_lo, v40, v38, vcc_lo
	v_lshlrev_b64 v[39:40], 3, v[37:38]
	s_delay_alu instid0(VALU_DEP_1) | instskip(NEXT) | instid1(VALU_DEP_2)
	v_add_co_u32 v39, vcc_lo, s16, v39
	v_add_co_ci_u32_e32 v40, vcc_lo, s17, v40, vcc_lo
	global_load_b64 v[39:40], v[39:40], off
	s_waitcnt vmcnt(0) lgkmcnt(14)
	v_cmp_gt_f64_e32 vcc_lo, v[39:40], v[9:10]
	v_add_co_u32 v39, s0, v37, 1
	s_delay_alu instid0(VALU_DEP_1) | instskip(SKIP_1) | instid1(VALU_DEP_2)
	v_add_co_ci_u32_e64 v40, s0, 0, v38, s0
	v_dual_cndmask_b32 v36, v36, v38 :: v_dual_cndmask_b32 v35, v35, v37
	v_dual_cndmask_b32 v6, v40, v6 :: v_dual_cndmask_b32 v5, v39, v5
	s_delay_alu instid0(VALU_DEP_1) | instskip(SKIP_1) | instid1(SALU_CYCLE_1)
	v_cmp_ge_u64_e32 vcc_lo, v[5:6], v[35:36]
	s_or_b32 s1, vcc_lo, s1
	s_and_not1_b32 exec_lo, exec_lo, s1
	s_cbranch_execnz .LBB337_7
; %bb.8:
	s_set_inst_prefetch_distance 0x2
	s_or_b32 exec_lo, exec_lo, s1
.LBB337_9:
	s_delay_alu instid0(VALU_DEP_2)
	v_cmp_ne_u32_e32 vcc_lo, 1, v2
	s_waitcnt vmcnt(14) lgkmcnt(14)
	v_mov_b32_e32 v9, 0
	v_mov_b32_e32 v10, 0
	s_cbranch_vccnz .LBB337_13
; %bb.10:
	v_dual_mov_b32 v36, s19 :: v_dual_mov_b32 v35, s18
	s_mov_b32 s1, 0
	s_set_inst_prefetch_distance 0x1
	.p2align	6
.LBB337_11:                             ; =>This Inner Loop Header: Depth=1
	s_delay_alu instid0(VALU_DEP_1) | instskip(NEXT) | instid1(VALU_DEP_2)
	v_sub_co_u32 v37, vcc_lo, v35, v9
	v_sub_co_ci_u32_e32 v38, vcc_lo, v36, v10, vcc_lo
	s_delay_alu instid0(VALU_DEP_1) | instskip(SKIP_1) | instid1(VALU_DEP_2)
	v_lshrrev_b64 v[39:40], 1, v[37:38]
	v_lshrrev_b64 v[37:38], 6, v[37:38]
	v_add_co_u32 v6, vcc_lo, v39, v9
	s_delay_alu instid0(VALU_DEP_3) | instskip(NEXT) | instid1(VALU_DEP_2)
	v_add_co_ci_u32_e32 v39, vcc_lo, v40, v10, vcc_lo
	v_add_co_u32 v37, vcc_lo, v6, v37
	s_delay_alu instid0(VALU_DEP_2) | instskip(NEXT) | instid1(VALU_DEP_2)
	v_add_co_ci_u32_e32 v38, vcc_lo, v39, v38, vcc_lo
	v_add_co_u32 v6, s0, v37, 1
	s_delay_alu instid0(VALU_DEP_2) | instskip(NEXT) | instid1(VALU_DEP_1)
	v_lshlrev_b64 v[39:40], 3, v[37:38]
	v_add_co_u32 v39, vcc_lo, s16, v39
	s_delay_alu instid0(VALU_DEP_2)
	v_add_co_ci_u32_e32 v40, vcc_lo, s17, v40, vcc_lo
	global_load_b64 v[39:40], v[39:40], off
	s_waitcnt vmcnt(0) lgkmcnt(13)
	v_cmp_gt_f64_e32 vcc_lo, v[39:40], v[13:14]
	v_add_co_ci_u32_e64 v39, s0, 0, v38, s0
	v_dual_cndmask_b32 v36, v36, v38 :: v_dual_cndmask_b32 v35, v35, v37
	s_delay_alu instid0(VALU_DEP_2) | instskip(NEXT) | instid1(VALU_DEP_1)
	v_dual_cndmask_b32 v10, v39, v10 :: v_dual_cndmask_b32 v9, v6, v9
	v_cmp_ge_u64_e32 vcc_lo, v[9:10], v[35:36]
	s_or_b32 s1, vcc_lo, s1
	s_delay_alu instid0(SALU_CYCLE_1)
	s_and_not1_b32 exec_lo, exec_lo, s1
	s_cbranch_execnz .LBB337_11
; %bb.12:
	s_set_inst_prefetch_distance 0x2
	s_or_b32 exec_lo, exec_lo, s1
.LBB337_13:
	v_cmp_ne_u32_e32 vcc_lo, 1, v2
	s_waitcnt vmcnt(13) lgkmcnt(13)
	v_mov_b32_e32 v13, 0
	v_mov_b32_e32 v14, 0
	s_cbranch_vccnz .LBB337_17
; %bb.14:
	v_dual_mov_b32 v36, s19 :: v_dual_mov_b32 v35, s18
	s_mov_b32 s1, 0
	s_set_inst_prefetch_distance 0x1
	.p2align	6
.LBB337_15:                             ; =>This Inner Loop Header: Depth=1
	s_delay_alu instid0(VALU_DEP_1) | instskip(NEXT) | instid1(VALU_DEP_2)
	v_sub_co_u32 v37, vcc_lo, v35, v13
	v_sub_co_ci_u32_e32 v38, vcc_lo, v36, v14, vcc_lo
	s_delay_alu instid0(VALU_DEP_1) | instskip(SKIP_1) | instid1(VALU_DEP_2)
	v_lshrrev_b64 v[39:40], 1, v[37:38]
	v_lshrrev_b64 v[37:38], 6, v[37:38]
	v_add_co_u32 v6, vcc_lo, v39, v13
	s_delay_alu instid0(VALU_DEP_3) | instskip(NEXT) | instid1(VALU_DEP_2)
	v_add_co_ci_u32_e32 v10, vcc_lo, v40, v14, vcc_lo
	v_add_co_u32 v37, vcc_lo, v6, v37
	s_delay_alu instid0(VALU_DEP_2) | instskip(NEXT) | instid1(VALU_DEP_2)
	v_add_co_ci_u32_e32 v38, vcc_lo, v10, v38, vcc_lo
	v_add_co_u32 v6, s0, v37, 1
	s_delay_alu instid0(VALU_DEP_2) | instskip(SKIP_1) | instid1(VALU_DEP_2)
	v_lshlrev_b64 v[39:40], 3, v[37:38]
	v_add_co_ci_u32_e64 v10, s0, 0, v38, s0
	v_add_co_u32 v39, vcc_lo, s16, v39
	s_delay_alu instid0(VALU_DEP_3)
	v_add_co_ci_u32_e32 v40, vcc_lo, s17, v40, vcc_lo
	global_load_b64 v[39:40], v[39:40], off
	s_waitcnt vmcnt(0) lgkmcnt(12)
	v_cmp_gt_f64_e32 vcc_lo, v[39:40], v[17:18]
	v_dual_cndmask_b32 v36, v36, v38 :: v_dual_cndmask_b32 v35, v35, v37
	v_cndmask_b32_e32 v14, v10, v14, vcc_lo
	v_cndmask_b32_e32 v13, v6, v13, vcc_lo
	s_delay_alu instid0(VALU_DEP_1) | instskip(SKIP_1) | instid1(SALU_CYCLE_1)
	v_cmp_ge_u64_e32 vcc_lo, v[13:14], v[35:36]
	s_or_b32 s1, vcc_lo, s1
	s_and_not1_b32 exec_lo, exec_lo, s1
	s_cbranch_execnz .LBB337_15
; %bb.16:
	s_set_inst_prefetch_distance 0x2
	s_or_b32 exec_lo, exec_lo, s1
.LBB337_17:
	v_cmp_ne_u32_e32 vcc_lo, 1, v2
	s_waitcnt vmcnt(12) lgkmcnt(12)
	v_mov_b32_e32 v17, 0
	v_mov_b32_e32 v18, 0
	s_cbranch_vccnz .LBB337_21
; %bb.18:
	v_dual_mov_b32 v36, s19 :: v_dual_mov_b32 v35, s18
	s_mov_b32 s1, 0
	s_set_inst_prefetch_distance 0x1
	.p2align	6
.LBB337_19:                             ; =>This Inner Loop Header: Depth=1
	s_delay_alu instid0(VALU_DEP_1) | instskip(NEXT) | instid1(VALU_DEP_2)
	v_sub_co_u32 v37, vcc_lo, v35, v17
	v_sub_co_ci_u32_e32 v38, vcc_lo, v36, v18, vcc_lo
	s_delay_alu instid0(VALU_DEP_1) | instskip(SKIP_1) | instid1(VALU_DEP_2)
	v_lshrrev_b64 v[39:40], 1, v[37:38]
	v_lshrrev_b64 v[37:38], 6, v[37:38]
	v_add_co_u32 v6, vcc_lo, v39, v17
	s_delay_alu instid0(VALU_DEP_3) | instskip(NEXT) | instid1(VALU_DEP_2)
	v_add_co_ci_u32_e32 v10, vcc_lo, v40, v18, vcc_lo
	v_add_co_u32 v37, vcc_lo, v6, v37
	s_delay_alu instid0(VALU_DEP_2) | instskip(NEXT) | instid1(VALU_DEP_2)
	v_add_co_ci_u32_e32 v38, vcc_lo, v10, v38, vcc_lo
	v_add_co_u32 v6, s0, v37, 1
	s_delay_alu instid0(VALU_DEP_2) | instskip(SKIP_1) | instid1(VALU_DEP_2)
	v_lshlrev_b64 v[39:40], 3, v[37:38]
	v_add_co_ci_u32_e64 v10, s0, 0, v38, s0
	v_add_co_u32 v39, vcc_lo, s16, v39
	s_delay_alu instid0(VALU_DEP_3)
	v_add_co_ci_u32_e32 v40, vcc_lo, s17, v40, vcc_lo
	global_load_b64 v[39:40], v[39:40], off
	s_waitcnt vmcnt(0) lgkmcnt(11)
	v_cmp_gt_f64_e32 vcc_lo, v[39:40], v[21:22]
	v_dual_cndmask_b32 v36, v36, v38 :: v_dual_cndmask_b32 v35, v35, v37
	v_cndmask_b32_e32 v18, v10, v18, vcc_lo
	v_cndmask_b32_e32 v17, v6, v17, vcc_lo
	s_delay_alu instid0(VALU_DEP_1) | instskip(SKIP_1) | instid1(SALU_CYCLE_1)
	v_cmp_ge_u64_e32 vcc_lo, v[17:18], v[35:36]
	s_or_b32 s1, vcc_lo, s1
	s_and_not1_b32 exec_lo, exec_lo, s1
	s_cbranch_execnz .LBB337_19
; %bb.20:
	s_set_inst_prefetch_distance 0x2
	s_or_b32 exec_lo, exec_lo, s1
.LBB337_21:
	v_cmp_ne_u32_e32 vcc_lo, 1, v2
	s_waitcnt vmcnt(11) lgkmcnt(11)
	v_mov_b32_e32 v21, 0
	v_mov_b32_e32 v22, 0
	s_cbranch_vccnz .LBB337_25
; %bb.22:
	v_dual_mov_b32 v36, s19 :: v_dual_mov_b32 v35, s18
	s_mov_b32 s1, 0
	s_set_inst_prefetch_distance 0x1
	.p2align	6
.LBB337_23:                             ; =>This Inner Loop Header: Depth=1
	s_delay_alu instid0(VALU_DEP_1) | instskip(NEXT) | instid1(VALU_DEP_2)
	v_sub_co_u32 v37, vcc_lo, v35, v21
	v_sub_co_ci_u32_e32 v38, vcc_lo, v36, v22, vcc_lo
	s_delay_alu instid0(VALU_DEP_1) | instskip(SKIP_1) | instid1(VALU_DEP_2)
	v_lshrrev_b64 v[39:40], 1, v[37:38]
	v_lshrrev_b64 v[37:38], 6, v[37:38]
	v_add_co_u32 v6, vcc_lo, v39, v21
	s_delay_alu instid0(VALU_DEP_3) | instskip(NEXT) | instid1(VALU_DEP_2)
	v_add_co_ci_u32_e32 v10, vcc_lo, v40, v22, vcc_lo
	v_add_co_u32 v37, vcc_lo, v6, v37
	s_delay_alu instid0(VALU_DEP_2) | instskip(NEXT) | instid1(VALU_DEP_2)
	v_add_co_ci_u32_e32 v38, vcc_lo, v10, v38, vcc_lo
	v_add_co_u32 v6, s0, v37, 1
	s_delay_alu instid0(VALU_DEP_2) | instskip(SKIP_1) | instid1(VALU_DEP_2)
	v_lshlrev_b64 v[39:40], 3, v[37:38]
	v_add_co_ci_u32_e64 v10, s0, 0, v38, s0
	v_add_co_u32 v39, vcc_lo, s16, v39
	s_delay_alu instid0(VALU_DEP_3)
	v_add_co_ci_u32_e32 v40, vcc_lo, s17, v40, vcc_lo
	global_load_b64 v[39:40], v[39:40], off
	s_waitcnt vmcnt(0) lgkmcnt(10)
	v_cmp_gt_f64_e32 vcc_lo, v[39:40], v[25:26]
	v_dual_cndmask_b32 v36, v36, v38 :: v_dual_cndmask_b32 v35, v35, v37
	v_cndmask_b32_e32 v22, v10, v22, vcc_lo
	v_cndmask_b32_e32 v21, v6, v21, vcc_lo
	s_delay_alu instid0(VALU_DEP_1) | instskip(SKIP_1) | instid1(SALU_CYCLE_1)
	v_cmp_ge_u64_e32 vcc_lo, v[21:22], v[35:36]
	s_or_b32 s1, vcc_lo, s1
	s_and_not1_b32 exec_lo, exec_lo, s1
	s_cbranch_execnz .LBB337_23
; %bb.24:
	s_set_inst_prefetch_distance 0x2
	s_or_b32 exec_lo, exec_lo, s1
.LBB337_25:
	v_cmp_ne_u32_e32 vcc_lo, 1, v2
	s_waitcnt vmcnt(10) lgkmcnt(10)
	v_mov_b32_e32 v25, 0
	v_mov_b32_e32 v26, 0
	s_cbranch_vccnz .LBB337_29
; %bb.26:
	v_dual_mov_b32 v36, s19 :: v_dual_mov_b32 v35, s18
	s_mov_b32 s1, 0
	s_set_inst_prefetch_distance 0x1
	.p2align	6
.LBB337_27:                             ; =>This Inner Loop Header: Depth=1
	s_delay_alu instid0(VALU_DEP_1) | instskip(NEXT) | instid1(VALU_DEP_2)
	v_sub_co_u32 v37, vcc_lo, v35, v25
	v_sub_co_ci_u32_e32 v38, vcc_lo, v36, v26, vcc_lo
	s_delay_alu instid0(VALU_DEP_1) | instskip(SKIP_1) | instid1(VALU_DEP_2)
	v_lshrrev_b64 v[39:40], 1, v[37:38]
	v_lshrrev_b64 v[37:38], 6, v[37:38]
	v_add_co_u32 v6, vcc_lo, v39, v25
	s_delay_alu instid0(VALU_DEP_3) | instskip(NEXT) | instid1(VALU_DEP_2)
	v_add_co_ci_u32_e32 v10, vcc_lo, v40, v26, vcc_lo
	v_add_co_u32 v37, vcc_lo, v6, v37
	s_delay_alu instid0(VALU_DEP_2) | instskip(NEXT) | instid1(VALU_DEP_2)
	v_add_co_ci_u32_e32 v38, vcc_lo, v10, v38, vcc_lo
	v_add_co_u32 v6, s0, v37, 1
	s_delay_alu instid0(VALU_DEP_2) | instskip(SKIP_1) | instid1(VALU_DEP_2)
	v_lshlrev_b64 v[39:40], 3, v[37:38]
	v_add_co_ci_u32_e64 v10, s0, 0, v38, s0
	v_add_co_u32 v39, vcc_lo, s16, v39
	s_delay_alu instid0(VALU_DEP_3)
	v_add_co_ci_u32_e32 v40, vcc_lo, s17, v40, vcc_lo
	global_load_b64 v[39:40], v[39:40], off
	s_waitcnt vmcnt(0) lgkmcnt(9)
	v_cmp_gt_f64_e32 vcc_lo, v[39:40], v[29:30]
	v_dual_cndmask_b32 v36, v36, v38 :: v_dual_cndmask_b32 v35, v35, v37
	v_cndmask_b32_e32 v26, v10, v26, vcc_lo
	v_cndmask_b32_e32 v25, v6, v25, vcc_lo
	s_delay_alu instid0(VALU_DEP_1) | instskip(SKIP_1) | instid1(SALU_CYCLE_1)
	v_cmp_ge_u64_e32 vcc_lo, v[25:26], v[35:36]
	s_or_b32 s1, vcc_lo, s1
	s_and_not1_b32 exec_lo, exec_lo, s1
	s_cbranch_execnz .LBB337_27
; %bb.28:
	s_set_inst_prefetch_distance 0x2
	s_or_b32 exec_lo, exec_lo, s1
.LBB337_29:
	v_cmp_ne_u32_e32 vcc_lo, 1, v2
	s_waitcnt vmcnt(9) lgkmcnt(9)
	v_mov_b32_e32 v29, 0
	v_mov_b32_e32 v30, 0
	s_cbranch_vccnz .LBB337_33
; %bb.30:
	v_dual_mov_b32 v36, s19 :: v_dual_mov_b32 v35, s18
	s_mov_b32 s1, 0
	s_set_inst_prefetch_distance 0x1
	.p2align	6
.LBB337_31:                             ; =>This Inner Loop Header: Depth=1
	s_delay_alu instid0(VALU_DEP_1) | instskip(NEXT) | instid1(VALU_DEP_2)
	v_sub_co_u32 v37, vcc_lo, v35, v29
	v_sub_co_ci_u32_e32 v38, vcc_lo, v36, v30, vcc_lo
	s_delay_alu instid0(VALU_DEP_1) | instskip(SKIP_1) | instid1(VALU_DEP_2)
	v_lshrrev_b64 v[39:40], 1, v[37:38]
	v_lshrrev_b64 v[37:38], 6, v[37:38]
	v_add_co_u32 v6, vcc_lo, v39, v29
	s_delay_alu instid0(VALU_DEP_3) | instskip(NEXT) | instid1(VALU_DEP_2)
	v_add_co_ci_u32_e32 v10, vcc_lo, v40, v30, vcc_lo
	v_add_co_u32 v37, vcc_lo, v6, v37
	s_delay_alu instid0(VALU_DEP_2) | instskip(NEXT) | instid1(VALU_DEP_2)
	v_add_co_ci_u32_e32 v38, vcc_lo, v10, v38, vcc_lo
	v_add_co_u32 v6, s0, v37, 1
	s_delay_alu instid0(VALU_DEP_2) | instskip(SKIP_1) | instid1(VALU_DEP_2)
	v_lshlrev_b64 v[39:40], 3, v[37:38]
	v_add_co_ci_u32_e64 v10, s0, 0, v38, s0
	v_add_co_u32 v39, vcc_lo, s16, v39
	s_delay_alu instid0(VALU_DEP_3)
	v_add_co_ci_u32_e32 v40, vcc_lo, s17, v40, vcc_lo
	global_load_b64 v[39:40], v[39:40], off
	s_waitcnt vmcnt(0) lgkmcnt(8)
	v_cmp_gt_f64_e32 vcc_lo, v[39:40], v[33:34]
	v_dual_cndmask_b32 v36, v36, v38 :: v_dual_cndmask_b32 v35, v35, v37
	v_cndmask_b32_e32 v30, v10, v30, vcc_lo
	v_cndmask_b32_e32 v29, v6, v29, vcc_lo
	s_delay_alu instid0(VALU_DEP_1) | instskip(SKIP_1) | instid1(SALU_CYCLE_1)
	v_cmp_ge_u64_e32 vcc_lo, v[29:30], v[35:36]
	s_or_b32 s1, vcc_lo, s1
	s_and_not1_b32 exec_lo, exec_lo, s1
	s_cbranch_execnz .LBB337_31
; %bb.32:
	s_set_inst_prefetch_distance 0x2
	s_or_b32 exec_lo, exec_lo, s1
.LBB337_33:
	v_cmp_ne_u32_e32 vcc_lo, 1, v2
	s_cbranch_vccnz .LBB337_59
; %bb.34:
	s_waitcnt vmcnt(8) lgkmcnt(8)
	v_dual_mov_b32 v33, 0 :: v_dual_mov_b32 v36, s19
	v_dual_mov_b32 v34, 0 :: v_dual_mov_b32 v35, s18
	s_mov_b32 s1, 0
	s_set_inst_prefetch_distance 0x1
	.p2align	6
.LBB337_35:                             ; =>This Inner Loop Header: Depth=1
	s_delay_alu instid0(VALU_DEP_1) | instskip(NEXT) | instid1(VALU_DEP_2)
	v_sub_co_u32 v37, vcc_lo, v35, v33
	v_sub_co_ci_u32_e32 v38, vcc_lo, v36, v34, vcc_lo
	s_delay_alu instid0(VALU_DEP_1) | instskip(SKIP_1) | instid1(VALU_DEP_2)
	v_lshrrev_b64 v[39:40], 1, v[37:38]
	v_lshrrev_b64 v[37:38], 6, v[37:38]
	v_add_co_u32 v6, vcc_lo, v39, v33
	s_delay_alu instid0(VALU_DEP_3) | instskip(NEXT) | instid1(VALU_DEP_2)
	v_add_co_ci_u32_e32 v10, vcc_lo, v40, v34, vcc_lo
	v_add_co_u32 v37, vcc_lo, v6, v37
	s_delay_alu instid0(VALU_DEP_2) | instskip(NEXT) | instid1(VALU_DEP_2)
	v_add_co_ci_u32_e32 v38, vcc_lo, v10, v38, vcc_lo
	v_add_co_u32 v6, s0, v37, 1
	s_delay_alu instid0(VALU_DEP_2) | instskip(SKIP_1) | instid1(VALU_DEP_2)
	v_lshlrev_b64 v[39:40], 3, v[37:38]
	v_add_co_ci_u32_e64 v10, s0, 0, v38, s0
	v_add_co_u32 v39, vcc_lo, s16, v39
	s_delay_alu instid0(VALU_DEP_3)
	v_add_co_ci_u32_e32 v40, vcc_lo, s17, v40, vcc_lo
	global_load_b64 v[39:40], v[39:40], off
	s_waitcnt vmcnt(0) lgkmcnt(7)
	v_cmp_gt_f64_e32 vcc_lo, v[39:40], v[31:32]
	v_dual_cndmask_b32 v36, v36, v38 :: v_dual_cndmask_b32 v35, v35, v37
	v_cndmask_b32_e32 v34, v10, v34, vcc_lo
	v_cndmask_b32_e32 v33, v6, v33, vcc_lo
	s_delay_alu instid0(VALU_DEP_1) | instskip(SKIP_1) | instid1(SALU_CYCLE_1)
	v_cmp_ge_u64_e32 vcc_lo, v[33:34], v[35:36]
	s_or_b32 s1, vcc_lo, s1
	s_and_not1_b32 exec_lo, exec_lo, s1
	s_cbranch_execnz .LBB337_35
; %bb.36:
	s_set_inst_prefetch_distance 0x2
	s_or_b32 exec_lo, exec_lo, s1
	v_cmp_ne_u32_e32 vcc_lo, 1, v2
	s_cbranch_vccnz .LBB337_60
.LBB337_37:
	s_waitcnt vmcnt(7) lgkmcnt(7)
	v_dual_mov_b32 v30, 0 :: v_dual_mov_b32 v35, s19
	v_dual_mov_b32 v31, 0 :: v_dual_mov_b32 v34, s18
	s_mov_b32 s1, 0
	s_set_inst_prefetch_distance 0x1
	.p2align	6
.LBB337_38:                             ; =>This Inner Loop Header: Depth=1
	s_delay_alu instid0(VALU_DEP_1) | instskip(NEXT) | instid1(VALU_DEP_2)
	v_sub_co_u32 v36, vcc_lo, v34, v30
	v_sub_co_ci_u32_e32 v37, vcc_lo, v35, v31, vcc_lo
	s_delay_alu instid0(VALU_DEP_1) | instskip(SKIP_1) | instid1(VALU_DEP_2)
	v_lshrrev_b64 v[38:39], 1, v[36:37]
	v_lshrrev_b64 v[36:37], 6, v[36:37]
	v_add_co_u32 v6, vcc_lo, v38, v30
	s_delay_alu instid0(VALU_DEP_3) | instskip(NEXT) | instid1(VALU_DEP_2)
	v_add_co_ci_u32_e32 v10, vcc_lo, v39, v31, vcc_lo
	v_add_co_u32 v36, vcc_lo, v6, v36
	s_delay_alu instid0(VALU_DEP_2) | instskip(NEXT) | instid1(VALU_DEP_2)
	v_add_co_ci_u32_e32 v37, vcc_lo, v10, v37, vcc_lo
	v_add_co_u32 v6, s0, v36, 1
	s_delay_alu instid0(VALU_DEP_2) | instskip(SKIP_1) | instid1(VALU_DEP_2)
	v_lshlrev_b64 v[38:39], 3, v[36:37]
	v_add_co_ci_u32_e64 v10, s0, 0, v37, s0
	v_add_co_u32 v38, vcc_lo, s16, v38
	s_delay_alu instid0(VALU_DEP_3)
	v_add_co_ci_u32_e32 v39, vcc_lo, s17, v39, vcc_lo
	global_load_b64 v[38:39], v[38:39], off
	s_waitcnt vmcnt(0) lgkmcnt(6)
	v_cmp_gt_f64_e32 vcc_lo, v[38:39], v[27:28]
	v_dual_cndmask_b32 v35, v35, v37 :: v_dual_cndmask_b32 v34, v34, v36
	v_cndmask_b32_e32 v31, v10, v31, vcc_lo
	v_cndmask_b32_e32 v30, v6, v30, vcc_lo
	s_delay_alu instid0(VALU_DEP_1) | instskip(SKIP_1) | instid1(SALU_CYCLE_1)
	v_cmp_ge_u64_e32 vcc_lo, v[30:31], v[34:35]
	s_or_b32 s1, vcc_lo, s1
	s_and_not1_b32 exec_lo, exec_lo, s1
	s_cbranch_execnz .LBB337_38
; %bb.39:
	s_set_inst_prefetch_distance 0x2
	s_or_b32 exec_lo, exec_lo, s1
	v_cmp_ne_u32_e32 vcc_lo, 1, v2
	s_cbranch_vccnz .LBB337_61
.LBB337_40:
	s_waitcnt vmcnt(6) lgkmcnt(6)
	v_mov_b32_e32 v26, 0
	v_dual_mov_b32 v27, 0 :: v_dual_mov_b32 v32, s19
	v_mov_b32_e32 v31, s18
	s_mov_b32 s1, 0
	s_set_inst_prefetch_distance 0x1
	.p2align	6
.LBB337_41:                             ; =>This Inner Loop Header: Depth=1
	s_delay_alu instid0(VALU_DEP_1) | instskip(SKIP_1) | instid1(VALU_DEP_1)
	v_sub_co_u32 v34, vcc_lo, v31, v26
	v_sub_co_ci_u32_e32 v35, vcc_lo, v32, v27, vcc_lo
	v_lshrrev_b64 v[36:37], 1, v[34:35]
	v_lshrrev_b64 v[34:35], 6, v[34:35]
	s_delay_alu instid0(VALU_DEP_2) | instskip(NEXT) | instid1(VALU_DEP_3)
	v_add_co_u32 v6, vcc_lo, v36, v26
	v_add_co_ci_u32_e32 v10, vcc_lo, v37, v27, vcc_lo
	s_delay_alu instid0(VALU_DEP_2) | instskip(NEXT) | instid1(VALU_DEP_2)
	v_add_co_u32 v34, vcc_lo, v6, v34
	v_add_co_ci_u32_e32 v35, vcc_lo, v10, v35, vcc_lo
	s_delay_alu instid0(VALU_DEP_2) | instskip(NEXT) | instid1(VALU_DEP_2)
	v_add_co_u32 v6, s0, v34, 1
	v_lshlrev_b64 v[36:37], 3, v[34:35]
	v_add_co_ci_u32_e64 v10, s0, 0, v35, s0
	s_delay_alu instid0(VALU_DEP_2) | instskip(NEXT) | instid1(VALU_DEP_3)
	v_add_co_u32 v36, vcc_lo, s16, v36
	v_add_co_ci_u32_e32 v37, vcc_lo, s17, v37, vcc_lo
	global_load_b64 v[36:37], v[36:37], off
	s_waitcnt vmcnt(0) lgkmcnt(5)
	v_cmp_gt_f64_e32 vcc_lo, v[36:37], v[23:24]
	v_dual_cndmask_b32 v32, v32, v35 :: v_dual_cndmask_b32 v31, v31, v34
	v_cndmask_b32_e32 v27, v10, v27, vcc_lo
	v_cndmask_b32_e32 v26, v6, v26, vcc_lo
	s_delay_alu instid0(VALU_DEP_1) | instskip(SKIP_1) | instid1(SALU_CYCLE_1)
	v_cmp_ge_u64_e32 vcc_lo, v[26:27], v[31:32]
	s_or_b32 s1, vcc_lo, s1
	s_and_not1_b32 exec_lo, exec_lo, s1
	s_cbranch_execnz .LBB337_41
; %bb.42:
	s_set_inst_prefetch_distance 0x2
	s_or_b32 exec_lo, exec_lo, s1
	v_cmp_ne_u32_e32 vcc_lo, 1, v2
	s_cbranch_vccnz .LBB337_62
.LBB337_43:
	s_waitcnt vmcnt(5) lgkmcnt(5)
	v_mov_b32_e32 v22, 0
	v_dual_mov_b32 v23, 0 :: v_dual_mov_b32 v28, s19
	v_mov_b32_e32 v27, s18
	s_mov_b32 s1, 0
	s_set_inst_prefetch_distance 0x1
	.p2align	6
.LBB337_44:                             ; =>This Inner Loop Header: Depth=1
	s_delay_alu instid0(VALU_DEP_1) | instskip(SKIP_1) | instid1(VALU_DEP_1)
	v_sub_co_u32 v31, vcc_lo, v27, v22
	v_sub_co_ci_u32_e32 v32, vcc_lo, v28, v23, vcc_lo
	v_lshrrev_b64 v[34:35], 1, v[31:32]
	v_lshrrev_b64 v[31:32], 6, v[31:32]
	s_delay_alu instid0(VALU_DEP_2) | instskip(NEXT) | instid1(VALU_DEP_3)
	v_add_co_u32 v6, vcc_lo, v34, v22
	v_add_co_ci_u32_e32 v10, vcc_lo, v35, v23, vcc_lo
	s_delay_alu instid0(VALU_DEP_2) | instskip(NEXT) | instid1(VALU_DEP_2)
	v_add_co_u32 v31, vcc_lo, v6, v31
	v_add_co_ci_u32_e32 v32, vcc_lo, v10, v32, vcc_lo
	s_delay_alu instid0(VALU_DEP_2) | instskip(NEXT) | instid1(VALU_DEP_2)
	v_add_co_u32 v6, s0, v31, 1
	v_lshlrev_b64 v[34:35], 3, v[31:32]
	v_add_co_ci_u32_e64 v10, s0, 0, v32, s0
	s_delay_alu instid0(VALU_DEP_2) | instskip(NEXT) | instid1(VALU_DEP_3)
	v_add_co_u32 v34, vcc_lo, s16, v34
	v_add_co_ci_u32_e32 v35, vcc_lo, s17, v35, vcc_lo
	global_load_b64 v[34:35], v[34:35], off
	s_waitcnt vmcnt(0) lgkmcnt(4)
	v_cmp_gt_f64_e32 vcc_lo, v[34:35], v[19:20]
	v_dual_cndmask_b32 v28, v28, v32 :: v_dual_cndmask_b32 v27, v27, v31
	v_cndmask_b32_e32 v23, v10, v23, vcc_lo
	v_cndmask_b32_e32 v22, v6, v22, vcc_lo
	s_delay_alu instid0(VALU_DEP_1) | instskip(SKIP_1) | instid1(SALU_CYCLE_1)
	v_cmp_ge_u64_e32 vcc_lo, v[22:23], v[27:28]
	s_or_b32 s1, vcc_lo, s1
	s_and_not1_b32 exec_lo, exec_lo, s1
	s_cbranch_execnz .LBB337_44
; %bb.45:
	s_set_inst_prefetch_distance 0x2
	s_or_b32 exec_lo, exec_lo, s1
	v_cmp_ne_u32_e32 vcc_lo, 1, v2
	s_cbranch_vccnz .LBB337_63
.LBB337_46:
	s_waitcnt vmcnt(4) lgkmcnt(4)
	v_mov_b32_e32 v18, 0
	v_dual_mov_b32 v19, 0 :: v_dual_mov_b32 v24, s19
	v_mov_b32_e32 v23, s18
	s_mov_b32 s1, 0
	s_set_inst_prefetch_distance 0x1
	.p2align	6
.LBB337_47:                             ; =>This Inner Loop Header: Depth=1
	s_delay_alu instid0(VALU_DEP_1) | instskip(SKIP_1) | instid1(VALU_DEP_1)
	v_sub_co_u32 v27, vcc_lo, v23, v18
	v_sub_co_ci_u32_e32 v28, vcc_lo, v24, v19, vcc_lo
	v_lshrrev_b64 v[31:32], 1, v[27:28]
	v_lshrrev_b64 v[27:28], 6, v[27:28]
	s_delay_alu instid0(VALU_DEP_2) | instskip(NEXT) | instid1(VALU_DEP_3)
	v_add_co_u32 v6, vcc_lo, v31, v18
	v_add_co_ci_u32_e32 v10, vcc_lo, v32, v19, vcc_lo
	s_delay_alu instid0(VALU_DEP_2) | instskip(NEXT) | instid1(VALU_DEP_2)
	v_add_co_u32 v27, vcc_lo, v6, v27
	v_add_co_ci_u32_e32 v28, vcc_lo, v10, v28, vcc_lo
	s_delay_alu instid0(VALU_DEP_2) | instskip(NEXT) | instid1(VALU_DEP_2)
	v_add_co_u32 v6, s0, v27, 1
	v_lshlrev_b64 v[31:32], 3, v[27:28]
	v_add_co_ci_u32_e64 v10, s0, 0, v28, s0
	s_delay_alu instid0(VALU_DEP_2) | instskip(NEXT) | instid1(VALU_DEP_3)
	v_add_co_u32 v31, vcc_lo, s16, v31
	v_add_co_ci_u32_e32 v32, vcc_lo, s17, v32, vcc_lo
	global_load_b64 v[31:32], v[31:32], off
	s_waitcnt vmcnt(0) lgkmcnt(3)
	v_cmp_gt_f64_e32 vcc_lo, v[31:32], v[15:16]
	v_dual_cndmask_b32 v24, v24, v28 :: v_dual_cndmask_b32 v23, v23, v27
	v_cndmask_b32_e32 v19, v10, v19, vcc_lo
	v_cndmask_b32_e32 v18, v6, v18, vcc_lo
	s_delay_alu instid0(VALU_DEP_1) | instskip(SKIP_1) | instid1(SALU_CYCLE_1)
	v_cmp_ge_u64_e32 vcc_lo, v[18:19], v[23:24]
	s_or_b32 s1, vcc_lo, s1
	s_and_not1_b32 exec_lo, exec_lo, s1
	s_cbranch_execnz .LBB337_47
; %bb.48:
	s_set_inst_prefetch_distance 0x2
	s_or_b32 exec_lo, exec_lo, s1
	v_cmp_ne_u32_e32 vcc_lo, 1, v2
	s_cbranch_vccnz .LBB337_64
.LBB337_49:
	s_waitcnt vmcnt(3) lgkmcnt(3)
	v_mov_b32_e32 v14, 0
	v_dual_mov_b32 v15, 0 :: v_dual_mov_b32 v20, s19
	v_mov_b32_e32 v19, s18
	s_mov_b32 s1, 0
	s_set_inst_prefetch_distance 0x1
	.p2align	6
.LBB337_50:                             ; =>This Inner Loop Header: Depth=1
	s_delay_alu instid0(VALU_DEP_1) | instskip(SKIP_1) | instid1(VALU_DEP_1)
	v_sub_co_u32 v23, vcc_lo, v19, v14
	v_sub_co_ci_u32_e32 v24, vcc_lo, v20, v15, vcc_lo
	v_lshrrev_b64 v[27:28], 1, v[23:24]
	v_lshrrev_b64 v[23:24], 6, v[23:24]
	s_delay_alu instid0(VALU_DEP_2) | instskip(NEXT) | instid1(VALU_DEP_3)
	v_add_co_u32 v6, vcc_lo, v27, v14
	v_add_co_ci_u32_e32 v10, vcc_lo, v28, v15, vcc_lo
	s_delay_alu instid0(VALU_DEP_2) | instskip(NEXT) | instid1(VALU_DEP_2)
	v_add_co_u32 v23, vcc_lo, v6, v23
	v_add_co_ci_u32_e32 v24, vcc_lo, v10, v24, vcc_lo
	s_delay_alu instid0(VALU_DEP_2) | instskip(NEXT) | instid1(VALU_DEP_2)
	v_add_co_u32 v6, s0, v23, 1
	v_lshlrev_b64 v[27:28], 3, v[23:24]
	v_add_co_ci_u32_e64 v10, s0, 0, v24, s0
	s_delay_alu instid0(VALU_DEP_2) | instskip(NEXT) | instid1(VALU_DEP_3)
	v_add_co_u32 v27, vcc_lo, s16, v27
	v_add_co_ci_u32_e32 v28, vcc_lo, s17, v28, vcc_lo
	global_load_b64 v[27:28], v[27:28], off
	s_waitcnt vmcnt(0) lgkmcnt(2)
	v_cmp_gt_f64_e32 vcc_lo, v[27:28], v[11:12]
	v_dual_cndmask_b32 v20, v20, v24 :: v_dual_cndmask_b32 v19, v19, v23
	v_cndmask_b32_e32 v15, v10, v15, vcc_lo
	v_cndmask_b32_e32 v14, v6, v14, vcc_lo
	s_delay_alu instid0(VALU_DEP_1) | instskip(SKIP_1) | instid1(SALU_CYCLE_1)
	v_cmp_ge_u64_e32 vcc_lo, v[14:15], v[19:20]
	s_or_b32 s1, vcc_lo, s1
	s_and_not1_b32 exec_lo, exec_lo, s1
	s_cbranch_execnz .LBB337_50
; %bb.51:
	s_set_inst_prefetch_distance 0x2
	s_or_b32 exec_lo, exec_lo, s1
	v_cmp_ne_u32_e32 vcc_lo, 1, v2
	s_cbranch_vccnz .LBB337_65
.LBB337_52:
	s_waitcnt vmcnt(2) lgkmcnt(2)
	v_dual_mov_b32 v10, 0 :: v_dual_mov_b32 v15, s18
	v_dual_mov_b32 v11, 0 :: v_dual_mov_b32 v16, s19
	s_mov_b32 s1, 0
	s_set_inst_prefetch_distance 0x1
	.p2align	6
.LBB337_53:                             ; =>This Inner Loop Header: Depth=1
	s_delay_alu instid0(VALU_DEP_2) | instskip(NEXT) | instid1(VALU_DEP_2)
	v_sub_co_u32 v19, vcc_lo, v15, v10
	v_sub_co_ci_u32_e32 v20, vcc_lo, v16, v11, vcc_lo
	s_delay_alu instid0(VALU_DEP_1) | instskip(SKIP_1) | instid1(VALU_DEP_2)
	v_lshrrev_b64 v[23:24], 1, v[19:20]
	v_lshrrev_b64 v[19:20], 6, v[19:20]
	v_add_co_u32 v6, vcc_lo, v23, v10
	s_delay_alu instid0(VALU_DEP_3) | instskip(NEXT) | instid1(VALU_DEP_2)
	v_add_co_ci_u32_e32 v12, vcc_lo, v24, v11, vcc_lo
	v_add_co_u32 v19, vcc_lo, v6, v19
	s_delay_alu instid0(VALU_DEP_2) | instskip(NEXT) | instid1(VALU_DEP_2)
	v_add_co_ci_u32_e32 v20, vcc_lo, v12, v20, vcc_lo
	v_add_co_u32 v6, s0, v19, 1
	s_delay_alu instid0(VALU_DEP_2) | instskip(SKIP_1) | instid1(VALU_DEP_2)
	v_lshlrev_b64 v[23:24], 3, v[19:20]
	v_add_co_ci_u32_e64 v12, s0, 0, v20, s0
	v_add_co_u32 v23, vcc_lo, s16, v23
	s_delay_alu instid0(VALU_DEP_3)
	v_add_co_ci_u32_e32 v24, vcc_lo, s17, v24, vcc_lo
	global_load_b64 v[23:24], v[23:24], off
	s_waitcnt vmcnt(0) lgkmcnt(1)
	v_cmp_gt_f64_e32 vcc_lo, v[23:24], v[7:8]
	v_dual_cndmask_b32 v16, v16, v20 :: v_dual_cndmask_b32 v15, v15, v19
	v_dual_cndmask_b32 v11, v12, v11 :: v_dual_cndmask_b32 v10, v6, v10
	s_delay_alu instid0(VALU_DEP_1) | instskip(SKIP_1) | instid1(SALU_CYCLE_1)
	v_cmp_ge_u64_e32 vcc_lo, v[10:11], v[15:16]
	s_or_b32 s1, vcc_lo, s1
	s_and_not1_b32 exec_lo, exec_lo, s1
	s_cbranch_execnz .LBB337_53
; %bb.54:
	s_set_inst_prefetch_distance 0x2
	s_or_b32 exec_lo, exec_lo, s1
	v_cmp_ne_u32_e32 vcc_lo, 1, v2
	s_cbranch_vccnz .LBB337_66
.LBB337_55:
	s_waitcnt vmcnt(1) lgkmcnt(1)
	v_dual_mov_b32 v6, 0 :: v_dual_mov_b32 v11, s18
	v_dual_mov_b32 v7, 0 :: v_dual_mov_b32 v12, s19
	s_mov_b32 s1, 0
	s_set_inst_prefetch_distance 0x1
	.p2align	6
.LBB337_56:                             ; =>This Inner Loop Header: Depth=1
	s_delay_alu instid0(VALU_DEP_2) | instskip(NEXT) | instid1(VALU_DEP_2)
	v_sub_co_u32 v15, vcc_lo, v11, v6
	v_sub_co_ci_u32_e32 v16, vcc_lo, v12, v7, vcc_lo
	s_delay_alu instid0(VALU_DEP_1) | instskip(SKIP_1) | instid1(VALU_DEP_2)
	v_lshrrev_b64 v[19:20], 1, v[15:16]
	v_lshrrev_b64 v[15:16], 6, v[15:16]
	v_add_co_u32 v2, vcc_lo, v19, v6
	s_delay_alu instid0(VALU_DEP_3) | instskip(NEXT) | instid1(VALU_DEP_2)
	v_add_co_ci_u32_e32 v8, vcc_lo, v20, v7, vcc_lo
	v_add_co_u32 v15, vcc_lo, v2, v15
	s_delay_alu instid0(VALU_DEP_2) | instskip(NEXT) | instid1(VALU_DEP_2)
	v_add_co_ci_u32_e32 v16, vcc_lo, v8, v16, vcc_lo
	v_add_co_u32 v2, s0, v15, 1
	s_delay_alu instid0(VALU_DEP_2) | instskip(SKIP_1) | instid1(VALU_DEP_2)
	v_lshlrev_b64 v[19:20], 3, v[15:16]
	v_add_co_ci_u32_e64 v8, s0, 0, v16, s0
	v_add_co_u32 v19, vcc_lo, s16, v19
	s_delay_alu instid0(VALU_DEP_3)
	v_add_co_ci_u32_e32 v20, vcc_lo, s17, v20, vcc_lo
	global_load_b64 v[19:20], v[19:20], off
	s_waitcnt vmcnt(0) lgkmcnt(0)
	v_cmp_gt_f64_e32 vcc_lo, v[19:20], v[3:4]
	v_dual_cndmask_b32 v12, v12, v16 :: v_dual_cndmask_b32 v11, v11, v15
	v_dual_cndmask_b32 v7, v8, v7 :: v_dual_cndmask_b32 v6, v2, v6
	s_delay_alu instid0(VALU_DEP_1) | instskip(SKIP_1) | instid1(SALU_CYCLE_1)
	v_cmp_ge_u64_e32 vcc_lo, v[6:7], v[11:12]
	s_or_b32 s1, vcc_lo, s1
	s_and_not1_b32 exec_lo, exec_lo, s1
	s_cbranch_execnz .LBB337_56
; %bb.57:
	s_set_inst_prefetch_distance 0x2
	s_or_b32 exec_lo, exec_lo, s1
	s_branch .LBB337_67
.LBB337_58:
	s_mov_b32 s24, s21
                                        ; implicit-def: $vgpr6
                                        ; implicit-def: $vgpr2_vgpr3
	s_and_b32 vcc_lo, exec_lo, s0
	s_cbranch_vccnz .LBB337_68
	s_branch .LBB337_197
.LBB337_59:
	s_waitcnt vmcnt(8) lgkmcnt(8)
	v_mov_b32_e32 v33, 0
	v_cmp_ne_u32_e32 vcc_lo, 1, v2
	s_cbranch_vccz .LBB337_37
.LBB337_60:
	v_mov_b32_e32 v30, 0
	v_cmp_ne_u32_e32 vcc_lo, 1, v2
	s_cbranch_vccz .LBB337_40
.LBB337_61:
	v_mov_b32_e32 v26, 0
	v_cmp_ne_u32_e32 vcc_lo, 1, v2
	s_cbranch_vccz .LBB337_43
.LBB337_62:
	v_mov_b32_e32 v22, 0
	v_cmp_ne_u32_e32 vcc_lo, 1, v2
	s_cbranch_vccz .LBB337_46
.LBB337_63:
	v_mov_b32_e32 v18, 0
	v_cmp_ne_u32_e32 vcc_lo, 1, v2
	s_cbranch_vccz .LBB337_49
.LBB337_64:
	v_mov_b32_e32 v14, 0
	v_cmp_ne_u32_e32 vcc_lo, 1, v2
	s_cbranch_vccz .LBB337_52
.LBB337_65:
	v_mov_b32_e32 v10, 0
	v_cmp_ne_u32_e32 vcc_lo, 1, v2
	s_cbranch_vccz .LBB337_55
.LBB337_66:
	v_mov_b32_e32 v6, 0
.LBB337_67:
	v_lshlrev_b32_e32 v2, 2, v0
	s_lshl_b64 s[0:1], s[20:21], 2
	s_mov_b32 s24, -1
	s_add_u32 s0, s22, s0
	s_addc_u32 s1, s23, s1
	v_add_co_u32 v2, s0, s0, v2
	s_waitcnt vmcnt(0) lgkmcnt(0)
	v_add_co_ci_u32_e64 v3, null, s1, 0, s0
	s_clause 0xe
	flat_store_b32 v[2:3], v1
	flat_store_b32 v[2:3], v5 offset:256
	flat_store_b32 v[2:3], v9 offset:512
	;; [unrolled: 1-line block ×14, first 2 shown]
	s_branch .LBB337_197
.LBB337_68:
	s_sub_i32 s15, s8, s20
                                        ; implicit-def: $vgpr5_vgpr6
	s_delay_alu instid0(SALU_CYCLE_1) | instskip(NEXT) | instid1(VALU_DEP_1)
	v_cmp_gt_u32_e64 s0, s15, v0
	s_and_saveexec_b32 s1, s0
	s_cbranch_execz .LBB337_70
; %bb.69:
	v_lshlrev_b32_e32 v1, 3, v0
	s_delay_alu instid0(VALU_DEP_1) | instskip(NEXT) | instid1(VALU_DEP_1)
	v_add_co_u32 v1, s2, s25, v1
	v_add_co_ci_u32_e64 v2, null, s26, 0, s2
	flat_load_b64 v[5:6], v[1:2]
.LBB337_70:
	s_or_b32 exec_lo, exec_lo, s1
	v_or_b32_e32 v1, 64, v0
                                        ; implicit-def: $vgpr11_vgpr12
	s_delay_alu instid0(VALU_DEP_1) | instskip(NEXT) | instid1(VALU_DEP_1)
	v_cmp_gt_u32_e64 s1, s15, v1
	s_and_saveexec_b32 s2, s1
	s_cbranch_execz .LBB337_72
; %bb.71:
	v_lshlrev_b32_e32 v1, 3, v0
	s_delay_alu instid0(VALU_DEP_1) | instskip(NEXT) | instid1(VALU_DEP_1)
	v_add_co_u32 v1, s3, s25, v1
	v_add_co_ci_u32_e64 v2, null, s26, 0, s3
	flat_load_b64 v[11:12], v[1:2] offset:512
.LBB337_72:
	s_or_b32 exec_lo, exec_lo, s2
	v_or_b32_e32 v1, 0x80, v0
                                        ; implicit-def: $vgpr15_vgpr16
	s_delay_alu instid0(VALU_DEP_1) | instskip(NEXT) | instid1(VALU_DEP_1)
	v_cmp_gt_u32_e64 s2, s15, v1
	s_and_saveexec_b32 s3, s2
	s_cbranch_execz .LBB337_74
; %bb.73:
	v_lshlrev_b32_e32 v1, 3, v0
	s_delay_alu instid0(VALU_DEP_1) | instskip(NEXT) | instid1(VALU_DEP_1)
	v_add_co_u32 v1, s4, s25, v1
	v_add_co_ci_u32_e64 v2, null, s26, 0, s4
	flat_load_b64 v[15:16], v[1:2] offset:1024
.LBB337_74:
	s_or_b32 exec_lo, exec_lo, s3
	v_or_b32_e32 v1, 0xc0, v0
                                        ; implicit-def: $vgpr19_vgpr20
	s_delay_alu instid0(VALU_DEP_1) | instskip(NEXT) | instid1(VALU_DEP_1)
	v_cmp_gt_u32_e64 s3, s15, v1
	s_and_saveexec_b32 s4, s3
	s_cbranch_execz .LBB337_76
; %bb.75:
	v_lshlrev_b32_e32 v1, 3, v0
	s_delay_alu instid0(VALU_DEP_1) | instskip(NEXT) | instid1(VALU_DEP_1)
	v_add_co_u32 v1, s5, s25, v1
	v_add_co_ci_u32_e64 v2, null, s26, 0, s5
	flat_load_b64 v[19:20], v[1:2] offset:1536
.LBB337_76:
	s_or_b32 exec_lo, exec_lo, s4
	v_or_b32_e32 v1, 0x100, v0
                                        ; implicit-def: $vgpr23_vgpr24
	s_delay_alu instid0(VALU_DEP_1) | instskip(NEXT) | instid1(VALU_DEP_1)
	v_cmp_gt_u32_e64 s4, s15, v1
	s_and_saveexec_b32 s5, s4
	s_cbranch_execz .LBB337_78
; %bb.77:
	v_lshlrev_b32_e32 v1, 3, v0
	s_delay_alu instid0(VALU_DEP_1) | instskip(NEXT) | instid1(VALU_DEP_1)
	v_add_co_u32 v1, s6, s25, v1
	v_add_co_ci_u32_e64 v2, null, s26, 0, s6
	flat_load_b64 v[23:24], v[1:2] offset:2048
.LBB337_78:
	s_or_b32 exec_lo, exec_lo, s5
	v_or_b32_e32 v1, 0x140, v0
                                        ; implicit-def: $vgpr27_vgpr28
	s_delay_alu instid0(VALU_DEP_1) | instskip(NEXT) | instid1(VALU_DEP_1)
	v_cmp_gt_u32_e64 s5, s15, v1
	s_and_saveexec_b32 s6, s5
	s_cbranch_execz .LBB337_80
; %bb.79:
	v_lshlrev_b32_e32 v1, 3, v0
	s_delay_alu instid0(VALU_DEP_1) | instskip(NEXT) | instid1(VALU_DEP_1)
	v_add_co_u32 v1, s7, s25, v1
	v_add_co_ci_u32_e64 v2, null, s26, 0, s7
	flat_load_b64 v[27:28], v[1:2] offset:2560
.LBB337_80:
	s_or_b32 exec_lo, exec_lo, s6
	v_or_b32_e32 v1, 0x180, v0
                                        ; implicit-def: $vgpr31_vgpr32
	s_delay_alu instid0(VALU_DEP_1) | instskip(NEXT) | instid1(VALU_DEP_1)
	v_cmp_gt_u32_e64 s6, s15, v1
	s_and_saveexec_b32 s7, s6
	s_cbranch_execz .LBB337_82
; %bb.81:
	v_lshlrev_b32_e32 v1, 3, v0
	s_delay_alu instid0(VALU_DEP_1) | instskip(NEXT) | instid1(VALU_DEP_1)
	v_add_co_u32 v1, s8, s25, v1
	v_add_co_ci_u32_e64 v2, null, s26, 0, s8
	flat_load_b64 v[31:32], v[1:2] offset:3072
.LBB337_82:
	s_or_b32 exec_lo, exec_lo, s7
	v_or_b32_e32 v1, 0x1c0, v0
                                        ; implicit-def: $vgpr33_vgpr34
	s_delay_alu instid0(VALU_DEP_1) | instskip(NEXT) | instid1(VALU_DEP_1)
	v_cmp_gt_u32_e64 s7, s15, v1
	s_and_saveexec_b32 s8, s7
	s_cbranch_execz .LBB337_84
; %bb.83:
	v_lshlrev_b32_e32 v1, 3, v0
	s_delay_alu instid0(VALU_DEP_1) | instskip(NEXT) | instid1(VALU_DEP_1)
	v_add_co_u32 v1, s9, s25, v1
	v_add_co_ci_u32_e64 v2, null, s26, 0, s9
	flat_load_b64 v[33:34], v[1:2] offset:3584
.LBB337_84:
	s_or_b32 exec_lo, exec_lo, s8
	v_or_b32_e32 v1, 0x200, v0
                                        ; implicit-def: $vgpr29_vgpr30
	s_delay_alu instid0(VALU_DEP_1) | instskip(NEXT) | instid1(VALU_DEP_1)
	v_cmp_gt_u32_e64 s8, s15, v1
	s_and_saveexec_b32 s9, s8
	s_cbranch_execz .LBB337_86
; %bb.85:
	v_lshlrev_b32_e32 v1, 3, v1
	s_delay_alu instid0(VALU_DEP_1) | instskip(NEXT) | instid1(VALU_DEP_1)
	v_add_co_u32 v1, s10, s25, v1
	v_add_co_ci_u32_e64 v2, null, s26, 0, s10
	flat_load_b64 v[29:30], v[1:2]
.LBB337_86:
	s_or_b32 exec_lo, exec_lo, s9
	v_or_b32_e32 v1, 0x240, v0
                                        ; implicit-def: $vgpr25_vgpr26
	s_delay_alu instid0(VALU_DEP_1) | instskip(NEXT) | instid1(VALU_DEP_1)
	v_cmp_gt_u32_e64 s9, s15, v1
	s_and_saveexec_b32 s10, s9
	s_cbranch_execz .LBB337_88
; %bb.87:
	v_lshlrev_b32_e32 v1, 3, v1
	s_delay_alu instid0(VALU_DEP_1) | instskip(NEXT) | instid1(VALU_DEP_1)
	v_add_co_u32 v1, s11, s25, v1
	v_add_co_ci_u32_e64 v2, null, s26, 0, s11
	flat_load_b64 v[25:26], v[1:2]
.LBB337_88:
	s_or_b32 exec_lo, exec_lo, s10
	v_or_b32_e32 v1, 0x280, v0
                                        ; implicit-def: $vgpr21_vgpr22
	s_delay_alu instid0(VALU_DEP_1) | instskip(NEXT) | instid1(VALU_DEP_1)
	v_cmp_gt_u32_e64 s10, s15, v1
	s_and_saveexec_b32 s11, s10
	s_cbranch_execz .LBB337_90
; %bb.89:
	v_lshlrev_b32_e32 v1, 3, v1
	s_delay_alu instid0(VALU_DEP_1) | instskip(NEXT) | instid1(VALU_DEP_1)
	v_add_co_u32 v1, s12, s25, v1
	v_add_co_ci_u32_e64 v2, null, s26, 0, s12
	flat_load_b64 v[21:22], v[1:2]
.LBB337_90:
	s_or_b32 exec_lo, exec_lo, s11
	v_or_b32_e32 v1, 0x2c0, v0
                                        ; implicit-def: $vgpr17_vgpr18
	s_delay_alu instid0(VALU_DEP_1) | instskip(NEXT) | instid1(VALU_DEP_1)
	v_cmp_gt_u32_e64 s11, s15, v1
	s_and_saveexec_b32 s12, s11
	s_cbranch_execz .LBB337_92
; %bb.91:
	v_lshlrev_b32_e32 v1, 3, v1
	s_delay_alu instid0(VALU_DEP_1) | instskip(NEXT) | instid1(VALU_DEP_1)
	v_add_co_u32 v1, s13, s25, v1
	v_add_co_ci_u32_e64 v2, null, s26, 0, s13
	flat_load_b64 v[17:18], v[1:2]
.LBB337_92:
	s_or_b32 exec_lo, exec_lo, s12
	v_or_b32_e32 v1, 0x300, v0
                                        ; implicit-def: $vgpr13_vgpr14
	s_delay_alu instid0(VALU_DEP_1) | instskip(NEXT) | instid1(VALU_DEP_1)
	v_cmp_gt_u32_e64 s12, s15, v1
	s_and_saveexec_b32 s13, s12
	s_cbranch_execz .LBB337_94
; %bb.93:
	v_lshlrev_b32_e32 v1, 3, v1
	s_delay_alu instid0(VALU_DEP_1) | instskip(NEXT) | instid1(VALU_DEP_1)
	v_add_co_u32 v1, s14, s25, v1
	v_add_co_ci_u32_e64 v2, null, s26, 0, s14
	flat_load_b64 v[13:14], v[1:2]
.LBB337_94:
	s_or_b32 exec_lo, exec_lo, s13
	v_or_b32_e32 v1, 0x340, v0
                                        ; implicit-def: $vgpr9_vgpr10
	s_delay_alu instid0(VALU_DEP_1) | instskip(NEXT) | instid1(VALU_DEP_1)
	v_cmp_gt_u32_e64 s13, s15, v1
	s_and_saveexec_b32 s14, s13
	s_cbranch_execz .LBB337_96
; %bb.95:
	v_lshlrev_b32_e32 v1, 3, v1
	s_delay_alu instid0(VALU_DEP_1) | instskip(NEXT) | instid1(VALU_DEP_1)
	v_add_co_u32 v1, s24, s25, v1
	v_add_co_ci_u32_e64 v2, null, s26, 0, s24
	flat_load_b64 v[9:10], v[1:2]
.LBB337_96:
	s_or_b32 exec_lo, exec_lo, s14
	v_or_b32_e32 v1, 0x380, v0
                                        ; implicit-def: $vgpr7_vgpr8
	s_delay_alu instid0(VALU_DEP_1) | instskip(NEXT) | instid1(VALU_DEP_1)
	v_cmp_gt_u32_e64 s14, s15, v1
	s_and_saveexec_b32 s24, s14
	s_cbranch_execz .LBB337_98
; %bb.97:
	v_lshlrev_b32_e32 v1, 3, v1
	s_delay_alu instid0(VALU_DEP_1) | instskip(NEXT) | instid1(VALU_DEP_1)
	v_add_co_u32 v1, s27, s25, v1
	v_add_co_ci_u32_e64 v2, null, s26, 0, s27
	flat_load_b64 v[7:8], v[1:2]
.LBB337_98:
	s_or_b32 exec_lo, exec_lo, s24
	v_or_b32_e32 v1, 0x3c0, v0
                                        ; implicit-def: $vgpr3_vgpr4
	s_delay_alu instid0(VALU_DEP_1) | instskip(NEXT) | instid1(VALU_DEP_1)
	v_cmp_gt_u32_e64 s24, s15, v1
	s_and_saveexec_b32 s15, s24
	s_cbranch_execz .LBB337_100
; %bb.99:
	v_lshlrev_b32_e32 v1, 3, v1
	s_delay_alu instid0(VALU_DEP_1) | instskip(NEXT) | instid1(VALU_DEP_1)
	v_add_co_u32 v1, s25, s25, v1
	v_add_co_ci_u32_e64 v2, null, s26, 0, s25
	flat_load_b64 v[3:4], v[1:2]
.LBB337_100:
	s_or_b32 exec_lo, exec_lo, s15
	s_cmp_lg_u64 s[18:19], 0
                                        ; implicit-def: $vgpr1
	s_cselect_b32 s25, -1, 0
	s_and_saveexec_b32 s26, s0
	s_cbranch_execz .LBB337_105
; %bb.101:
	v_mov_b32_e32 v1, 0
	v_mov_b32_e32 v2, 0
	s_and_not1_b32 vcc_lo, exec_lo, s25
	s_cbranch_vccnz .LBB337_105
; %bb.102:
	v_dual_mov_b32 v36, s19 :: v_dual_mov_b32 v35, s18
	s_mov_b32 s27, 0
	s_set_inst_prefetch_distance 0x1
	.p2align	6
.LBB337_103:                            ; =>This Inner Loop Header: Depth=1
	s_delay_alu instid0(VALU_DEP_1) | instskip(NEXT) | instid1(VALU_DEP_2)
	v_sub_co_u32 v37, vcc_lo, v35, v1
	v_sub_co_ci_u32_e32 v38, vcc_lo, v36, v2, vcc_lo
	s_delay_alu instid0(VALU_DEP_1) | instskip(SKIP_1) | instid1(VALU_DEP_2)
	v_lshrrev_b64 v[39:40], 1, v[37:38]
	v_lshrrev_b64 v[37:38], 6, v[37:38]
	v_add_co_u32 v39, vcc_lo, v39, v1
	s_delay_alu instid0(VALU_DEP_3) | instskip(NEXT) | instid1(VALU_DEP_2)
	v_add_co_ci_u32_e32 v40, vcc_lo, v40, v2, vcc_lo
	v_add_co_u32 v37, vcc_lo, v39, v37
	s_delay_alu instid0(VALU_DEP_2) | instskip(NEXT) | instid1(VALU_DEP_1)
	v_add_co_ci_u32_e32 v38, vcc_lo, v40, v38, vcc_lo
	v_lshlrev_b64 v[39:40], 3, v[37:38]
	s_delay_alu instid0(VALU_DEP_1) | instskip(NEXT) | instid1(VALU_DEP_2)
	v_add_co_u32 v39, vcc_lo, s16, v39
	v_add_co_ci_u32_e32 v40, vcc_lo, s17, v40, vcc_lo
	global_load_b64 v[39:40], v[39:40], off
	s_waitcnt vmcnt(0) lgkmcnt(0)
	v_cmp_gt_f64_e32 vcc_lo, v[39:40], v[5:6]
	v_add_co_u32 v39, s15, v37, 1
	s_delay_alu instid0(VALU_DEP_1) | instskip(SKIP_1) | instid1(VALU_DEP_2)
	v_add_co_ci_u32_e64 v40, s15, 0, v38, s15
	v_dual_cndmask_b32 v36, v36, v38 :: v_dual_cndmask_b32 v35, v35, v37
	v_dual_cndmask_b32 v2, v40, v2 :: v_dual_cndmask_b32 v1, v39, v1
	s_delay_alu instid0(VALU_DEP_1) | instskip(SKIP_1) | instid1(SALU_CYCLE_1)
	v_cmp_ge_u64_e32 vcc_lo, v[1:2], v[35:36]
	s_or_b32 s27, vcc_lo, s27
	s_and_not1_b32 exec_lo, exec_lo, s27
	s_cbranch_execnz .LBB337_103
; %bb.104:
	s_set_inst_prefetch_distance 0x2
	s_or_b32 exec_lo, exec_lo, s27
.LBB337_105:
	s_delay_alu instid0(SALU_CYCLE_1)
	s_or_b32 exec_lo, exec_lo, s26
                                        ; implicit-def: $vgpr5
	s_and_saveexec_b32 s26, s1
	s_cbranch_execz .LBB337_110
; %bb.106:
	s_waitcnt vmcnt(0) lgkmcnt(0)
	v_mov_b32_e32 v5, 0
	v_mov_b32_e32 v6, 0
	s_and_not1_b32 vcc_lo, exec_lo, s25
	s_cbranch_vccnz .LBB337_110
; %bb.107:
	v_dual_mov_b32 v36, s19 :: v_dual_mov_b32 v35, s18
	s_mov_b32 s27, 0
	s_set_inst_prefetch_distance 0x1
	.p2align	6
.LBB337_108:                            ; =>This Inner Loop Header: Depth=1
	s_delay_alu instid0(VALU_DEP_1) | instskip(NEXT) | instid1(VALU_DEP_2)
	v_sub_co_u32 v37, vcc_lo, v35, v5
	v_sub_co_ci_u32_e32 v38, vcc_lo, v36, v6, vcc_lo
	s_delay_alu instid0(VALU_DEP_1) | instskip(SKIP_1) | instid1(VALU_DEP_2)
	v_lshrrev_b64 v[39:40], 1, v[37:38]
	v_lshrrev_b64 v[37:38], 6, v[37:38]
	v_add_co_u32 v2, vcc_lo, v39, v5
	s_delay_alu instid0(VALU_DEP_3) | instskip(NEXT) | instid1(VALU_DEP_2)
	v_add_co_ci_u32_e32 v39, vcc_lo, v40, v6, vcc_lo
	v_add_co_u32 v37, vcc_lo, v2, v37
	s_delay_alu instid0(VALU_DEP_2) | instskip(NEXT) | instid1(VALU_DEP_2)
	v_add_co_ci_u32_e32 v38, vcc_lo, v39, v38, vcc_lo
	v_add_co_u32 v2, s15, v37, 1
	s_delay_alu instid0(VALU_DEP_2) | instskip(NEXT) | instid1(VALU_DEP_1)
	v_lshlrev_b64 v[39:40], 3, v[37:38]
	v_add_co_u32 v39, vcc_lo, s16, v39
	s_delay_alu instid0(VALU_DEP_2)
	v_add_co_ci_u32_e32 v40, vcc_lo, s17, v40, vcc_lo
	global_load_b64 v[39:40], v[39:40], off
	s_waitcnt vmcnt(0)
	v_cmp_gt_f64_e32 vcc_lo, v[39:40], v[11:12]
	v_add_co_ci_u32_e64 v39, s15, 0, v38, s15
	v_dual_cndmask_b32 v36, v36, v38 :: v_dual_cndmask_b32 v35, v35, v37
	s_delay_alu instid0(VALU_DEP_2) | instskip(NEXT) | instid1(VALU_DEP_1)
	v_dual_cndmask_b32 v6, v39, v6 :: v_dual_cndmask_b32 v5, v2, v5
	v_cmp_ge_u64_e32 vcc_lo, v[5:6], v[35:36]
	s_or_b32 s27, vcc_lo, s27
	s_delay_alu instid0(SALU_CYCLE_1)
	s_and_not1_b32 exec_lo, exec_lo, s27
	s_cbranch_execnz .LBB337_108
; %bb.109:
	s_set_inst_prefetch_distance 0x2
	s_or_b32 exec_lo, exec_lo, s27
.LBB337_110:
	s_delay_alu instid0(SALU_CYCLE_1)
	s_or_b32 exec_lo, exec_lo, s26
                                        ; implicit-def: $vgpr11
	s_and_saveexec_b32 s26, s2
	s_cbranch_execz .LBB337_115
; %bb.111:
	s_waitcnt vmcnt(0) lgkmcnt(0)
	v_mov_b32_e32 v11, 0
	v_mov_b32_e32 v12, 0
	s_and_not1_b32 vcc_lo, exec_lo, s25
	s_cbranch_vccnz .LBB337_115
; %bb.112:
	v_dual_mov_b32 v36, s19 :: v_dual_mov_b32 v35, s18
	s_mov_b32 s27, 0
	s_set_inst_prefetch_distance 0x1
	.p2align	6
.LBB337_113:                            ; =>This Inner Loop Header: Depth=1
	s_delay_alu instid0(VALU_DEP_1) | instskip(NEXT) | instid1(VALU_DEP_2)
	v_sub_co_u32 v37, vcc_lo, v35, v11
	v_sub_co_ci_u32_e32 v38, vcc_lo, v36, v12, vcc_lo
	s_delay_alu instid0(VALU_DEP_1) | instskip(SKIP_1) | instid1(VALU_DEP_2)
	v_lshrrev_b64 v[39:40], 1, v[37:38]
	v_lshrrev_b64 v[37:38], 6, v[37:38]
	v_add_co_u32 v2, vcc_lo, v39, v11
	s_delay_alu instid0(VALU_DEP_3) | instskip(NEXT) | instid1(VALU_DEP_2)
	v_add_co_ci_u32_e32 v6, vcc_lo, v40, v12, vcc_lo
	v_add_co_u32 v37, vcc_lo, v2, v37
	s_delay_alu instid0(VALU_DEP_2) | instskip(NEXT) | instid1(VALU_DEP_2)
	v_add_co_ci_u32_e32 v38, vcc_lo, v6, v38, vcc_lo
	v_add_co_u32 v2, s15, v37, 1
	s_delay_alu instid0(VALU_DEP_2) | instskip(SKIP_1) | instid1(VALU_DEP_2)
	v_lshlrev_b64 v[39:40], 3, v[37:38]
	v_add_co_ci_u32_e64 v6, s15, 0, v38, s15
	v_add_co_u32 v39, vcc_lo, s16, v39
	s_delay_alu instid0(VALU_DEP_3)
	v_add_co_ci_u32_e32 v40, vcc_lo, s17, v40, vcc_lo
	global_load_b64 v[39:40], v[39:40], off
	s_waitcnt vmcnt(0)
	v_cmp_gt_f64_e32 vcc_lo, v[39:40], v[15:16]
	v_dual_cndmask_b32 v36, v36, v38 :: v_dual_cndmask_b32 v35, v35, v37
	v_cndmask_b32_e32 v12, v6, v12, vcc_lo
	v_cndmask_b32_e32 v11, v2, v11, vcc_lo
	s_delay_alu instid0(VALU_DEP_1) | instskip(SKIP_1) | instid1(SALU_CYCLE_1)
	v_cmp_ge_u64_e32 vcc_lo, v[11:12], v[35:36]
	s_or_b32 s27, vcc_lo, s27
	s_and_not1_b32 exec_lo, exec_lo, s27
	s_cbranch_execnz .LBB337_113
; %bb.114:
	s_set_inst_prefetch_distance 0x2
	s_or_b32 exec_lo, exec_lo, s27
.LBB337_115:
	s_delay_alu instid0(SALU_CYCLE_1)
	s_or_b32 exec_lo, exec_lo, s26
                                        ; implicit-def: $vgpr15
	s_and_saveexec_b32 s26, s3
	s_cbranch_execz .LBB337_120
; %bb.116:
	s_waitcnt vmcnt(0) lgkmcnt(0)
	v_mov_b32_e32 v15, 0
	v_mov_b32_e32 v16, 0
	s_and_not1_b32 vcc_lo, exec_lo, s25
	s_cbranch_vccnz .LBB337_120
; %bb.117:
	v_dual_mov_b32 v36, s19 :: v_dual_mov_b32 v35, s18
	s_mov_b32 s27, 0
	s_set_inst_prefetch_distance 0x1
	.p2align	6
.LBB337_118:                            ; =>This Inner Loop Header: Depth=1
	s_delay_alu instid0(VALU_DEP_1) | instskip(NEXT) | instid1(VALU_DEP_2)
	v_sub_co_u32 v37, vcc_lo, v35, v15
	v_sub_co_ci_u32_e32 v38, vcc_lo, v36, v16, vcc_lo
	s_delay_alu instid0(VALU_DEP_1) | instskip(SKIP_1) | instid1(VALU_DEP_2)
	v_lshrrev_b64 v[39:40], 1, v[37:38]
	v_lshrrev_b64 v[37:38], 6, v[37:38]
	v_add_co_u32 v2, vcc_lo, v39, v15
	s_delay_alu instid0(VALU_DEP_3) | instskip(NEXT) | instid1(VALU_DEP_2)
	v_add_co_ci_u32_e32 v6, vcc_lo, v40, v16, vcc_lo
	v_add_co_u32 v37, vcc_lo, v2, v37
	s_delay_alu instid0(VALU_DEP_2) | instskip(NEXT) | instid1(VALU_DEP_2)
	v_add_co_ci_u32_e32 v38, vcc_lo, v6, v38, vcc_lo
	v_add_co_u32 v2, s15, v37, 1
	s_delay_alu instid0(VALU_DEP_2) | instskip(SKIP_1) | instid1(VALU_DEP_2)
	v_lshlrev_b64 v[39:40], 3, v[37:38]
	v_add_co_ci_u32_e64 v6, s15, 0, v38, s15
	v_add_co_u32 v39, vcc_lo, s16, v39
	s_delay_alu instid0(VALU_DEP_3)
	v_add_co_ci_u32_e32 v40, vcc_lo, s17, v40, vcc_lo
	global_load_b64 v[39:40], v[39:40], off
	s_waitcnt vmcnt(0)
	v_cmp_gt_f64_e32 vcc_lo, v[39:40], v[19:20]
	v_dual_cndmask_b32 v36, v36, v38 :: v_dual_cndmask_b32 v35, v35, v37
	v_cndmask_b32_e32 v16, v6, v16, vcc_lo
	v_cndmask_b32_e32 v15, v2, v15, vcc_lo
	s_delay_alu instid0(VALU_DEP_1) | instskip(SKIP_1) | instid1(SALU_CYCLE_1)
	v_cmp_ge_u64_e32 vcc_lo, v[15:16], v[35:36]
	s_or_b32 s27, vcc_lo, s27
	s_and_not1_b32 exec_lo, exec_lo, s27
	s_cbranch_execnz .LBB337_118
; %bb.119:
	s_set_inst_prefetch_distance 0x2
	s_or_b32 exec_lo, exec_lo, s27
.LBB337_120:
	s_delay_alu instid0(SALU_CYCLE_1)
	s_or_b32 exec_lo, exec_lo, s26
                                        ; implicit-def: $vgpr19
	s_and_saveexec_b32 s26, s4
	s_cbranch_execz .LBB337_125
; %bb.121:
	s_waitcnt vmcnt(0) lgkmcnt(0)
	v_mov_b32_e32 v19, 0
	v_mov_b32_e32 v20, 0
	s_and_not1_b32 vcc_lo, exec_lo, s25
	s_cbranch_vccnz .LBB337_125
; %bb.122:
	v_dual_mov_b32 v36, s19 :: v_dual_mov_b32 v35, s18
	s_mov_b32 s27, 0
	s_set_inst_prefetch_distance 0x1
	.p2align	6
.LBB337_123:                            ; =>This Inner Loop Header: Depth=1
	s_delay_alu instid0(VALU_DEP_1) | instskip(NEXT) | instid1(VALU_DEP_2)
	v_sub_co_u32 v37, vcc_lo, v35, v19
	v_sub_co_ci_u32_e32 v38, vcc_lo, v36, v20, vcc_lo
	s_delay_alu instid0(VALU_DEP_1) | instskip(SKIP_1) | instid1(VALU_DEP_2)
	v_lshrrev_b64 v[39:40], 1, v[37:38]
	v_lshrrev_b64 v[37:38], 6, v[37:38]
	v_add_co_u32 v2, vcc_lo, v39, v19
	s_delay_alu instid0(VALU_DEP_3) | instskip(NEXT) | instid1(VALU_DEP_2)
	v_add_co_ci_u32_e32 v6, vcc_lo, v40, v20, vcc_lo
	v_add_co_u32 v37, vcc_lo, v2, v37
	s_delay_alu instid0(VALU_DEP_2) | instskip(NEXT) | instid1(VALU_DEP_2)
	v_add_co_ci_u32_e32 v38, vcc_lo, v6, v38, vcc_lo
	v_add_co_u32 v2, s15, v37, 1
	s_delay_alu instid0(VALU_DEP_2) | instskip(SKIP_1) | instid1(VALU_DEP_2)
	v_lshlrev_b64 v[39:40], 3, v[37:38]
	v_add_co_ci_u32_e64 v6, s15, 0, v38, s15
	v_add_co_u32 v39, vcc_lo, s16, v39
	s_delay_alu instid0(VALU_DEP_3)
	v_add_co_ci_u32_e32 v40, vcc_lo, s17, v40, vcc_lo
	global_load_b64 v[39:40], v[39:40], off
	s_waitcnt vmcnt(0)
	v_cmp_gt_f64_e32 vcc_lo, v[39:40], v[23:24]
	v_dual_cndmask_b32 v36, v36, v38 :: v_dual_cndmask_b32 v35, v35, v37
	v_cndmask_b32_e32 v20, v6, v20, vcc_lo
	v_cndmask_b32_e32 v19, v2, v19, vcc_lo
	s_delay_alu instid0(VALU_DEP_1) | instskip(SKIP_1) | instid1(SALU_CYCLE_1)
	v_cmp_ge_u64_e32 vcc_lo, v[19:20], v[35:36]
	s_or_b32 s27, vcc_lo, s27
	s_and_not1_b32 exec_lo, exec_lo, s27
	s_cbranch_execnz .LBB337_123
; %bb.124:
	s_set_inst_prefetch_distance 0x2
	s_or_b32 exec_lo, exec_lo, s27
.LBB337_125:
	s_delay_alu instid0(SALU_CYCLE_1)
	s_or_b32 exec_lo, exec_lo, s26
                                        ; implicit-def: $vgpr23
	s_and_saveexec_b32 s26, s5
	s_cbranch_execz .LBB337_130
; %bb.126:
	s_waitcnt vmcnt(0) lgkmcnt(0)
	v_mov_b32_e32 v23, 0
	v_mov_b32_e32 v24, 0
	s_and_not1_b32 vcc_lo, exec_lo, s25
	s_cbranch_vccnz .LBB337_130
; %bb.127:
	v_dual_mov_b32 v36, s19 :: v_dual_mov_b32 v35, s18
	s_mov_b32 s27, 0
	s_set_inst_prefetch_distance 0x1
	.p2align	6
.LBB337_128:                            ; =>This Inner Loop Header: Depth=1
	s_delay_alu instid0(VALU_DEP_1) | instskip(NEXT) | instid1(VALU_DEP_2)
	v_sub_co_u32 v37, vcc_lo, v35, v23
	v_sub_co_ci_u32_e32 v38, vcc_lo, v36, v24, vcc_lo
	s_delay_alu instid0(VALU_DEP_1) | instskip(SKIP_1) | instid1(VALU_DEP_2)
	v_lshrrev_b64 v[39:40], 1, v[37:38]
	v_lshrrev_b64 v[37:38], 6, v[37:38]
	v_add_co_u32 v2, vcc_lo, v39, v23
	s_delay_alu instid0(VALU_DEP_3) | instskip(NEXT) | instid1(VALU_DEP_2)
	v_add_co_ci_u32_e32 v6, vcc_lo, v40, v24, vcc_lo
	v_add_co_u32 v37, vcc_lo, v2, v37
	s_delay_alu instid0(VALU_DEP_2) | instskip(NEXT) | instid1(VALU_DEP_2)
	v_add_co_ci_u32_e32 v38, vcc_lo, v6, v38, vcc_lo
	v_add_co_u32 v2, s15, v37, 1
	s_delay_alu instid0(VALU_DEP_2) | instskip(SKIP_1) | instid1(VALU_DEP_2)
	v_lshlrev_b64 v[39:40], 3, v[37:38]
	v_add_co_ci_u32_e64 v6, s15, 0, v38, s15
	v_add_co_u32 v39, vcc_lo, s16, v39
	s_delay_alu instid0(VALU_DEP_3)
	v_add_co_ci_u32_e32 v40, vcc_lo, s17, v40, vcc_lo
	global_load_b64 v[39:40], v[39:40], off
	s_waitcnt vmcnt(0)
	v_cmp_gt_f64_e32 vcc_lo, v[39:40], v[27:28]
	v_dual_cndmask_b32 v36, v36, v38 :: v_dual_cndmask_b32 v35, v35, v37
	v_cndmask_b32_e32 v24, v6, v24, vcc_lo
	v_cndmask_b32_e32 v23, v2, v23, vcc_lo
	s_delay_alu instid0(VALU_DEP_1) | instskip(SKIP_1) | instid1(SALU_CYCLE_1)
	v_cmp_ge_u64_e32 vcc_lo, v[23:24], v[35:36]
	s_or_b32 s27, vcc_lo, s27
	s_and_not1_b32 exec_lo, exec_lo, s27
	s_cbranch_execnz .LBB337_128
; %bb.129:
	s_set_inst_prefetch_distance 0x2
	s_or_b32 exec_lo, exec_lo, s27
.LBB337_130:
	s_delay_alu instid0(SALU_CYCLE_1)
	s_or_b32 exec_lo, exec_lo, s26
                                        ; implicit-def: $vgpr27
	s_and_saveexec_b32 s26, s6
	s_cbranch_execz .LBB337_135
; %bb.131:
	s_waitcnt vmcnt(0) lgkmcnt(0)
	v_mov_b32_e32 v27, 0
	v_mov_b32_e32 v28, 0
	s_and_not1_b32 vcc_lo, exec_lo, s25
	s_cbranch_vccnz .LBB337_135
; %bb.132:
	v_dual_mov_b32 v36, s19 :: v_dual_mov_b32 v35, s18
	s_mov_b32 s27, 0
	s_set_inst_prefetch_distance 0x1
	.p2align	6
.LBB337_133:                            ; =>This Inner Loop Header: Depth=1
	s_delay_alu instid0(VALU_DEP_1) | instskip(NEXT) | instid1(VALU_DEP_2)
	v_sub_co_u32 v37, vcc_lo, v35, v27
	v_sub_co_ci_u32_e32 v38, vcc_lo, v36, v28, vcc_lo
	s_delay_alu instid0(VALU_DEP_1) | instskip(SKIP_1) | instid1(VALU_DEP_2)
	v_lshrrev_b64 v[39:40], 1, v[37:38]
	v_lshrrev_b64 v[37:38], 6, v[37:38]
	v_add_co_u32 v2, vcc_lo, v39, v27
	s_delay_alu instid0(VALU_DEP_3) | instskip(NEXT) | instid1(VALU_DEP_2)
	v_add_co_ci_u32_e32 v6, vcc_lo, v40, v28, vcc_lo
	v_add_co_u32 v37, vcc_lo, v2, v37
	s_delay_alu instid0(VALU_DEP_2) | instskip(NEXT) | instid1(VALU_DEP_2)
	v_add_co_ci_u32_e32 v38, vcc_lo, v6, v38, vcc_lo
	v_add_co_u32 v2, s15, v37, 1
	s_delay_alu instid0(VALU_DEP_2) | instskip(SKIP_1) | instid1(VALU_DEP_2)
	v_lshlrev_b64 v[39:40], 3, v[37:38]
	v_add_co_ci_u32_e64 v6, s15, 0, v38, s15
	v_add_co_u32 v39, vcc_lo, s16, v39
	s_delay_alu instid0(VALU_DEP_3)
	v_add_co_ci_u32_e32 v40, vcc_lo, s17, v40, vcc_lo
	global_load_b64 v[39:40], v[39:40], off
	s_waitcnt vmcnt(0)
	v_cmp_gt_f64_e32 vcc_lo, v[39:40], v[31:32]
	v_dual_cndmask_b32 v36, v36, v38 :: v_dual_cndmask_b32 v35, v35, v37
	v_cndmask_b32_e32 v28, v6, v28, vcc_lo
	v_cndmask_b32_e32 v27, v2, v27, vcc_lo
	s_delay_alu instid0(VALU_DEP_1) | instskip(SKIP_1) | instid1(SALU_CYCLE_1)
	v_cmp_ge_u64_e32 vcc_lo, v[27:28], v[35:36]
	s_or_b32 s27, vcc_lo, s27
	s_and_not1_b32 exec_lo, exec_lo, s27
	s_cbranch_execnz .LBB337_133
; %bb.134:
	s_set_inst_prefetch_distance 0x2
	s_or_b32 exec_lo, exec_lo, s27
.LBB337_135:
	s_delay_alu instid0(SALU_CYCLE_1)
	s_or_b32 exec_lo, exec_lo, s26
                                        ; implicit-def: $vgpr31
	s_and_saveexec_b32 s26, s7
	s_cbranch_execz .LBB337_140
; %bb.136:
	s_waitcnt vmcnt(0) lgkmcnt(0)
	v_mov_b32_e32 v31, 0
	v_mov_b32_e32 v32, 0
	s_and_not1_b32 vcc_lo, exec_lo, s25
	s_cbranch_vccnz .LBB337_140
; %bb.137:
	v_dual_mov_b32 v36, s19 :: v_dual_mov_b32 v35, s18
	s_mov_b32 s27, 0
	s_set_inst_prefetch_distance 0x1
	.p2align	6
.LBB337_138:                            ; =>This Inner Loop Header: Depth=1
	s_delay_alu instid0(VALU_DEP_1) | instskip(NEXT) | instid1(VALU_DEP_2)
	v_sub_co_u32 v37, vcc_lo, v35, v31
	v_sub_co_ci_u32_e32 v38, vcc_lo, v36, v32, vcc_lo
	s_delay_alu instid0(VALU_DEP_1) | instskip(SKIP_1) | instid1(VALU_DEP_2)
	v_lshrrev_b64 v[39:40], 1, v[37:38]
	v_lshrrev_b64 v[37:38], 6, v[37:38]
	v_add_co_u32 v2, vcc_lo, v39, v31
	s_delay_alu instid0(VALU_DEP_3) | instskip(NEXT) | instid1(VALU_DEP_2)
	v_add_co_ci_u32_e32 v6, vcc_lo, v40, v32, vcc_lo
	v_add_co_u32 v37, vcc_lo, v2, v37
	s_delay_alu instid0(VALU_DEP_2) | instskip(NEXT) | instid1(VALU_DEP_2)
	v_add_co_ci_u32_e32 v38, vcc_lo, v6, v38, vcc_lo
	v_add_co_u32 v2, s15, v37, 1
	s_delay_alu instid0(VALU_DEP_2) | instskip(SKIP_1) | instid1(VALU_DEP_2)
	v_lshlrev_b64 v[39:40], 3, v[37:38]
	v_add_co_ci_u32_e64 v6, s15, 0, v38, s15
	v_add_co_u32 v39, vcc_lo, s16, v39
	s_delay_alu instid0(VALU_DEP_3)
	v_add_co_ci_u32_e32 v40, vcc_lo, s17, v40, vcc_lo
	global_load_b64 v[39:40], v[39:40], off
	s_waitcnt vmcnt(0)
	v_cmp_gt_f64_e32 vcc_lo, v[39:40], v[33:34]
	v_dual_cndmask_b32 v36, v36, v38 :: v_dual_cndmask_b32 v35, v35, v37
	v_cndmask_b32_e32 v32, v6, v32, vcc_lo
	v_cndmask_b32_e32 v31, v2, v31, vcc_lo
	s_delay_alu instid0(VALU_DEP_1) | instskip(SKIP_1) | instid1(SALU_CYCLE_1)
	v_cmp_ge_u64_e32 vcc_lo, v[31:32], v[35:36]
	s_or_b32 s27, vcc_lo, s27
	s_and_not1_b32 exec_lo, exec_lo, s27
	s_cbranch_execnz .LBB337_138
; %bb.139:
	s_set_inst_prefetch_distance 0x2
	s_or_b32 exec_lo, exec_lo, s27
.LBB337_140:
	s_delay_alu instid0(SALU_CYCLE_1)
	s_or_b32 exec_lo, exec_lo, s26
                                        ; implicit-def: $vgpr32
	s_and_saveexec_b32 s26, s8
	s_cbranch_execz .LBB337_145
; %bb.141:
	s_waitcnt vmcnt(0) lgkmcnt(0)
	v_mov_b32_e32 v32, 0
	v_mov_b32_e32 v33, 0
	s_and_not1_b32 vcc_lo, exec_lo, s25
	s_cbranch_vccnz .LBB337_145
; %bb.142:
	v_dual_mov_b32 v35, s19 :: v_dual_mov_b32 v34, s18
	s_mov_b32 s27, 0
	s_set_inst_prefetch_distance 0x1
	.p2align	6
.LBB337_143:                            ; =>This Inner Loop Header: Depth=1
	s_delay_alu instid0(VALU_DEP_1) | instskip(NEXT) | instid1(VALU_DEP_2)
	v_sub_co_u32 v36, vcc_lo, v34, v32
	v_sub_co_ci_u32_e32 v37, vcc_lo, v35, v33, vcc_lo
	s_delay_alu instid0(VALU_DEP_1) | instskip(SKIP_1) | instid1(VALU_DEP_2)
	v_lshrrev_b64 v[38:39], 1, v[36:37]
	v_lshrrev_b64 v[36:37], 6, v[36:37]
	v_add_co_u32 v2, vcc_lo, v38, v32
	s_delay_alu instid0(VALU_DEP_3) | instskip(NEXT) | instid1(VALU_DEP_2)
	v_add_co_ci_u32_e32 v6, vcc_lo, v39, v33, vcc_lo
	v_add_co_u32 v36, vcc_lo, v2, v36
	s_delay_alu instid0(VALU_DEP_2) | instskip(NEXT) | instid1(VALU_DEP_2)
	v_add_co_ci_u32_e32 v37, vcc_lo, v6, v37, vcc_lo
	v_add_co_u32 v2, s15, v36, 1
	s_delay_alu instid0(VALU_DEP_2) | instskip(SKIP_1) | instid1(VALU_DEP_2)
	v_lshlrev_b64 v[38:39], 3, v[36:37]
	v_add_co_ci_u32_e64 v6, s15, 0, v37, s15
	v_add_co_u32 v38, vcc_lo, s16, v38
	s_delay_alu instid0(VALU_DEP_3)
	v_add_co_ci_u32_e32 v39, vcc_lo, s17, v39, vcc_lo
	global_load_b64 v[38:39], v[38:39], off
	s_waitcnt vmcnt(0)
	v_cmp_gt_f64_e32 vcc_lo, v[38:39], v[29:30]
	v_dual_cndmask_b32 v35, v35, v37 :: v_dual_cndmask_b32 v34, v34, v36
	v_cndmask_b32_e32 v33, v6, v33, vcc_lo
	v_cndmask_b32_e32 v32, v2, v32, vcc_lo
	s_delay_alu instid0(VALU_DEP_1) | instskip(SKIP_1) | instid1(SALU_CYCLE_1)
	v_cmp_ge_u64_e32 vcc_lo, v[32:33], v[34:35]
	s_or_b32 s27, vcc_lo, s27
	s_and_not1_b32 exec_lo, exec_lo, s27
	s_cbranch_execnz .LBB337_143
; %bb.144:
	s_set_inst_prefetch_distance 0x2
	s_or_b32 exec_lo, exec_lo, s27
.LBB337_145:
	s_delay_alu instid0(SALU_CYCLE_1)
	s_or_b32 exec_lo, exec_lo, s26
                                        ; implicit-def: $vgpr28
	s_and_saveexec_b32 s26, s9
	s_cbranch_execz .LBB337_150
; %bb.146:
	s_waitcnt vmcnt(0) lgkmcnt(0)
	v_mov_b32_e32 v28, 0
	v_mov_b32_e32 v29, 0
	s_and_not1_b32 vcc_lo, exec_lo, s25
	s_cbranch_vccnz .LBB337_150
; %bb.147:
	v_dual_mov_b32 v34, s19 :: v_dual_mov_b32 v33, s18
	s_mov_b32 s27, 0
	s_set_inst_prefetch_distance 0x1
	.p2align	6
.LBB337_148:                            ; =>This Inner Loop Header: Depth=1
	s_delay_alu instid0(VALU_DEP_1) | instskip(NEXT) | instid1(VALU_DEP_2)
	v_sub_co_u32 v35, vcc_lo, v33, v28
	v_sub_co_ci_u32_e32 v36, vcc_lo, v34, v29, vcc_lo
	s_delay_alu instid0(VALU_DEP_1) | instskip(SKIP_1) | instid1(VALU_DEP_2)
	v_lshrrev_b64 v[37:38], 1, v[35:36]
	v_lshrrev_b64 v[35:36], 6, v[35:36]
	v_add_co_u32 v2, vcc_lo, v37, v28
	s_delay_alu instid0(VALU_DEP_3) | instskip(NEXT) | instid1(VALU_DEP_2)
	v_add_co_ci_u32_e32 v6, vcc_lo, v38, v29, vcc_lo
	v_add_co_u32 v35, vcc_lo, v2, v35
	s_delay_alu instid0(VALU_DEP_2) | instskip(NEXT) | instid1(VALU_DEP_2)
	v_add_co_ci_u32_e32 v36, vcc_lo, v6, v36, vcc_lo
	v_add_co_u32 v2, s15, v35, 1
	s_delay_alu instid0(VALU_DEP_2) | instskip(SKIP_1) | instid1(VALU_DEP_2)
	v_lshlrev_b64 v[37:38], 3, v[35:36]
	v_add_co_ci_u32_e64 v6, s15, 0, v36, s15
	v_add_co_u32 v37, vcc_lo, s16, v37
	s_delay_alu instid0(VALU_DEP_3)
	v_add_co_ci_u32_e32 v38, vcc_lo, s17, v38, vcc_lo
	global_load_b64 v[37:38], v[37:38], off
	s_waitcnt vmcnt(0)
	v_cmp_gt_f64_e32 vcc_lo, v[37:38], v[25:26]
	v_dual_cndmask_b32 v34, v34, v36 :: v_dual_cndmask_b32 v33, v33, v35
	v_cndmask_b32_e32 v29, v6, v29, vcc_lo
	v_cndmask_b32_e32 v28, v2, v28, vcc_lo
	s_delay_alu instid0(VALU_DEP_1) | instskip(SKIP_1) | instid1(SALU_CYCLE_1)
	v_cmp_ge_u64_e32 vcc_lo, v[28:29], v[33:34]
	s_or_b32 s27, vcc_lo, s27
	s_and_not1_b32 exec_lo, exec_lo, s27
	s_cbranch_execnz .LBB337_148
; %bb.149:
	s_set_inst_prefetch_distance 0x2
	s_or_b32 exec_lo, exec_lo, s27
.LBB337_150:
	s_delay_alu instid0(SALU_CYCLE_1)
	s_or_b32 exec_lo, exec_lo, s26
                                        ; implicit-def: $vgpr24
	s_and_saveexec_b32 s26, s10
	s_cbranch_execz .LBB337_155
; %bb.151:
	s_waitcnt vmcnt(0) lgkmcnt(0)
	v_mov_b32_e32 v24, 0
	v_mov_b32_e32 v25, 0
	s_and_not1_b32 vcc_lo, exec_lo, s25
	s_cbranch_vccnz .LBB337_155
; %bb.152:
	v_dual_mov_b32 v30, s19 :: v_dual_mov_b32 v29, s18
	s_mov_b32 s27, 0
	s_set_inst_prefetch_distance 0x1
	.p2align	6
.LBB337_153:                            ; =>This Inner Loop Header: Depth=1
	s_delay_alu instid0(VALU_DEP_1) | instskip(NEXT) | instid1(VALU_DEP_2)
	v_sub_co_u32 v33, vcc_lo, v29, v24
	v_sub_co_ci_u32_e32 v34, vcc_lo, v30, v25, vcc_lo
	s_delay_alu instid0(VALU_DEP_1) | instskip(SKIP_1) | instid1(VALU_DEP_2)
	v_lshrrev_b64 v[35:36], 1, v[33:34]
	v_lshrrev_b64 v[33:34], 6, v[33:34]
	v_add_co_u32 v2, vcc_lo, v35, v24
	s_delay_alu instid0(VALU_DEP_3) | instskip(NEXT) | instid1(VALU_DEP_2)
	v_add_co_ci_u32_e32 v6, vcc_lo, v36, v25, vcc_lo
	v_add_co_u32 v33, vcc_lo, v2, v33
	s_delay_alu instid0(VALU_DEP_2) | instskip(NEXT) | instid1(VALU_DEP_2)
	v_add_co_ci_u32_e32 v34, vcc_lo, v6, v34, vcc_lo
	v_add_co_u32 v2, s15, v33, 1
	s_delay_alu instid0(VALU_DEP_2) | instskip(SKIP_1) | instid1(VALU_DEP_2)
	v_lshlrev_b64 v[35:36], 3, v[33:34]
	v_add_co_ci_u32_e64 v6, s15, 0, v34, s15
	v_add_co_u32 v35, vcc_lo, s16, v35
	s_delay_alu instid0(VALU_DEP_3)
	v_add_co_ci_u32_e32 v36, vcc_lo, s17, v36, vcc_lo
	global_load_b64 v[35:36], v[35:36], off
	s_waitcnt vmcnt(0)
	v_cmp_gt_f64_e32 vcc_lo, v[35:36], v[21:22]
	v_dual_cndmask_b32 v30, v30, v34 :: v_dual_cndmask_b32 v29, v29, v33
	v_cndmask_b32_e32 v25, v6, v25, vcc_lo
	v_cndmask_b32_e32 v24, v2, v24, vcc_lo
	s_delay_alu instid0(VALU_DEP_1) | instskip(SKIP_1) | instid1(SALU_CYCLE_1)
	v_cmp_ge_u64_e32 vcc_lo, v[24:25], v[29:30]
	s_or_b32 s27, vcc_lo, s27
	s_and_not1_b32 exec_lo, exec_lo, s27
	s_cbranch_execnz .LBB337_153
; %bb.154:
	s_set_inst_prefetch_distance 0x2
	s_or_b32 exec_lo, exec_lo, s27
.LBB337_155:
	s_delay_alu instid0(SALU_CYCLE_1)
	s_or_b32 exec_lo, exec_lo, s26
                                        ; implicit-def: $vgpr20
	s_and_saveexec_b32 s26, s11
	s_cbranch_execz .LBB337_160
; %bb.156:
	s_waitcnt vmcnt(0) lgkmcnt(0)
	v_mov_b32_e32 v20, 0
	v_mov_b32_e32 v21, 0
	s_and_not1_b32 vcc_lo, exec_lo, s25
	s_cbranch_vccnz .LBB337_160
; %bb.157:
	v_dual_mov_b32 v26, s19 :: v_dual_mov_b32 v25, s18
	s_mov_b32 s27, 0
	s_set_inst_prefetch_distance 0x1
	.p2align	6
.LBB337_158:                            ; =>This Inner Loop Header: Depth=1
	s_delay_alu instid0(VALU_DEP_1) | instskip(NEXT) | instid1(VALU_DEP_2)
	v_sub_co_u32 v29, vcc_lo, v25, v20
	v_sub_co_ci_u32_e32 v30, vcc_lo, v26, v21, vcc_lo
	s_delay_alu instid0(VALU_DEP_1) | instskip(SKIP_1) | instid1(VALU_DEP_2)
	v_lshrrev_b64 v[33:34], 1, v[29:30]
	v_lshrrev_b64 v[29:30], 6, v[29:30]
	v_add_co_u32 v2, vcc_lo, v33, v20
	s_delay_alu instid0(VALU_DEP_3) | instskip(NEXT) | instid1(VALU_DEP_2)
	v_add_co_ci_u32_e32 v6, vcc_lo, v34, v21, vcc_lo
	v_add_co_u32 v29, vcc_lo, v2, v29
	s_delay_alu instid0(VALU_DEP_2) | instskip(NEXT) | instid1(VALU_DEP_2)
	v_add_co_ci_u32_e32 v30, vcc_lo, v6, v30, vcc_lo
	v_add_co_u32 v2, s15, v29, 1
	s_delay_alu instid0(VALU_DEP_2) | instskip(SKIP_1) | instid1(VALU_DEP_2)
	v_lshlrev_b64 v[33:34], 3, v[29:30]
	v_add_co_ci_u32_e64 v6, s15, 0, v30, s15
	v_add_co_u32 v33, vcc_lo, s16, v33
	s_delay_alu instid0(VALU_DEP_3)
	v_add_co_ci_u32_e32 v34, vcc_lo, s17, v34, vcc_lo
	global_load_b64 v[33:34], v[33:34], off
	s_waitcnt vmcnt(0)
	v_cmp_gt_f64_e32 vcc_lo, v[33:34], v[17:18]
	v_dual_cndmask_b32 v26, v26, v30 :: v_dual_cndmask_b32 v25, v25, v29
	v_cndmask_b32_e32 v21, v6, v21, vcc_lo
	v_cndmask_b32_e32 v20, v2, v20, vcc_lo
	s_delay_alu instid0(VALU_DEP_1) | instskip(SKIP_1) | instid1(SALU_CYCLE_1)
	v_cmp_ge_u64_e32 vcc_lo, v[20:21], v[25:26]
	s_or_b32 s27, vcc_lo, s27
	s_and_not1_b32 exec_lo, exec_lo, s27
	s_cbranch_execnz .LBB337_158
; %bb.159:
	s_set_inst_prefetch_distance 0x2
	s_or_b32 exec_lo, exec_lo, s27
.LBB337_160:
	s_delay_alu instid0(SALU_CYCLE_1)
	s_or_b32 exec_lo, exec_lo, s26
                                        ; implicit-def: $vgpr16
	s_and_saveexec_b32 s26, s12
	s_cbranch_execz .LBB337_165
; %bb.161:
	s_waitcnt vmcnt(0) lgkmcnt(0)
	v_mov_b32_e32 v16, 0
	v_mov_b32_e32 v17, 0
	s_and_not1_b32 vcc_lo, exec_lo, s25
	s_cbranch_vccnz .LBB337_165
; %bb.162:
	v_dual_mov_b32 v22, s19 :: v_dual_mov_b32 v21, s18
	s_mov_b32 s27, 0
	s_set_inst_prefetch_distance 0x1
	.p2align	6
.LBB337_163:                            ; =>This Inner Loop Header: Depth=1
	s_delay_alu instid0(VALU_DEP_1) | instskip(NEXT) | instid1(VALU_DEP_2)
	v_sub_co_u32 v25, vcc_lo, v21, v16
	v_sub_co_ci_u32_e32 v26, vcc_lo, v22, v17, vcc_lo
	s_delay_alu instid0(VALU_DEP_1) | instskip(SKIP_1) | instid1(VALU_DEP_2)
	v_lshrrev_b64 v[29:30], 1, v[25:26]
	v_lshrrev_b64 v[25:26], 6, v[25:26]
	v_add_co_u32 v2, vcc_lo, v29, v16
	s_delay_alu instid0(VALU_DEP_3) | instskip(NEXT) | instid1(VALU_DEP_2)
	v_add_co_ci_u32_e32 v6, vcc_lo, v30, v17, vcc_lo
	v_add_co_u32 v25, vcc_lo, v2, v25
	s_delay_alu instid0(VALU_DEP_2) | instskip(NEXT) | instid1(VALU_DEP_2)
	v_add_co_ci_u32_e32 v26, vcc_lo, v6, v26, vcc_lo
	v_add_co_u32 v2, s15, v25, 1
	s_delay_alu instid0(VALU_DEP_2) | instskip(SKIP_1) | instid1(VALU_DEP_2)
	v_lshlrev_b64 v[29:30], 3, v[25:26]
	v_add_co_ci_u32_e64 v6, s15, 0, v26, s15
	v_add_co_u32 v29, vcc_lo, s16, v29
	s_delay_alu instid0(VALU_DEP_3)
	v_add_co_ci_u32_e32 v30, vcc_lo, s17, v30, vcc_lo
	global_load_b64 v[29:30], v[29:30], off
	s_waitcnt vmcnt(0)
	v_cmp_gt_f64_e32 vcc_lo, v[29:30], v[13:14]
	v_dual_cndmask_b32 v22, v22, v26 :: v_dual_cndmask_b32 v21, v21, v25
	v_cndmask_b32_e32 v17, v6, v17, vcc_lo
	v_cndmask_b32_e32 v16, v2, v16, vcc_lo
	s_delay_alu instid0(VALU_DEP_1) | instskip(SKIP_1) | instid1(SALU_CYCLE_1)
	v_cmp_ge_u64_e32 vcc_lo, v[16:17], v[21:22]
	s_or_b32 s27, vcc_lo, s27
	s_and_not1_b32 exec_lo, exec_lo, s27
	s_cbranch_execnz .LBB337_163
; %bb.164:
	s_set_inst_prefetch_distance 0x2
	s_or_b32 exec_lo, exec_lo, s27
.LBB337_165:
	s_delay_alu instid0(SALU_CYCLE_1)
	s_or_b32 exec_lo, exec_lo, s26
                                        ; implicit-def: $vgpr12
	s_and_saveexec_b32 s26, s13
	s_cbranch_execz .LBB337_170
; %bb.166:
	s_waitcnt vmcnt(0) lgkmcnt(0)
	v_mov_b32_e32 v12, 0
	v_mov_b32_e32 v13, 0
	s_and_not1_b32 vcc_lo, exec_lo, s25
	s_cbranch_vccnz .LBB337_170
; %bb.167:
	v_dual_mov_b32 v17, s18 :: v_dual_mov_b32 v18, s19
	s_mov_b32 s27, 0
	s_set_inst_prefetch_distance 0x1
	.p2align	6
.LBB337_168:                            ; =>This Inner Loop Header: Depth=1
	s_delay_alu instid0(VALU_DEP_1) | instskip(NEXT) | instid1(VALU_DEP_2)
	v_sub_co_u32 v21, vcc_lo, v17, v12
	v_sub_co_ci_u32_e32 v22, vcc_lo, v18, v13, vcc_lo
	s_delay_alu instid0(VALU_DEP_1) | instskip(SKIP_1) | instid1(VALU_DEP_2)
	v_lshrrev_b64 v[25:26], 1, v[21:22]
	v_lshrrev_b64 v[21:22], 6, v[21:22]
	v_add_co_u32 v2, vcc_lo, v25, v12
	s_delay_alu instid0(VALU_DEP_3) | instskip(NEXT) | instid1(VALU_DEP_2)
	v_add_co_ci_u32_e32 v6, vcc_lo, v26, v13, vcc_lo
	v_add_co_u32 v21, vcc_lo, v2, v21
	s_delay_alu instid0(VALU_DEP_2) | instskip(NEXT) | instid1(VALU_DEP_2)
	v_add_co_ci_u32_e32 v22, vcc_lo, v6, v22, vcc_lo
	v_add_co_u32 v2, s15, v21, 1
	s_delay_alu instid0(VALU_DEP_2) | instskip(SKIP_1) | instid1(VALU_DEP_2)
	v_lshlrev_b64 v[25:26], 3, v[21:22]
	v_add_co_ci_u32_e64 v6, s15, 0, v22, s15
	v_add_co_u32 v25, vcc_lo, s16, v25
	s_delay_alu instid0(VALU_DEP_3)
	v_add_co_ci_u32_e32 v26, vcc_lo, s17, v26, vcc_lo
	global_load_b64 v[25:26], v[25:26], off
	s_waitcnt vmcnt(0)
	v_cmp_gt_f64_e32 vcc_lo, v[25:26], v[9:10]
	v_dual_cndmask_b32 v18, v18, v22 :: v_dual_cndmask_b32 v17, v17, v21
	v_cndmask_b32_e32 v13, v6, v13, vcc_lo
	v_cndmask_b32_e32 v12, v2, v12, vcc_lo
	s_delay_alu instid0(VALU_DEP_1) | instskip(SKIP_1) | instid1(SALU_CYCLE_1)
	v_cmp_ge_u64_e32 vcc_lo, v[12:13], v[17:18]
	s_or_b32 s27, vcc_lo, s27
	s_and_not1_b32 exec_lo, exec_lo, s27
	s_cbranch_execnz .LBB337_168
; %bb.169:
	s_set_inst_prefetch_distance 0x2
	s_or_b32 exec_lo, exec_lo, s27
.LBB337_170:
	s_delay_alu instid0(SALU_CYCLE_1)
	s_or_b32 exec_lo, exec_lo, s26
                                        ; implicit-def: $vgpr9
	s_and_saveexec_b32 s26, s14
	s_cbranch_execz .LBB337_175
; %bb.171:
	s_waitcnt vmcnt(0) lgkmcnt(0)
	v_mov_b32_e32 v9, 0
	v_mov_b32_e32 v10, 0
	s_and_not1_b32 vcc_lo, exec_lo, s25
	s_cbranch_vccnz .LBB337_175
; %bb.172:
	v_dual_mov_b32 v13, s18 :: v_dual_mov_b32 v14, s19
	s_mov_b32 s27, 0
	s_set_inst_prefetch_distance 0x1
	.p2align	6
.LBB337_173:                            ; =>This Inner Loop Header: Depth=1
	s_delay_alu instid0(VALU_DEP_1) | instskip(NEXT) | instid1(VALU_DEP_2)
	v_sub_co_u32 v17, vcc_lo, v13, v9
	v_sub_co_ci_u32_e32 v18, vcc_lo, v14, v10, vcc_lo
	s_delay_alu instid0(VALU_DEP_1) | instskip(SKIP_1) | instid1(VALU_DEP_2)
	v_lshrrev_b64 v[21:22], 1, v[17:18]
	v_lshrrev_b64 v[17:18], 6, v[17:18]
	v_add_co_u32 v2, vcc_lo, v21, v9
	s_delay_alu instid0(VALU_DEP_3) | instskip(NEXT) | instid1(VALU_DEP_2)
	v_add_co_ci_u32_e32 v6, vcc_lo, v22, v10, vcc_lo
	v_add_co_u32 v17, vcc_lo, v2, v17
	s_delay_alu instid0(VALU_DEP_2) | instskip(NEXT) | instid1(VALU_DEP_2)
	v_add_co_ci_u32_e32 v18, vcc_lo, v6, v18, vcc_lo
	v_add_co_u32 v2, s15, v17, 1
	s_delay_alu instid0(VALU_DEP_2) | instskip(SKIP_1) | instid1(VALU_DEP_2)
	v_lshlrev_b64 v[21:22], 3, v[17:18]
	v_add_co_ci_u32_e64 v6, s15, 0, v18, s15
	v_add_co_u32 v21, vcc_lo, s16, v21
	s_delay_alu instid0(VALU_DEP_3)
	v_add_co_ci_u32_e32 v22, vcc_lo, s17, v22, vcc_lo
	global_load_b64 v[21:22], v[21:22], off
	s_waitcnt vmcnt(0)
	v_cmp_gt_f64_e32 vcc_lo, v[21:22], v[7:8]
	v_dual_cndmask_b32 v14, v14, v18 :: v_dual_cndmask_b32 v13, v13, v17
	v_cndmask_b32_e32 v10, v6, v10, vcc_lo
	v_cndmask_b32_e32 v9, v2, v9, vcc_lo
	s_delay_alu instid0(VALU_DEP_1) | instskip(SKIP_1) | instid1(SALU_CYCLE_1)
	v_cmp_ge_u64_e32 vcc_lo, v[9:10], v[13:14]
	s_or_b32 s27, vcc_lo, s27
	s_and_not1_b32 exec_lo, exec_lo, s27
	s_cbranch_execnz .LBB337_173
; %bb.174:
	s_set_inst_prefetch_distance 0x2
	s_or_b32 exec_lo, exec_lo, s27
.LBB337_175:
	s_delay_alu instid0(SALU_CYCLE_1)
	s_or_b32 exec_lo, exec_lo, s26
                                        ; implicit-def: $vgpr6
	s_and_saveexec_b32 s26, s24
	s_cbranch_execz .LBB337_180
; %bb.176:
	s_waitcnt vmcnt(0) lgkmcnt(0)
	v_mov_b32_e32 v6, 0
	v_mov_b32_e32 v7, 0
	s_and_not1_b32 vcc_lo, exec_lo, s25
	s_cbranch_vccnz .LBB337_180
; %bb.177:
	v_dual_mov_b32 v13, s18 :: v_dual_mov_b32 v14, s19
	s_mov_b32 s18, 0
	s_set_inst_prefetch_distance 0x1
	.p2align	6
.LBB337_178:                            ; =>This Inner Loop Header: Depth=1
	s_delay_alu instid0(VALU_DEP_1) | instskip(NEXT) | instid1(VALU_DEP_2)
	v_sub_co_u32 v17, vcc_lo, v13, v6
	v_sub_co_ci_u32_e32 v18, vcc_lo, v14, v7, vcc_lo
	s_delay_alu instid0(VALU_DEP_1) | instskip(SKIP_1) | instid1(VALU_DEP_2)
	v_lshrrev_b64 v[21:22], 1, v[17:18]
	v_lshrrev_b64 v[17:18], 6, v[17:18]
	v_add_co_u32 v2, vcc_lo, v21, v6
	s_delay_alu instid0(VALU_DEP_3) | instskip(NEXT) | instid1(VALU_DEP_2)
	v_add_co_ci_u32_e32 v8, vcc_lo, v22, v7, vcc_lo
	v_add_co_u32 v17, vcc_lo, v2, v17
	s_delay_alu instid0(VALU_DEP_2) | instskip(NEXT) | instid1(VALU_DEP_2)
	v_add_co_ci_u32_e32 v18, vcc_lo, v8, v18, vcc_lo
	v_add_co_u32 v2, s15, v17, 1
	s_delay_alu instid0(VALU_DEP_2) | instskip(SKIP_1) | instid1(VALU_DEP_2)
	v_lshlrev_b64 v[21:22], 3, v[17:18]
	v_add_co_ci_u32_e64 v8, s15, 0, v18, s15
	v_add_co_u32 v21, vcc_lo, s16, v21
	s_delay_alu instid0(VALU_DEP_3)
	v_add_co_ci_u32_e32 v22, vcc_lo, s17, v22, vcc_lo
	global_load_b64 v[21:22], v[21:22], off
	s_waitcnt vmcnt(0)
	v_cmp_gt_f64_e32 vcc_lo, v[21:22], v[3:4]
	v_dual_cndmask_b32 v14, v14, v18 :: v_dual_cndmask_b32 v13, v13, v17
	v_dual_cndmask_b32 v7, v8, v7 :: v_dual_cndmask_b32 v6, v2, v6
	s_delay_alu instid0(VALU_DEP_1) | instskip(SKIP_1) | instid1(SALU_CYCLE_1)
	v_cmp_ge_u64_e32 vcc_lo, v[6:7], v[13:14]
	s_or_b32 s18, vcc_lo, s18
	s_and_not1_b32 exec_lo, exec_lo, s18
	s_cbranch_execnz .LBB337_178
; %bb.179:
	s_set_inst_prefetch_distance 0x2
	s_or_b32 exec_lo, exec_lo, s18
.LBB337_180:
	s_delay_alu instid0(SALU_CYCLE_1) | instskip(SKIP_2) | instid1(SALU_CYCLE_1)
	s_or_b32 exec_lo, exec_lo, s26
	v_lshlrev_b32_e32 v0, 2, v0
	s_lshl_b64 s[16:17], s[20:21], 2
	s_add_u32 s15, s22, s16
	s_addc_u32 s16, s23, s17
	s_delay_alu instid0(VALU_DEP_1) | instskip(SKIP_3) | instid1(SALU_CYCLE_1)
	v_add_co_u32 v2, s15, s15, v0
	s_waitcnt vmcnt(0) lgkmcnt(0)
	v_add_co_ci_u32_e64 v3, null, s16, 0, s15
	s_and_saveexec_b32 s15, s0
	s_xor_b32 s0, exec_lo, s15
	s_cbranch_execnz .LBB337_200
; %bb.181:
	s_or_b32 exec_lo, exec_lo, s0
	s_and_saveexec_b32 s0, s1
	s_cbranch_execnz .LBB337_201
.LBB337_182:
	s_or_b32 exec_lo, exec_lo, s0
	s_and_saveexec_b32 s0, s2
	s_cbranch_execnz .LBB337_202
.LBB337_183:
	s_or_b32 exec_lo, exec_lo, s0
	s_and_saveexec_b32 s0, s3
	s_cbranch_execnz .LBB337_203
.LBB337_184:
	s_or_b32 exec_lo, exec_lo, s0
	s_and_saveexec_b32 s0, s4
	s_cbranch_execnz .LBB337_204
.LBB337_185:
	s_or_b32 exec_lo, exec_lo, s0
	s_and_saveexec_b32 s0, s5
	s_cbranch_execnz .LBB337_205
.LBB337_186:
	s_or_b32 exec_lo, exec_lo, s0
	s_and_saveexec_b32 s0, s6
	s_cbranch_execnz .LBB337_206
.LBB337_187:
	s_or_b32 exec_lo, exec_lo, s0
	s_and_saveexec_b32 s0, s7
	s_cbranch_execnz .LBB337_207
.LBB337_188:
	s_or_b32 exec_lo, exec_lo, s0
	s_and_saveexec_b32 s0, s8
	s_cbranch_execnz .LBB337_208
.LBB337_189:
	s_or_b32 exec_lo, exec_lo, s0
	s_and_saveexec_b32 s0, s9
	s_cbranch_execnz .LBB337_209
.LBB337_190:
	s_or_b32 exec_lo, exec_lo, s0
	s_and_saveexec_b32 s0, s10
	s_cbranch_execnz .LBB337_210
.LBB337_191:
	s_or_b32 exec_lo, exec_lo, s0
	s_and_saveexec_b32 s0, s11
	s_cbranch_execnz .LBB337_211
.LBB337_192:
	s_or_b32 exec_lo, exec_lo, s0
	s_and_saveexec_b32 s0, s12
	s_cbranch_execnz .LBB337_212
.LBB337_193:
	s_or_b32 exec_lo, exec_lo, s0
	s_and_saveexec_b32 s0, s13
	s_cbranch_execnz .LBB337_213
.LBB337_194:
	s_or_b32 exec_lo, exec_lo, s0
	s_and_saveexec_b32 s0, s14
	s_cbranch_execz .LBB337_196
.LBB337_195:
	flat_store_b32 v[2:3], v9 offset:3584
.LBB337_196:
	s_or_b32 exec_lo, exec_lo, s0
.LBB337_197:
	s_and_saveexec_b32 s0, s24
	s_cbranch_execnz .LBB337_199
; %bb.198:
	s_endpgm
.LBB337_199:
	flat_store_b32 v[2:3], v6 offset:3840
	s_endpgm
.LBB337_200:
	flat_store_b32 v[2:3], v1
	s_or_b32 exec_lo, exec_lo, s0
	s_and_saveexec_b32 s0, s1
	s_cbranch_execz .LBB337_182
.LBB337_201:
	flat_store_b32 v[2:3], v5 offset:256
	s_or_b32 exec_lo, exec_lo, s0
	s_and_saveexec_b32 s0, s2
	s_cbranch_execz .LBB337_183
.LBB337_202:
	flat_store_b32 v[2:3], v11 offset:512
	s_or_b32 exec_lo, exec_lo, s0
	s_and_saveexec_b32 s0, s3
	s_cbranch_execz .LBB337_184
.LBB337_203:
	flat_store_b32 v[2:3], v15 offset:768
	s_or_b32 exec_lo, exec_lo, s0
	s_and_saveexec_b32 s0, s4
	s_cbranch_execz .LBB337_185
.LBB337_204:
	flat_store_b32 v[2:3], v19 offset:1024
	s_or_b32 exec_lo, exec_lo, s0
	s_and_saveexec_b32 s0, s5
	s_cbranch_execz .LBB337_186
.LBB337_205:
	flat_store_b32 v[2:3], v23 offset:1280
	s_or_b32 exec_lo, exec_lo, s0
	s_and_saveexec_b32 s0, s6
	s_cbranch_execz .LBB337_187
.LBB337_206:
	flat_store_b32 v[2:3], v27 offset:1536
	s_or_b32 exec_lo, exec_lo, s0
	s_and_saveexec_b32 s0, s7
	s_cbranch_execz .LBB337_188
.LBB337_207:
	flat_store_b32 v[2:3], v31 offset:1792
	s_or_b32 exec_lo, exec_lo, s0
	s_and_saveexec_b32 s0, s8
	s_cbranch_execz .LBB337_189
.LBB337_208:
	flat_store_b32 v[2:3], v32 offset:2048
	s_or_b32 exec_lo, exec_lo, s0
	s_and_saveexec_b32 s0, s9
	s_cbranch_execz .LBB337_190
.LBB337_209:
	flat_store_b32 v[2:3], v28 offset:2304
	s_or_b32 exec_lo, exec_lo, s0
	s_and_saveexec_b32 s0, s10
	s_cbranch_execz .LBB337_191
.LBB337_210:
	flat_store_b32 v[2:3], v24 offset:2560
	s_or_b32 exec_lo, exec_lo, s0
	s_and_saveexec_b32 s0, s11
	s_cbranch_execz .LBB337_192
.LBB337_211:
	flat_store_b32 v[2:3], v20 offset:2816
	s_or_b32 exec_lo, exec_lo, s0
	s_and_saveexec_b32 s0, s12
	s_cbranch_execz .LBB337_193
.LBB337_212:
	flat_store_b32 v[2:3], v16 offset:3072
	s_or_b32 exec_lo, exec_lo, s0
	s_and_saveexec_b32 s0, s13
	s_cbranch_execz .LBB337_194
.LBB337_213:
	flat_store_b32 v[2:3], v12 offset:3328
	s_or_b32 exec_lo, exec_lo, s0
	s_and_saveexec_b32 s0, s14
	s_cbranch_execnz .LBB337_195
	s_branch .LBB337_196
	.section	.rodata,"a",@progbits
	.p2align	6, 0x0
	.amdhsa_kernel _ZN7rocprim17ROCPRIM_400000_NS6detail17trampoline_kernelINS0_14default_configENS1_27upper_bound_config_selectorIdiEEZNS1_14transform_implILb0ES3_S5_N6thrust23THRUST_200600_302600_NS6detail15normal_iteratorINS8_10device_ptrIdEEEENSA_INSB_IiEEEEZNS1_13binary_searchIS3_S5_SD_SD_SF_NS1_21upper_bound_search_opENS9_16wrapped_functionINS0_4lessIvEEbEEEE10hipError_tPvRmT1_T2_T3_mmT4_T5_P12ihipStream_tbEUlRKdE_EESM_SQ_SR_mSS_SV_bEUlT_E_NS1_11comp_targetILNS1_3genE9ELNS1_11target_archE1100ELNS1_3gpuE3ELNS1_3repE0EEENS1_30default_config_static_selectorELNS0_4arch9wavefront6targetE0EEEvSP_
		.amdhsa_group_segment_fixed_size 0
		.amdhsa_private_segment_fixed_size 0
		.amdhsa_kernarg_size 312
		.amdhsa_user_sgpr_count 15
		.amdhsa_user_sgpr_dispatch_ptr 0
		.amdhsa_user_sgpr_queue_ptr 0
		.amdhsa_user_sgpr_kernarg_segment_ptr 1
		.amdhsa_user_sgpr_dispatch_id 0
		.amdhsa_user_sgpr_private_segment_size 0
		.amdhsa_wavefront_size32 1
		.amdhsa_uses_dynamic_stack 0
		.amdhsa_enable_private_segment 0
		.amdhsa_system_sgpr_workgroup_id_x 1
		.amdhsa_system_sgpr_workgroup_id_y 0
		.amdhsa_system_sgpr_workgroup_id_z 0
		.amdhsa_system_sgpr_workgroup_info 0
		.amdhsa_system_vgpr_workitem_id 0
		.amdhsa_next_free_vgpr 41
		.amdhsa_next_free_sgpr 28
		.amdhsa_reserve_vcc 1
		.amdhsa_float_round_mode_32 0
		.amdhsa_float_round_mode_16_64 0
		.amdhsa_float_denorm_mode_32 3
		.amdhsa_float_denorm_mode_16_64 3
		.amdhsa_dx10_clamp 1
		.amdhsa_ieee_mode 1
		.amdhsa_fp16_overflow 0
		.amdhsa_workgroup_processor_mode 1
		.amdhsa_memory_ordered 1
		.amdhsa_forward_progress 0
		.amdhsa_shared_vgpr_count 0
		.amdhsa_exception_fp_ieee_invalid_op 0
		.amdhsa_exception_fp_denorm_src 0
		.amdhsa_exception_fp_ieee_div_zero 0
		.amdhsa_exception_fp_ieee_overflow 0
		.amdhsa_exception_fp_ieee_underflow 0
		.amdhsa_exception_fp_ieee_inexact 0
		.amdhsa_exception_int_div_zero 0
	.end_amdhsa_kernel
	.section	.text._ZN7rocprim17ROCPRIM_400000_NS6detail17trampoline_kernelINS0_14default_configENS1_27upper_bound_config_selectorIdiEEZNS1_14transform_implILb0ES3_S5_N6thrust23THRUST_200600_302600_NS6detail15normal_iteratorINS8_10device_ptrIdEEEENSA_INSB_IiEEEEZNS1_13binary_searchIS3_S5_SD_SD_SF_NS1_21upper_bound_search_opENS9_16wrapped_functionINS0_4lessIvEEbEEEE10hipError_tPvRmT1_T2_T3_mmT4_T5_P12ihipStream_tbEUlRKdE_EESM_SQ_SR_mSS_SV_bEUlT_E_NS1_11comp_targetILNS1_3genE9ELNS1_11target_archE1100ELNS1_3gpuE3ELNS1_3repE0EEENS1_30default_config_static_selectorELNS0_4arch9wavefront6targetE0EEEvSP_,"axG",@progbits,_ZN7rocprim17ROCPRIM_400000_NS6detail17trampoline_kernelINS0_14default_configENS1_27upper_bound_config_selectorIdiEEZNS1_14transform_implILb0ES3_S5_N6thrust23THRUST_200600_302600_NS6detail15normal_iteratorINS8_10device_ptrIdEEEENSA_INSB_IiEEEEZNS1_13binary_searchIS3_S5_SD_SD_SF_NS1_21upper_bound_search_opENS9_16wrapped_functionINS0_4lessIvEEbEEEE10hipError_tPvRmT1_T2_T3_mmT4_T5_P12ihipStream_tbEUlRKdE_EESM_SQ_SR_mSS_SV_bEUlT_E_NS1_11comp_targetILNS1_3genE9ELNS1_11target_archE1100ELNS1_3gpuE3ELNS1_3repE0EEENS1_30default_config_static_selectorELNS0_4arch9wavefront6targetE0EEEvSP_,comdat
.Lfunc_end337:
	.size	_ZN7rocprim17ROCPRIM_400000_NS6detail17trampoline_kernelINS0_14default_configENS1_27upper_bound_config_selectorIdiEEZNS1_14transform_implILb0ES3_S5_N6thrust23THRUST_200600_302600_NS6detail15normal_iteratorINS8_10device_ptrIdEEEENSA_INSB_IiEEEEZNS1_13binary_searchIS3_S5_SD_SD_SF_NS1_21upper_bound_search_opENS9_16wrapped_functionINS0_4lessIvEEbEEEE10hipError_tPvRmT1_T2_T3_mmT4_T5_P12ihipStream_tbEUlRKdE_EESM_SQ_SR_mSS_SV_bEUlT_E_NS1_11comp_targetILNS1_3genE9ELNS1_11target_archE1100ELNS1_3gpuE3ELNS1_3repE0EEENS1_30default_config_static_selectorELNS0_4arch9wavefront6targetE0EEEvSP_, .Lfunc_end337-_ZN7rocprim17ROCPRIM_400000_NS6detail17trampoline_kernelINS0_14default_configENS1_27upper_bound_config_selectorIdiEEZNS1_14transform_implILb0ES3_S5_N6thrust23THRUST_200600_302600_NS6detail15normal_iteratorINS8_10device_ptrIdEEEENSA_INSB_IiEEEEZNS1_13binary_searchIS3_S5_SD_SD_SF_NS1_21upper_bound_search_opENS9_16wrapped_functionINS0_4lessIvEEbEEEE10hipError_tPvRmT1_T2_T3_mmT4_T5_P12ihipStream_tbEUlRKdE_EESM_SQ_SR_mSS_SV_bEUlT_E_NS1_11comp_targetILNS1_3genE9ELNS1_11target_archE1100ELNS1_3gpuE3ELNS1_3repE0EEENS1_30default_config_static_selectorELNS0_4arch9wavefront6targetE0EEEvSP_
                                        ; -- End function
	.section	.AMDGPU.csdata,"",@progbits
; Kernel info:
; codeLenInByte = 9040
; NumSgprs: 30
; NumVgprs: 41
; ScratchSize: 0
; MemoryBound: 0
; FloatMode: 240
; IeeeMode: 1
; LDSByteSize: 0 bytes/workgroup (compile time only)
; SGPRBlocks: 3
; VGPRBlocks: 5
; NumSGPRsForWavesPerEU: 30
; NumVGPRsForWavesPerEU: 41
; Occupancy: 16
; WaveLimiterHint : 1
; COMPUTE_PGM_RSRC2:SCRATCH_EN: 0
; COMPUTE_PGM_RSRC2:USER_SGPR: 15
; COMPUTE_PGM_RSRC2:TRAP_HANDLER: 0
; COMPUTE_PGM_RSRC2:TGID_X_EN: 1
; COMPUTE_PGM_RSRC2:TGID_Y_EN: 0
; COMPUTE_PGM_RSRC2:TGID_Z_EN: 0
; COMPUTE_PGM_RSRC2:TIDIG_COMP_CNT: 0
	.section	.text._ZN7rocprim17ROCPRIM_400000_NS6detail17trampoline_kernelINS0_14default_configENS1_27upper_bound_config_selectorIdiEEZNS1_14transform_implILb0ES3_S5_N6thrust23THRUST_200600_302600_NS6detail15normal_iteratorINS8_10device_ptrIdEEEENSA_INSB_IiEEEEZNS1_13binary_searchIS3_S5_SD_SD_SF_NS1_21upper_bound_search_opENS9_16wrapped_functionINS0_4lessIvEEbEEEE10hipError_tPvRmT1_T2_T3_mmT4_T5_P12ihipStream_tbEUlRKdE_EESM_SQ_SR_mSS_SV_bEUlT_E_NS1_11comp_targetILNS1_3genE8ELNS1_11target_archE1030ELNS1_3gpuE2ELNS1_3repE0EEENS1_30default_config_static_selectorELNS0_4arch9wavefront6targetE0EEEvSP_,"axG",@progbits,_ZN7rocprim17ROCPRIM_400000_NS6detail17trampoline_kernelINS0_14default_configENS1_27upper_bound_config_selectorIdiEEZNS1_14transform_implILb0ES3_S5_N6thrust23THRUST_200600_302600_NS6detail15normal_iteratorINS8_10device_ptrIdEEEENSA_INSB_IiEEEEZNS1_13binary_searchIS3_S5_SD_SD_SF_NS1_21upper_bound_search_opENS9_16wrapped_functionINS0_4lessIvEEbEEEE10hipError_tPvRmT1_T2_T3_mmT4_T5_P12ihipStream_tbEUlRKdE_EESM_SQ_SR_mSS_SV_bEUlT_E_NS1_11comp_targetILNS1_3genE8ELNS1_11target_archE1030ELNS1_3gpuE2ELNS1_3repE0EEENS1_30default_config_static_selectorELNS0_4arch9wavefront6targetE0EEEvSP_,comdat
	.protected	_ZN7rocprim17ROCPRIM_400000_NS6detail17trampoline_kernelINS0_14default_configENS1_27upper_bound_config_selectorIdiEEZNS1_14transform_implILb0ES3_S5_N6thrust23THRUST_200600_302600_NS6detail15normal_iteratorINS8_10device_ptrIdEEEENSA_INSB_IiEEEEZNS1_13binary_searchIS3_S5_SD_SD_SF_NS1_21upper_bound_search_opENS9_16wrapped_functionINS0_4lessIvEEbEEEE10hipError_tPvRmT1_T2_T3_mmT4_T5_P12ihipStream_tbEUlRKdE_EESM_SQ_SR_mSS_SV_bEUlT_E_NS1_11comp_targetILNS1_3genE8ELNS1_11target_archE1030ELNS1_3gpuE2ELNS1_3repE0EEENS1_30default_config_static_selectorELNS0_4arch9wavefront6targetE0EEEvSP_ ; -- Begin function _ZN7rocprim17ROCPRIM_400000_NS6detail17trampoline_kernelINS0_14default_configENS1_27upper_bound_config_selectorIdiEEZNS1_14transform_implILb0ES3_S5_N6thrust23THRUST_200600_302600_NS6detail15normal_iteratorINS8_10device_ptrIdEEEENSA_INSB_IiEEEEZNS1_13binary_searchIS3_S5_SD_SD_SF_NS1_21upper_bound_search_opENS9_16wrapped_functionINS0_4lessIvEEbEEEE10hipError_tPvRmT1_T2_T3_mmT4_T5_P12ihipStream_tbEUlRKdE_EESM_SQ_SR_mSS_SV_bEUlT_E_NS1_11comp_targetILNS1_3genE8ELNS1_11target_archE1030ELNS1_3gpuE2ELNS1_3repE0EEENS1_30default_config_static_selectorELNS0_4arch9wavefront6targetE0EEEvSP_
	.globl	_ZN7rocprim17ROCPRIM_400000_NS6detail17trampoline_kernelINS0_14default_configENS1_27upper_bound_config_selectorIdiEEZNS1_14transform_implILb0ES3_S5_N6thrust23THRUST_200600_302600_NS6detail15normal_iteratorINS8_10device_ptrIdEEEENSA_INSB_IiEEEEZNS1_13binary_searchIS3_S5_SD_SD_SF_NS1_21upper_bound_search_opENS9_16wrapped_functionINS0_4lessIvEEbEEEE10hipError_tPvRmT1_T2_T3_mmT4_T5_P12ihipStream_tbEUlRKdE_EESM_SQ_SR_mSS_SV_bEUlT_E_NS1_11comp_targetILNS1_3genE8ELNS1_11target_archE1030ELNS1_3gpuE2ELNS1_3repE0EEENS1_30default_config_static_selectorELNS0_4arch9wavefront6targetE0EEEvSP_
	.p2align	8
	.type	_ZN7rocprim17ROCPRIM_400000_NS6detail17trampoline_kernelINS0_14default_configENS1_27upper_bound_config_selectorIdiEEZNS1_14transform_implILb0ES3_S5_N6thrust23THRUST_200600_302600_NS6detail15normal_iteratorINS8_10device_ptrIdEEEENSA_INSB_IiEEEEZNS1_13binary_searchIS3_S5_SD_SD_SF_NS1_21upper_bound_search_opENS9_16wrapped_functionINS0_4lessIvEEbEEEE10hipError_tPvRmT1_T2_T3_mmT4_T5_P12ihipStream_tbEUlRKdE_EESM_SQ_SR_mSS_SV_bEUlT_E_NS1_11comp_targetILNS1_3genE8ELNS1_11target_archE1030ELNS1_3gpuE2ELNS1_3repE0EEENS1_30default_config_static_selectorELNS0_4arch9wavefront6targetE0EEEvSP_,@function
_ZN7rocprim17ROCPRIM_400000_NS6detail17trampoline_kernelINS0_14default_configENS1_27upper_bound_config_selectorIdiEEZNS1_14transform_implILb0ES3_S5_N6thrust23THRUST_200600_302600_NS6detail15normal_iteratorINS8_10device_ptrIdEEEENSA_INSB_IiEEEEZNS1_13binary_searchIS3_S5_SD_SD_SF_NS1_21upper_bound_search_opENS9_16wrapped_functionINS0_4lessIvEEbEEEE10hipError_tPvRmT1_T2_T3_mmT4_T5_P12ihipStream_tbEUlRKdE_EESM_SQ_SR_mSS_SV_bEUlT_E_NS1_11comp_targetILNS1_3genE8ELNS1_11target_archE1030ELNS1_3gpuE2ELNS1_3repE0EEENS1_30default_config_static_selectorELNS0_4arch9wavefront6targetE0EEEvSP_: ; @_ZN7rocprim17ROCPRIM_400000_NS6detail17trampoline_kernelINS0_14default_configENS1_27upper_bound_config_selectorIdiEEZNS1_14transform_implILb0ES3_S5_N6thrust23THRUST_200600_302600_NS6detail15normal_iteratorINS8_10device_ptrIdEEEENSA_INSB_IiEEEEZNS1_13binary_searchIS3_S5_SD_SD_SF_NS1_21upper_bound_search_opENS9_16wrapped_functionINS0_4lessIvEEbEEEE10hipError_tPvRmT1_T2_T3_mmT4_T5_P12ihipStream_tbEUlRKdE_EESM_SQ_SR_mSS_SV_bEUlT_E_NS1_11comp_targetILNS1_3genE8ELNS1_11target_archE1030ELNS1_3gpuE2ELNS1_3repE0EEENS1_30default_config_static_selectorELNS0_4arch9wavefront6targetE0EEEvSP_
; %bb.0:
	.section	.rodata,"a",@progbits
	.p2align	6, 0x0
	.amdhsa_kernel _ZN7rocprim17ROCPRIM_400000_NS6detail17trampoline_kernelINS0_14default_configENS1_27upper_bound_config_selectorIdiEEZNS1_14transform_implILb0ES3_S5_N6thrust23THRUST_200600_302600_NS6detail15normal_iteratorINS8_10device_ptrIdEEEENSA_INSB_IiEEEEZNS1_13binary_searchIS3_S5_SD_SD_SF_NS1_21upper_bound_search_opENS9_16wrapped_functionINS0_4lessIvEEbEEEE10hipError_tPvRmT1_T2_T3_mmT4_T5_P12ihipStream_tbEUlRKdE_EESM_SQ_SR_mSS_SV_bEUlT_E_NS1_11comp_targetILNS1_3genE8ELNS1_11target_archE1030ELNS1_3gpuE2ELNS1_3repE0EEENS1_30default_config_static_selectorELNS0_4arch9wavefront6targetE0EEEvSP_
		.amdhsa_group_segment_fixed_size 0
		.amdhsa_private_segment_fixed_size 0
		.amdhsa_kernarg_size 56
		.amdhsa_user_sgpr_count 15
		.amdhsa_user_sgpr_dispatch_ptr 0
		.amdhsa_user_sgpr_queue_ptr 0
		.amdhsa_user_sgpr_kernarg_segment_ptr 1
		.amdhsa_user_sgpr_dispatch_id 0
		.amdhsa_user_sgpr_private_segment_size 0
		.amdhsa_wavefront_size32 1
		.amdhsa_uses_dynamic_stack 0
		.amdhsa_enable_private_segment 0
		.amdhsa_system_sgpr_workgroup_id_x 1
		.amdhsa_system_sgpr_workgroup_id_y 0
		.amdhsa_system_sgpr_workgroup_id_z 0
		.amdhsa_system_sgpr_workgroup_info 0
		.amdhsa_system_vgpr_workitem_id 0
		.amdhsa_next_free_vgpr 1
		.amdhsa_next_free_sgpr 1
		.amdhsa_reserve_vcc 0
		.amdhsa_float_round_mode_32 0
		.amdhsa_float_round_mode_16_64 0
		.amdhsa_float_denorm_mode_32 3
		.amdhsa_float_denorm_mode_16_64 3
		.amdhsa_dx10_clamp 1
		.amdhsa_ieee_mode 1
		.amdhsa_fp16_overflow 0
		.amdhsa_workgroup_processor_mode 1
		.amdhsa_memory_ordered 1
		.amdhsa_forward_progress 0
		.amdhsa_shared_vgpr_count 0
		.amdhsa_exception_fp_ieee_invalid_op 0
		.amdhsa_exception_fp_denorm_src 0
		.amdhsa_exception_fp_ieee_div_zero 0
		.amdhsa_exception_fp_ieee_overflow 0
		.amdhsa_exception_fp_ieee_underflow 0
		.amdhsa_exception_fp_ieee_inexact 0
		.amdhsa_exception_int_div_zero 0
	.end_amdhsa_kernel
	.section	.text._ZN7rocprim17ROCPRIM_400000_NS6detail17trampoline_kernelINS0_14default_configENS1_27upper_bound_config_selectorIdiEEZNS1_14transform_implILb0ES3_S5_N6thrust23THRUST_200600_302600_NS6detail15normal_iteratorINS8_10device_ptrIdEEEENSA_INSB_IiEEEEZNS1_13binary_searchIS3_S5_SD_SD_SF_NS1_21upper_bound_search_opENS9_16wrapped_functionINS0_4lessIvEEbEEEE10hipError_tPvRmT1_T2_T3_mmT4_T5_P12ihipStream_tbEUlRKdE_EESM_SQ_SR_mSS_SV_bEUlT_E_NS1_11comp_targetILNS1_3genE8ELNS1_11target_archE1030ELNS1_3gpuE2ELNS1_3repE0EEENS1_30default_config_static_selectorELNS0_4arch9wavefront6targetE0EEEvSP_,"axG",@progbits,_ZN7rocprim17ROCPRIM_400000_NS6detail17trampoline_kernelINS0_14default_configENS1_27upper_bound_config_selectorIdiEEZNS1_14transform_implILb0ES3_S5_N6thrust23THRUST_200600_302600_NS6detail15normal_iteratorINS8_10device_ptrIdEEEENSA_INSB_IiEEEEZNS1_13binary_searchIS3_S5_SD_SD_SF_NS1_21upper_bound_search_opENS9_16wrapped_functionINS0_4lessIvEEbEEEE10hipError_tPvRmT1_T2_T3_mmT4_T5_P12ihipStream_tbEUlRKdE_EESM_SQ_SR_mSS_SV_bEUlT_E_NS1_11comp_targetILNS1_3genE8ELNS1_11target_archE1030ELNS1_3gpuE2ELNS1_3repE0EEENS1_30default_config_static_selectorELNS0_4arch9wavefront6targetE0EEEvSP_,comdat
.Lfunc_end338:
	.size	_ZN7rocprim17ROCPRIM_400000_NS6detail17trampoline_kernelINS0_14default_configENS1_27upper_bound_config_selectorIdiEEZNS1_14transform_implILb0ES3_S5_N6thrust23THRUST_200600_302600_NS6detail15normal_iteratorINS8_10device_ptrIdEEEENSA_INSB_IiEEEEZNS1_13binary_searchIS3_S5_SD_SD_SF_NS1_21upper_bound_search_opENS9_16wrapped_functionINS0_4lessIvEEbEEEE10hipError_tPvRmT1_T2_T3_mmT4_T5_P12ihipStream_tbEUlRKdE_EESM_SQ_SR_mSS_SV_bEUlT_E_NS1_11comp_targetILNS1_3genE8ELNS1_11target_archE1030ELNS1_3gpuE2ELNS1_3repE0EEENS1_30default_config_static_selectorELNS0_4arch9wavefront6targetE0EEEvSP_, .Lfunc_end338-_ZN7rocprim17ROCPRIM_400000_NS6detail17trampoline_kernelINS0_14default_configENS1_27upper_bound_config_selectorIdiEEZNS1_14transform_implILb0ES3_S5_N6thrust23THRUST_200600_302600_NS6detail15normal_iteratorINS8_10device_ptrIdEEEENSA_INSB_IiEEEEZNS1_13binary_searchIS3_S5_SD_SD_SF_NS1_21upper_bound_search_opENS9_16wrapped_functionINS0_4lessIvEEbEEEE10hipError_tPvRmT1_T2_T3_mmT4_T5_P12ihipStream_tbEUlRKdE_EESM_SQ_SR_mSS_SV_bEUlT_E_NS1_11comp_targetILNS1_3genE8ELNS1_11target_archE1030ELNS1_3gpuE2ELNS1_3repE0EEENS1_30default_config_static_selectorELNS0_4arch9wavefront6targetE0EEEvSP_
                                        ; -- End function
	.section	.AMDGPU.csdata,"",@progbits
; Kernel info:
; codeLenInByte = 0
; NumSgprs: 0
; NumVgprs: 0
; ScratchSize: 0
; MemoryBound: 0
; FloatMode: 240
; IeeeMode: 1
; LDSByteSize: 0 bytes/workgroup (compile time only)
; SGPRBlocks: 0
; VGPRBlocks: 0
; NumSGPRsForWavesPerEU: 1
; NumVGPRsForWavesPerEU: 1
; Occupancy: 16
; WaveLimiterHint : 0
; COMPUTE_PGM_RSRC2:SCRATCH_EN: 0
; COMPUTE_PGM_RSRC2:USER_SGPR: 15
; COMPUTE_PGM_RSRC2:TRAP_HANDLER: 0
; COMPUTE_PGM_RSRC2:TGID_X_EN: 1
; COMPUTE_PGM_RSRC2:TGID_Y_EN: 0
; COMPUTE_PGM_RSRC2:TGID_Z_EN: 0
; COMPUTE_PGM_RSRC2:TIDIG_COMP_CNT: 0
	.section	.text._ZN7rocprim17ROCPRIM_400000_NS6detail17trampoline_kernelINS0_14default_configENS1_27upper_bound_config_selectorIfiEEZNS1_14transform_implILb0ES3_S5_N6thrust23THRUST_200600_302600_NS6detail15normal_iteratorINS8_10device_ptrIfEEEENSA_INSB_IiEEEEZNS1_13binary_searchIS3_S5_SD_SD_SF_NS1_21upper_bound_search_opENS9_16wrapped_functionINS0_4lessIvEEbEEEE10hipError_tPvRmT1_T2_T3_mmT4_T5_P12ihipStream_tbEUlRKfE_EESM_SQ_SR_mSS_SV_bEUlT_E_NS1_11comp_targetILNS1_3genE0ELNS1_11target_archE4294967295ELNS1_3gpuE0ELNS1_3repE0EEENS1_30default_config_static_selectorELNS0_4arch9wavefront6targetE0EEEvSP_,"axG",@progbits,_ZN7rocprim17ROCPRIM_400000_NS6detail17trampoline_kernelINS0_14default_configENS1_27upper_bound_config_selectorIfiEEZNS1_14transform_implILb0ES3_S5_N6thrust23THRUST_200600_302600_NS6detail15normal_iteratorINS8_10device_ptrIfEEEENSA_INSB_IiEEEEZNS1_13binary_searchIS3_S5_SD_SD_SF_NS1_21upper_bound_search_opENS9_16wrapped_functionINS0_4lessIvEEbEEEE10hipError_tPvRmT1_T2_T3_mmT4_T5_P12ihipStream_tbEUlRKfE_EESM_SQ_SR_mSS_SV_bEUlT_E_NS1_11comp_targetILNS1_3genE0ELNS1_11target_archE4294967295ELNS1_3gpuE0ELNS1_3repE0EEENS1_30default_config_static_selectorELNS0_4arch9wavefront6targetE0EEEvSP_,comdat
	.protected	_ZN7rocprim17ROCPRIM_400000_NS6detail17trampoline_kernelINS0_14default_configENS1_27upper_bound_config_selectorIfiEEZNS1_14transform_implILb0ES3_S5_N6thrust23THRUST_200600_302600_NS6detail15normal_iteratorINS8_10device_ptrIfEEEENSA_INSB_IiEEEEZNS1_13binary_searchIS3_S5_SD_SD_SF_NS1_21upper_bound_search_opENS9_16wrapped_functionINS0_4lessIvEEbEEEE10hipError_tPvRmT1_T2_T3_mmT4_T5_P12ihipStream_tbEUlRKfE_EESM_SQ_SR_mSS_SV_bEUlT_E_NS1_11comp_targetILNS1_3genE0ELNS1_11target_archE4294967295ELNS1_3gpuE0ELNS1_3repE0EEENS1_30default_config_static_selectorELNS0_4arch9wavefront6targetE0EEEvSP_ ; -- Begin function _ZN7rocprim17ROCPRIM_400000_NS6detail17trampoline_kernelINS0_14default_configENS1_27upper_bound_config_selectorIfiEEZNS1_14transform_implILb0ES3_S5_N6thrust23THRUST_200600_302600_NS6detail15normal_iteratorINS8_10device_ptrIfEEEENSA_INSB_IiEEEEZNS1_13binary_searchIS3_S5_SD_SD_SF_NS1_21upper_bound_search_opENS9_16wrapped_functionINS0_4lessIvEEbEEEE10hipError_tPvRmT1_T2_T3_mmT4_T5_P12ihipStream_tbEUlRKfE_EESM_SQ_SR_mSS_SV_bEUlT_E_NS1_11comp_targetILNS1_3genE0ELNS1_11target_archE4294967295ELNS1_3gpuE0ELNS1_3repE0EEENS1_30default_config_static_selectorELNS0_4arch9wavefront6targetE0EEEvSP_
	.globl	_ZN7rocprim17ROCPRIM_400000_NS6detail17trampoline_kernelINS0_14default_configENS1_27upper_bound_config_selectorIfiEEZNS1_14transform_implILb0ES3_S5_N6thrust23THRUST_200600_302600_NS6detail15normal_iteratorINS8_10device_ptrIfEEEENSA_INSB_IiEEEEZNS1_13binary_searchIS3_S5_SD_SD_SF_NS1_21upper_bound_search_opENS9_16wrapped_functionINS0_4lessIvEEbEEEE10hipError_tPvRmT1_T2_T3_mmT4_T5_P12ihipStream_tbEUlRKfE_EESM_SQ_SR_mSS_SV_bEUlT_E_NS1_11comp_targetILNS1_3genE0ELNS1_11target_archE4294967295ELNS1_3gpuE0ELNS1_3repE0EEENS1_30default_config_static_selectorELNS0_4arch9wavefront6targetE0EEEvSP_
	.p2align	8
	.type	_ZN7rocprim17ROCPRIM_400000_NS6detail17trampoline_kernelINS0_14default_configENS1_27upper_bound_config_selectorIfiEEZNS1_14transform_implILb0ES3_S5_N6thrust23THRUST_200600_302600_NS6detail15normal_iteratorINS8_10device_ptrIfEEEENSA_INSB_IiEEEEZNS1_13binary_searchIS3_S5_SD_SD_SF_NS1_21upper_bound_search_opENS9_16wrapped_functionINS0_4lessIvEEbEEEE10hipError_tPvRmT1_T2_T3_mmT4_T5_P12ihipStream_tbEUlRKfE_EESM_SQ_SR_mSS_SV_bEUlT_E_NS1_11comp_targetILNS1_3genE0ELNS1_11target_archE4294967295ELNS1_3gpuE0ELNS1_3repE0EEENS1_30default_config_static_selectorELNS0_4arch9wavefront6targetE0EEEvSP_,@function
_ZN7rocprim17ROCPRIM_400000_NS6detail17trampoline_kernelINS0_14default_configENS1_27upper_bound_config_selectorIfiEEZNS1_14transform_implILb0ES3_S5_N6thrust23THRUST_200600_302600_NS6detail15normal_iteratorINS8_10device_ptrIfEEEENSA_INSB_IiEEEEZNS1_13binary_searchIS3_S5_SD_SD_SF_NS1_21upper_bound_search_opENS9_16wrapped_functionINS0_4lessIvEEbEEEE10hipError_tPvRmT1_T2_T3_mmT4_T5_P12ihipStream_tbEUlRKfE_EESM_SQ_SR_mSS_SV_bEUlT_E_NS1_11comp_targetILNS1_3genE0ELNS1_11target_archE4294967295ELNS1_3gpuE0ELNS1_3repE0EEENS1_30default_config_static_selectorELNS0_4arch9wavefront6targetE0EEEvSP_: ; @_ZN7rocprim17ROCPRIM_400000_NS6detail17trampoline_kernelINS0_14default_configENS1_27upper_bound_config_selectorIfiEEZNS1_14transform_implILb0ES3_S5_N6thrust23THRUST_200600_302600_NS6detail15normal_iteratorINS8_10device_ptrIfEEEENSA_INSB_IiEEEEZNS1_13binary_searchIS3_S5_SD_SD_SF_NS1_21upper_bound_search_opENS9_16wrapped_functionINS0_4lessIvEEbEEEE10hipError_tPvRmT1_T2_T3_mmT4_T5_P12ihipStream_tbEUlRKfE_EESM_SQ_SR_mSS_SV_bEUlT_E_NS1_11comp_targetILNS1_3genE0ELNS1_11target_archE4294967295ELNS1_3gpuE0ELNS1_3repE0EEENS1_30default_config_static_selectorELNS0_4arch9wavefront6targetE0EEEvSP_
; %bb.0:
	.section	.rodata,"a",@progbits
	.p2align	6, 0x0
	.amdhsa_kernel _ZN7rocprim17ROCPRIM_400000_NS6detail17trampoline_kernelINS0_14default_configENS1_27upper_bound_config_selectorIfiEEZNS1_14transform_implILb0ES3_S5_N6thrust23THRUST_200600_302600_NS6detail15normal_iteratorINS8_10device_ptrIfEEEENSA_INSB_IiEEEEZNS1_13binary_searchIS3_S5_SD_SD_SF_NS1_21upper_bound_search_opENS9_16wrapped_functionINS0_4lessIvEEbEEEE10hipError_tPvRmT1_T2_T3_mmT4_T5_P12ihipStream_tbEUlRKfE_EESM_SQ_SR_mSS_SV_bEUlT_E_NS1_11comp_targetILNS1_3genE0ELNS1_11target_archE4294967295ELNS1_3gpuE0ELNS1_3repE0EEENS1_30default_config_static_selectorELNS0_4arch9wavefront6targetE0EEEvSP_
		.amdhsa_group_segment_fixed_size 0
		.amdhsa_private_segment_fixed_size 0
		.amdhsa_kernarg_size 56
		.amdhsa_user_sgpr_count 15
		.amdhsa_user_sgpr_dispatch_ptr 0
		.amdhsa_user_sgpr_queue_ptr 0
		.amdhsa_user_sgpr_kernarg_segment_ptr 1
		.amdhsa_user_sgpr_dispatch_id 0
		.amdhsa_user_sgpr_private_segment_size 0
		.amdhsa_wavefront_size32 1
		.amdhsa_uses_dynamic_stack 0
		.amdhsa_enable_private_segment 0
		.amdhsa_system_sgpr_workgroup_id_x 1
		.amdhsa_system_sgpr_workgroup_id_y 0
		.amdhsa_system_sgpr_workgroup_id_z 0
		.amdhsa_system_sgpr_workgroup_info 0
		.amdhsa_system_vgpr_workitem_id 0
		.amdhsa_next_free_vgpr 1
		.amdhsa_next_free_sgpr 1
		.amdhsa_reserve_vcc 0
		.amdhsa_float_round_mode_32 0
		.amdhsa_float_round_mode_16_64 0
		.amdhsa_float_denorm_mode_32 3
		.amdhsa_float_denorm_mode_16_64 3
		.amdhsa_dx10_clamp 1
		.amdhsa_ieee_mode 1
		.amdhsa_fp16_overflow 0
		.amdhsa_workgroup_processor_mode 1
		.amdhsa_memory_ordered 1
		.amdhsa_forward_progress 0
		.amdhsa_shared_vgpr_count 0
		.amdhsa_exception_fp_ieee_invalid_op 0
		.amdhsa_exception_fp_denorm_src 0
		.amdhsa_exception_fp_ieee_div_zero 0
		.amdhsa_exception_fp_ieee_overflow 0
		.amdhsa_exception_fp_ieee_underflow 0
		.amdhsa_exception_fp_ieee_inexact 0
		.amdhsa_exception_int_div_zero 0
	.end_amdhsa_kernel
	.section	.text._ZN7rocprim17ROCPRIM_400000_NS6detail17trampoline_kernelINS0_14default_configENS1_27upper_bound_config_selectorIfiEEZNS1_14transform_implILb0ES3_S5_N6thrust23THRUST_200600_302600_NS6detail15normal_iteratorINS8_10device_ptrIfEEEENSA_INSB_IiEEEEZNS1_13binary_searchIS3_S5_SD_SD_SF_NS1_21upper_bound_search_opENS9_16wrapped_functionINS0_4lessIvEEbEEEE10hipError_tPvRmT1_T2_T3_mmT4_T5_P12ihipStream_tbEUlRKfE_EESM_SQ_SR_mSS_SV_bEUlT_E_NS1_11comp_targetILNS1_3genE0ELNS1_11target_archE4294967295ELNS1_3gpuE0ELNS1_3repE0EEENS1_30default_config_static_selectorELNS0_4arch9wavefront6targetE0EEEvSP_,"axG",@progbits,_ZN7rocprim17ROCPRIM_400000_NS6detail17trampoline_kernelINS0_14default_configENS1_27upper_bound_config_selectorIfiEEZNS1_14transform_implILb0ES3_S5_N6thrust23THRUST_200600_302600_NS6detail15normal_iteratorINS8_10device_ptrIfEEEENSA_INSB_IiEEEEZNS1_13binary_searchIS3_S5_SD_SD_SF_NS1_21upper_bound_search_opENS9_16wrapped_functionINS0_4lessIvEEbEEEE10hipError_tPvRmT1_T2_T3_mmT4_T5_P12ihipStream_tbEUlRKfE_EESM_SQ_SR_mSS_SV_bEUlT_E_NS1_11comp_targetILNS1_3genE0ELNS1_11target_archE4294967295ELNS1_3gpuE0ELNS1_3repE0EEENS1_30default_config_static_selectorELNS0_4arch9wavefront6targetE0EEEvSP_,comdat
.Lfunc_end339:
	.size	_ZN7rocprim17ROCPRIM_400000_NS6detail17trampoline_kernelINS0_14default_configENS1_27upper_bound_config_selectorIfiEEZNS1_14transform_implILb0ES3_S5_N6thrust23THRUST_200600_302600_NS6detail15normal_iteratorINS8_10device_ptrIfEEEENSA_INSB_IiEEEEZNS1_13binary_searchIS3_S5_SD_SD_SF_NS1_21upper_bound_search_opENS9_16wrapped_functionINS0_4lessIvEEbEEEE10hipError_tPvRmT1_T2_T3_mmT4_T5_P12ihipStream_tbEUlRKfE_EESM_SQ_SR_mSS_SV_bEUlT_E_NS1_11comp_targetILNS1_3genE0ELNS1_11target_archE4294967295ELNS1_3gpuE0ELNS1_3repE0EEENS1_30default_config_static_selectorELNS0_4arch9wavefront6targetE0EEEvSP_, .Lfunc_end339-_ZN7rocprim17ROCPRIM_400000_NS6detail17trampoline_kernelINS0_14default_configENS1_27upper_bound_config_selectorIfiEEZNS1_14transform_implILb0ES3_S5_N6thrust23THRUST_200600_302600_NS6detail15normal_iteratorINS8_10device_ptrIfEEEENSA_INSB_IiEEEEZNS1_13binary_searchIS3_S5_SD_SD_SF_NS1_21upper_bound_search_opENS9_16wrapped_functionINS0_4lessIvEEbEEEE10hipError_tPvRmT1_T2_T3_mmT4_T5_P12ihipStream_tbEUlRKfE_EESM_SQ_SR_mSS_SV_bEUlT_E_NS1_11comp_targetILNS1_3genE0ELNS1_11target_archE4294967295ELNS1_3gpuE0ELNS1_3repE0EEENS1_30default_config_static_selectorELNS0_4arch9wavefront6targetE0EEEvSP_
                                        ; -- End function
	.section	.AMDGPU.csdata,"",@progbits
; Kernel info:
; codeLenInByte = 0
; NumSgprs: 0
; NumVgprs: 0
; ScratchSize: 0
; MemoryBound: 0
; FloatMode: 240
; IeeeMode: 1
; LDSByteSize: 0 bytes/workgroup (compile time only)
; SGPRBlocks: 0
; VGPRBlocks: 0
; NumSGPRsForWavesPerEU: 1
; NumVGPRsForWavesPerEU: 1
; Occupancy: 16
; WaveLimiterHint : 0
; COMPUTE_PGM_RSRC2:SCRATCH_EN: 0
; COMPUTE_PGM_RSRC2:USER_SGPR: 15
; COMPUTE_PGM_RSRC2:TRAP_HANDLER: 0
; COMPUTE_PGM_RSRC2:TGID_X_EN: 1
; COMPUTE_PGM_RSRC2:TGID_Y_EN: 0
; COMPUTE_PGM_RSRC2:TGID_Z_EN: 0
; COMPUTE_PGM_RSRC2:TIDIG_COMP_CNT: 0
	.section	.text._ZN7rocprim17ROCPRIM_400000_NS6detail17trampoline_kernelINS0_14default_configENS1_27upper_bound_config_selectorIfiEEZNS1_14transform_implILb0ES3_S5_N6thrust23THRUST_200600_302600_NS6detail15normal_iteratorINS8_10device_ptrIfEEEENSA_INSB_IiEEEEZNS1_13binary_searchIS3_S5_SD_SD_SF_NS1_21upper_bound_search_opENS9_16wrapped_functionINS0_4lessIvEEbEEEE10hipError_tPvRmT1_T2_T3_mmT4_T5_P12ihipStream_tbEUlRKfE_EESM_SQ_SR_mSS_SV_bEUlT_E_NS1_11comp_targetILNS1_3genE5ELNS1_11target_archE942ELNS1_3gpuE9ELNS1_3repE0EEENS1_30default_config_static_selectorELNS0_4arch9wavefront6targetE0EEEvSP_,"axG",@progbits,_ZN7rocprim17ROCPRIM_400000_NS6detail17trampoline_kernelINS0_14default_configENS1_27upper_bound_config_selectorIfiEEZNS1_14transform_implILb0ES3_S5_N6thrust23THRUST_200600_302600_NS6detail15normal_iteratorINS8_10device_ptrIfEEEENSA_INSB_IiEEEEZNS1_13binary_searchIS3_S5_SD_SD_SF_NS1_21upper_bound_search_opENS9_16wrapped_functionINS0_4lessIvEEbEEEE10hipError_tPvRmT1_T2_T3_mmT4_T5_P12ihipStream_tbEUlRKfE_EESM_SQ_SR_mSS_SV_bEUlT_E_NS1_11comp_targetILNS1_3genE5ELNS1_11target_archE942ELNS1_3gpuE9ELNS1_3repE0EEENS1_30default_config_static_selectorELNS0_4arch9wavefront6targetE0EEEvSP_,comdat
	.protected	_ZN7rocprim17ROCPRIM_400000_NS6detail17trampoline_kernelINS0_14default_configENS1_27upper_bound_config_selectorIfiEEZNS1_14transform_implILb0ES3_S5_N6thrust23THRUST_200600_302600_NS6detail15normal_iteratorINS8_10device_ptrIfEEEENSA_INSB_IiEEEEZNS1_13binary_searchIS3_S5_SD_SD_SF_NS1_21upper_bound_search_opENS9_16wrapped_functionINS0_4lessIvEEbEEEE10hipError_tPvRmT1_T2_T3_mmT4_T5_P12ihipStream_tbEUlRKfE_EESM_SQ_SR_mSS_SV_bEUlT_E_NS1_11comp_targetILNS1_3genE5ELNS1_11target_archE942ELNS1_3gpuE9ELNS1_3repE0EEENS1_30default_config_static_selectorELNS0_4arch9wavefront6targetE0EEEvSP_ ; -- Begin function _ZN7rocprim17ROCPRIM_400000_NS6detail17trampoline_kernelINS0_14default_configENS1_27upper_bound_config_selectorIfiEEZNS1_14transform_implILb0ES3_S5_N6thrust23THRUST_200600_302600_NS6detail15normal_iteratorINS8_10device_ptrIfEEEENSA_INSB_IiEEEEZNS1_13binary_searchIS3_S5_SD_SD_SF_NS1_21upper_bound_search_opENS9_16wrapped_functionINS0_4lessIvEEbEEEE10hipError_tPvRmT1_T2_T3_mmT4_T5_P12ihipStream_tbEUlRKfE_EESM_SQ_SR_mSS_SV_bEUlT_E_NS1_11comp_targetILNS1_3genE5ELNS1_11target_archE942ELNS1_3gpuE9ELNS1_3repE0EEENS1_30default_config_static_selectorELNS0_4arch9wavefront6targetE0EEEvSP_
	.globl	_ZN7rocprim17ROCPRIM_400000_NS6detail17trampoline_kernelINS0_14default_configENS1_27upper_bound_config_selectorIfiEEZNS1_14transform_implILb0ES3_S5_N6thrust23THRUST_200600_302600_NS6detail15normal_iteratorINS8_10device_ptrIfEEEENSA_INSB_IiEEEEZNS1_13binary_searchIS3_S5_SD_SD_SF_NS1_21upper_bound_search_opENS9_16wrapped_functionINS0_4lessIvEEbEEEE10hipError_tPvRmT1_T2_T3_mmT4_T5_P12ihipStream_tbEUlRKfE_EESM_SQ_SR_mSS_SV_bEUlT_E_NS1_11comp_targetILNS1_3genE5ELNS1_11target_archE942ELNS1_3gpuE9ELNS1_3repE0EEENS1_30default_config_static_selectorELNS0_4arch9wavefront6targetE0EEEvSP_
	.p2align	8
	.type	_ZN7rocprim17ROCPRIM_400000_NS6detail17trampoline_kernelINS0_14default_configENS1_27upper_bound_config_selectorIfiEEZNS1_14transform_implILb0ES3_S5_N6thrust23THRUST_200600_302600_NS6detail15normal_iteratorINS8_10device_ptrIfEEEENSA_INSB_IiEEEEZNS1_13binary_searchIS3_S5_SD_SD_SF_NS1_21upper_bound_search_opENS9_16wrapped_functionINS0_4lessIvEEbEEEE10hipError_tPvRmT1_T2_T3_mmT4_T5_P12ihipStream_tbEUlRKfE_EESM_SQ_SR_mSS_SV_bEUlT_E_NS1_11comp_targetILNS1_3genE5ELNS1_11target_archE942ELNS1_3gpuE9ELNS1_3repE0EEENS1_30default_config_static_selectorELNS0_4arch9wavefront6targetE0EEEvSP_,@function
_ZN7rocprim17ROCPRIM_400000_NS6detail17trampoline_kernelINS0_14default_configENS1_27upper_bound_config_selectorIfiEEZNS1_14transform_implILb0ES3_S5_N6thrust23THRUST_200600_302600_NS6detail15normal_iteratorINS8_10device_ptrIfEEEENSA_INSB_IiEEEEZNS1_13binary_searchIS3_S5_SD_SD_SF_NS1_21upper_bound_search_opENS9_16wrapped_functionINS0_4lessIvEEbEEEE10hipError_tPvRmT1_T2_T3_mmT4_T5_P12ihipStream_tbEUlRKfE_EESM_SQ_SR_mSS_SV_bEUlT_E_NS1_11comp_targetILNS1_3genE5ELNS1_11target_archE942ELNS1_3gpuE9ELNS1_3repE0EEENS1_30default_config_static_selectorELNS0_4arch9wavefront6targetE0EEEvSP_: ; @_ZN7rocprim17ROCPRIM_400000_NS6detail17trampoline_kernelINS0_14default_configENS1_27upper_bound_config_selectorIfiEEZNS1_14transform_implILb0ES3_S5_N6thrust23THRUST_200600_302600_NS6detail15normal_iteratorINS8_10device_ptrIfEEEENSA_INSB_IiEEEEZNS1_13binary_searchIS3_S5_SD_SD_SF_NS1_21upper_bound_search_opENS9_16wrapped_functionINS0_4lessIvEEbEEEE10hipError_tPvRmT1_T2_T3_mmT4_T5_P12ihipStream_tbEUlRKfE_EESM_SQ_SR_mSS_SV_bEUlT_E_NS1_11comp_targetILNS1_3genE5ELNS1_11target_archE942ELNS1_3gpuE9ELNS1_3repE0EEENS1_30default_config_static_selectorELNS0_4arch9wavefront6targetE0EEEvSP_
; %bb.0:
	.section	.rodata,"a",@progbits
	.p2align	6, 0x0
	.amdhsa_kernel _ZN7rocprim17ROCPRIM_400000_NS6detail17trampoline_kernelINS0_14default_configENS1_27upper_bound_config_selectorIfiEEZNS1_14transform_implILb0ES3_S5_N6thrust23THRUST_200600_302600_NS6detail15normal_iteratorINS8_10device_ptrIfEEEENSA_INSB_IiEEEEZNS1_13binary_searchIS3_S5_SD_SD_SF_NS1_21upper_bound_search_opENS9_16wrapped_functionINS0_4lessIvEEbEEEE10hipError_tPvRmT1_T2_T3_mmT4_T5_P12ihipStream_tbEUlRKfE_EESM_SQ_SR_mSS_SV_bEUlT_E_NS1_11comp_targetILNS1_3genE5ELNS1_11target_archE942ELNS1_3gpuE9ELNS1_3repE0EEENS1_30default_config_static_selectorELNS0_4arch9wavefront6targetE0EEEvSP_
		.amdhsa_group_segment_fixed_size 0
		.amdhsa_private_segment_fixed_size 0
		.amdhsa_kernarg_size 56
		.amdhsa_user_sgpr_count 15
		.amdhsa_user_sgpr_dispatch_ptr 0
		.amdhsa_user_sgpr_queue_ptr 0
		.amdhsa_user_sgpr_kernarg_segment_ptr 1
		.amdhsa_user_sgpr_dispatch_id 0
		.amdhsa_user_sgpr_private_segment_size 0
		.amdhsa_wavefront_size32 1
		.amdhsa_uses_dynamic_stack 0
		.amdhsa_enable_private_segment 0
		.amdhsa_system_sgpr_workgroup_id_x 1
		.amdhsa_system_sgpr_workgroup_id_y 0
		.amdhsa_system_sgpr_workgroup_id_z 0
		.amdhsa_system_sgpr_workgroup_info 0
		.amdhsa_system_vgpr_workitem_id 0
		.amdhsa_next_free_vgpr 1
		.amdhsa_next_free_sgpr 1
		.amdhsa_reserve_vcc 0
		.amdhsa_float_round_mode_32 0
		.amdhsa_float_round_mode_16_64 0
		.amdhsa_float_denorm_mode_32 3
		.amdhsa_float_denorm_mode_16_64 3
		.amdhsa_dx10_clamp 1
		.amdhsa_ieee_mode 1
		.amdhsa_fp16_overflow 0
		.amdhsa_workgroup_processor_mode 1
		.amdhsa_memory_ordered 1
		.amdhsa_forward_progress 0
		.amdhsa_shared_vgpr_count 0
		.amdhsa_exception_fp_ieee_invalid_op 0
		.amdhsa_exception_fp_denorm_src 0
		.amdhsa_exception_fp_ieee_div_zero 0
		.amdhsa_exception_fp_ieee_overflow 0
		.amdhsa_exception_fp_ieee_underflow 0
		.amdhsa_exception_fp_ieee_inexact 0
		.amdhsa_exception_int_div_zero 0
	.end_amdhsa_kernel
	.section	.text._ZN7rocprim17ROCPRIM_400000_NS6detail17trampoline_kernelINS0_14default_configENS1_27upper_bound_config_selectorIfiEEZNS1_14transform_implILb0ES3_S5_N6thrust23THRUST_200600_302600_NS6detail15normal_iteratorINS8_10device_ptrIfEEEENSA_INSB_IiEEEEZNS1_13binary_searchIS3_S5_SD_SD_SF_NS1_21upper_bound_search_opENS9_16wrapped_functionINS0_4lessIvEEbEEEE10hipError_tPvRmT1_T2_T3_mmT4_T5_P12ihipStream_tbEUlRKfE_EESM_SQ_SR_mSS_SV_bEUlT_E_NS1_11comp_targetILNS1_3genE5ELNS1_11target_archE942ELNS1_3gpuE9ELNS1_3repE0EEENS1_30default_config_static_selectorELNS0_4arch9wavefront6targetE0EEEvSP_,"axG",@progbits,_ZN7rocprim17ROCPRIM_400000_NS6detail17trampoline_kernelINS0_14default_configENS1_27upper_bound_config_selectorIfiEEZNS1_14transform_implILb0ES3_S5_N6thrust23THRUST_200600_302600_NS6detail15normal_iteratorINS8_10device_ptrIfEEEENSA_INSB_IiEEEEZNS1_13binary_searchIS3_S5_SD_SD_SF_NS1_21upper_bound_search_opENS9_16wrapped_functionINS0_4lessIvEEbEEEE10hipError_tPvRmT1_T2_T3_mmT4_T5_P12ihipStream_tbEUlRKfE_EESM_SQ_SR_mSS_SV_bEUlT_E_NS1_11comp_targetILNS1_3genE5ELNS1_11target_archE942ELNS1_3gpuE9ELNS1_3repE0EEENS1_30default_config_static_selectorELNS0_4arch9wavefront6targetE0EEEvSP_,comdat
.Lfunc_end340:
	.size	_ZN7rocprim17ROCPRIM_400000_NS6detail17trampoline_kernelINS0_14default_configENS1_27upper_bound_config_selectorIfiEEZNS1_14transform_implILb0ES3_S5_N6thrust23THRUST_200600_302600_NS6detail15normal_iteratorINS8_10device_ptrIfEEEENSA_INSB_IiEEEEZNS1_13binary_searchIS3_S5_SD_SD_SF_NS1_21upper_bound_search_opENS9_16wrapped_functionINS0_4lessIvEEbEEEE10hipError_tPvRmT1_T2_T3_mmT4_T5_P12ihipStream_tbEUlRKfE_EESM_SQ_SR_mSS_SV_bEUlT_E_NS1_11comp_targetILNS1_3genE5ELNS1_11target_archE942ELNS1_3gpuE9ELNS1_3repE0EEENS1_30default_config_static_selectorELNS0_4arch9wavefront6targetE0EEEvSP_, .Lfunc_end340-_ZN7rocprim17ROCPRIM_400000_NS6detail17trampoline_kernelINS0_14default_configENS1_27upper_bound_config_selectorIfiEEZNS1_14transform_implILb0ES3_S5_N6thrust23THRUST_200600_302600_NS6detail15normal_iteratorINS8_10device_ptrIfEEEENSA_INSB_IiEEEEZNS1_13binary_searchIS3_S5_SD_SD_SF_NS1_21upper_bound_search_opENS9_16wrapped_functionINS0_4lessIvEEbEEEE10hipError_tPvRmT1_T2_T3_mmT4_T5_P12ihipStream_tbEUlRKfE_EESM_SQ_SR_mSS_SV_bEUlT_E_NS1_11comp_targetILNS1_3genE5ELNS1_11target_archE942ELNS1_3gpuE9ELNS1_3repE0EEENS1_30default_config_static_selectorELNS0_4arch9wavefront6targetE0EEEvSP_
                                        ; -- End function
	.section	.AMDGPU.csdata,"",@progbits
; Kernel info:
; codeLenInByte = 0
; NumSgprs: 0
; NumVgprs: 0
; ScratchSize: 0
; MemoryBound: 0
; FloatMode: 240
; IeeeMode: 1
; LDSByteSize: 0 bytes/workgroup (compile time only)
; SGPRBlocks: 0
; VGPRBlocks: 0
; NumSGPRsForWavesPerEU: 1
; NumVGPRsForWavesPerEU: 1
; Occupancy: 16
; WaveLimiterHint : 0
; COMPUTE_PGM_RSRC2:SCRATCH_EN: 0
; COMPUTE_PGM_RSRC2:USER_SGPR: 15
; COMPUTE_PGM_RSRC2:TRAP_HANDLER: 0
; COMPUTE_PGM_RSRC2:TGID_X_EN: 1
; COMPUTE_PGM_RSRC2:TGID_Y_EN: 0
; COMPUTE_PGM_RSRC2:TGID_Z_EN: 0
; COMPUTE_PGM_RSRC2:TIDIG_COMP_CNT: 0
	.section	.text._ZN7rocprim17ROCPRIM_400000_NS6detail17trampoline_kernelINS0_14default_configENS1_27upper_bound_config_selectorIfiEEZNS1_14transform_implILb0ES3_S5_N6thrust23THRUST_200600_302600_NS6detail15normal_iteratorINS8_10device_ptrIfEEEENSA_INSB_IiEEEEZNS1_13binary_searchIS3_S5_SD_SD_SF_NS1_21upper_bound_search_opENS9_16wrapped_functionINS0_4lessIvEEbEEEE10hipError_tPvRmT1_T2_T3_mmT4_T5_P12ihipStream_tbEUlRKfE_EESM_SQ_SR_mSS_SV_bEUlT_E_NS1_11comp_targetILNS1_3genE4ELNS1_11target_archE910ELNS1_3gpuE8ELNS1_3repE0EEENS1_30default_config_static_selectorELNS0_4arch9wavefront6targetE0EEEvSP_,"axG",@progbits,_ZN7rocprim17ROCPRIM_400000_NS6detail17trampoline_kernelINS0_14default_configENS1_27upper_bound_config_selectorIfiEEZNS1_14transform_implILb0ES3_S5_N6thrust23THRUST_200600_302600_NS6detail15normal_iteratorINS8_10device_ptrIfEEEENSA_INSB_IiEEEEZNS1_13binary_searchIS3_S5_SD_SD_SF_NS1_21upper_bound_search_opENS9_16wrapped_functionINS0_4lessIvEEbEEEE10hipError_tPvRmT1_T2_T3_mmT4_T5_P12ihipStream_tbEUlRKfE_EESM_SQ_SR_mSS_SV_bEUlT_E_NS1_11comp_targetILNS1_3genE4ELNS1_11target_archE910ELNS1_3gpuE8ELNS1_3repE0EEENS1_30default_config_static_selectorELNS0_4arch9wavefront6targetE0EEEvSP_,comdat
	.protected	_ZN7rocprim17ROCPRIM_400000_NS6detail17trampoline_kernelINS0_14default_configENS1_27upper_bound_config_selectorIfiEEZNS1_14transform_implILb0ES3_S5_N6thrust23THRUST_200600_302600_NS6detail15normal_iteratorINS8_10device_ptrIfEEEENSA_INSB_IiEEEEZNS1_13binary_searchIS3_S5_SD_SD_SF_NS1_21upper_bound_search_opENS9_16wrapped_functionINS0_4lessIvEEbEEEE10hipError_tPvRmT1_T2_T3_mmT4_T5_P12ihipStream_tbEUlRKfE_EESM_SQ_SR_mSS_SV_bEUlT_E_NS1_11comp_targetILNS1_3genE4ELNS1_11target_archE910ELNS1_3gpuE8ELNS1_3repE0EEENS1_30default_config_static_selectorELNS0_4arch9wavefront6targetE0EEEvSP_ ; -- Begin function _ZN7rocprim17ROCPRIM_400000_NS6detail17trampoline_kernelINS0_14default_configENS1_27upper_bound_config_selectorIfiEEZNS1_14transform_implILb0ES3_S5_N6thrust23THRUST_200600_302600_NS6detail15normal_iteratorINS8_10device_ptrIfEEEENSA_INSB_IiEEEEZNS1_13binary_searchIS3_S5_SD_SD_SF_NS1_21upper_bound_search_opENS9_16wrapped_functionINS0_4lessIvEEbEEEE10hipError_tPvRmT1_T2_T3_mmT4_T5_P12ihipStream_tbEUlRKfE_EESM_SQ_SR_mSS_SV_bEUlT_E_NS1_11comp_targetILNS1_3genE4ELNS1_11target_archE910ELNS1_3gpuE8ELNS1_3repE0EEENS1_30default_config_static_selectorELNS0_4arch9wavefront6targetE0EEEvSP_
	.globl	_ZN7rocprim17ROCPRIM_400000_NS6detail17trampoline_kernelINS0_14default_configENS1_27upper_bound_config_selectorIfiEEZNS1_14transform_implILb0ES3_S5_N6thrust23THRUST_200600_302600_NS6detail15normal_iteratorINS8_10device_ptrIfEEEENSA_INSB_IiEEEEZNS1_13binary_searchIS3_S5_SD_SD_SF_NS1_21upper_bound_search_opENS9_16wrapped_functionINS0_4lessIvEEbEEEE10hipError_tPvRmT1_T2_T3_mmT4_T5_P12ihipStream_tbEUlRKfE_EESM_SQ_SR_mSS_SV_bEUlT_E_NS1_11comp_targetILNS1_3genE4ELNS1_11target_archE910ELNS1_3gpuE8ELNS1_3repE0EEENS1_30default_config_static_selectorELNS0_4arch9wavefront6targetE0EEEvSP_
	.p2align	8
	.type	_ZN7rocprim17ROCPRIM_400000_NS6detail17trampoline_kernelINS0_14default_configENS1_27upper_bound_config_selectorIfiEEZNS1_14transform_implILb0ES3_S5_N6thrust23THRUST_200600_302600_NS6detail15normal_iteratorINS8_10device_ptrIfEEEENSA_INSB_IiEEEEZNS1_13binary_searchIS3_S5_SD_SD_SF_NS1_21upper_bound_search_opENS9_16wrapped_functionINS0_4lessIvEEbEEEE10hipError_tPvRmT1_T2_T3_mmT4_T5_P12ihipStream_tbEUlRKfE_EESM_SQ_SR_mSS_SV_bEUlT_E_NS1_11comp_targetILNS1_3genE4ELNS1_11target_archE910ELNS1_3gpuE8ELNS1_3repE0EEENS1_30default_config_static_selectorELNS0_4arch9wavefront6targetE0EEEvSP_,@function
_ZN7rocprim17ROCPRIM_400000_NS6detail17trampoline_kernelINS0_14default_configENS1_27upper_bound_config_selectorIfiEEZNS1_14transform_implILb0ES3_S5_N6thrust23THRUST_200600_302600_NS6detail15normal_iteratorINS8_10device_ptrIfEEEENSA_INSB_IiEEEEZNS1_13binary_searchIS3_S5_SD_SD_SF_NS1_21upper_bound_search_opENS9_16wrapped_functionINS0_4lessIvEEbEEEE10hipError_tPvRmT1_T2_T3_mmT4_T5_P12ihipStream_tbEUlRKfE_EESM_SQ_SR_mSS_SV_bEUlT_E_NS1_11comp_targetILNS1_3genE4ELNS1_11target_archE910ELNS1_3gpuE8ELNS1_3repE0EEENS1_30default_config_static_selectorELNS0_4arch9wavefront6targetE0EEEvSP_: ; @_ZN7rocprim17ROCPRIM_400000_NS6detail17trampoline_kernelINS0_14default_configENS1_27upper_bound_config_selectorIfiEEZNS1_14transform_implILb0ES3_S5_N6thrust23THRUST_200600_302600_NS6detail15normal_iteratorINS8_10device_ptrIfEEEENSA_INSB_IiEEEEZNS1_13binary_searchIS3_S5_SD_SD_SF_NS1_21upper_bound_search_opENS9_16wrapped_functionINS0_4lessIvEEbEEEE10hipError_tPvRmT1_T2_T3_mmT4_T5_P12ihipStream_tbEUlRKfE_EESM_SQ_SR_mSS_SV_bEUlT_E_NS1_11comp_targetILNS1_3genE4ELNS1_11target_archE910ELNS1_3gpuE8ELNS1_3repE0EEENS1_30default_config_static_selectorELNS0_4arch9wavefront6targetE0EEEvSP_
; %bb.0:
	.section	.rodata,"a",@progbits
	.p2align	6, 0x0
	.amdhsa_kernel _ZN7rocprim17ROCPRIM_400000_NS6detail17trampoline_kernelINS0_14default_configENS1_27upper_bound_config_selectorIfiEEZNS1_14transform_implILb0ES3_S5_N6thrust23THRUST_200600_302600_NS6detail15normal_iteratorINS8_10device_ptrIfEEEENSA_INSB_IiEEEEZNS1_13binary_searchIS3_S5_SD_SD_SF_NS1_21upper_bound_search_opENS9_16wrapped_functionINS0_4lessIvEEbEEEE10hipError_tPvRmT1_T2_T3_mmT4_T5_P12ihipStream_tbEUlRKfE_EESM_SQ_SR_mSS_SV_bEUlT_E_NS1_11comp_targetILNS1_3genE4ELNS1_11target_archE910ELNS1_3gpuE8ELNS1_3repE0EEENS1_30default_config_static_selectorELNS0_4arch9wavefront6targetE0EEEvSP_
		.amdhsa_group_segment_fixed_size 0
		.amdhsa_private_segment_fixed_size 0
		.amdhsa_kernarg_size 56
		.amdhsa_user_sgpr_count 15
		.amdhsa_user_sgpr_dispatch_ptr 0
		.amdhsa_user_sgpr_queue_ptr 0
		.amdhsa_user_sgpr_kernarg_segment_ptr 1
		.amdhsa_user_sgpr_dispatch_id 0
		.amdhsa_user_sgpr_private_segment_size 0
		.amdhsa_wavefront_size32 1
		.amdhsa_uses_dynamic_stack 0
		.amdhsa_enable_private_segment 0
		.amdhsa_system_sgpr_workgroup_id_x 1
		.amdhsa_system_sgpr_workgroup_id_y 0
		.amdhsa_system_sgpr_workgroup_id_z 0
		.amdhsa_system_sgpr_workgroup_info 0
		.amdhsa_system_vgpr_workitem_id 0
		.amdhsa_next_free_vgpr 1
		.amdhsa_next_free_sgpr 1
		.amdhsa_reserve_vcc 0
		.amdhsa_float_round_mode_32 0
		.amdhsa_float_round_mode_16_64 0
		.amdhsa_float_denorm_mode_32 3
		.amdhsa_float_denorm_mode_16_64 3
		.amdhsa_dx10_clamp 1
		.amdhsa_ieee_mode 1
		.amdhsa_fp16_overflow 0
		.amdhsa_workgroup_processor_mode 1
		.amdhsa_memory_ordered 1
		.amdhsa_forward_progress 0
		.amdhsa_shared_vgpr_count 0
		.amdhsa_exception_fp_ieee_invalid_op 0
		.amdhsa_exception_fp_denorm_src 0
		.amdhsa_exception_fp_ieee_div_zero 0
		.amdhsa_exception_fp_ieee_overflow 0
		.amdhsa_exception_fp_ieee_underflow 0
		.amdhsa_exception_fp_ieee_inexact 0
		.amdhsa_exception_int_div_zero 0
	.end_amdhsa_kernel
	.section	.text._ZN7rocprim17ROCPRIM_400000_NS6detail17trampoline_kernelINS0_14default_configENS1_27upper_bound_config_selectorIfiEEZNS1_14transform_implILb0ES3_S5_N6thrust23THRUST_200600_302600_NS6detail15normal_iteratorINS8_10device_ptrIfEEEENSA_INSB_IiEEEEZNS1_13binary_searchIS3_S5_SD_SD_SF_NS1_21upper_bound_search_opENS9_16wrapped_functionINS0_4lessIvEEbEEEE10hipError_tPvRmT1_T2_T3_mmT4_T5_P12ihipStream_tbEUlRKfE_EESM_SQ_SR_mSS_SV_bEUlT_E_NS1_11comp_targetILNS1_3genE4ELNS1_11target_archE910ELNS1_3gpuE8ELNS1_3repE0EEENS1_30default_config_static_selectorELNS0_4arch9wavefront6targetE0EEEvSP_,"axG",@progbits,_ZN7rocprim17ROCPRIM_400000_NS6detail17trampoline_kernelINS0_14default_configENS1_27upper_bound_config_selectorIfiEEZNS1_14transform_implILb0ES3_S5_N6thrust23THRUST_200600_302600_NS6detail15normal_iteratorINS8_10device_ptrIfEEEENSA_INSB_IiEEEEZNS1_13binary_searchIS3_S5_SD_SD_SF_NS1_21upper_bound_search_opENS9_16wrapped_functionINS0_4lessIvEEbEEEE10hipError_tPvRmT1_T2_T3_mmT4_T5_P12ihipStream_tbEUlRKfE_EESM_SQ_SR_mSS_SV_bEUlT_E_NS1_11comp_targetILNS1_3genE4ELNS1_11target_archE910ELNS1_3gpuE8ELNS1_3repE0EEENS1_30default_config_static_selectorELNS0_4arch9wavefront6targetE0EEEvSP_,comdat
.Lfunc_end341:
	.size	_ZN7rocprim17ROCPRIM_400000_NS6detail17trampoline_kernelINS0_14default_configENS1_27upper_bound_config_selectorIfiEEZNS1_14transform_implILb0ES3_S5_N6thrust23THRUST_200600_302600_NS6detail15normal_iteratorINS8_10device_ptrIfEEEENSA_INSB_IiEEEEZNS1_13binary_searchIS3_S5_SD_SD_SF_NS1_21upper_bound_search_opENS9_16wrapped_functionINS0_4lessIvEEbEEEE10hipError_tPvRmT1_T2_T3_mmT4_T5_P12ihipStream_tbEUlRKfE_EESM_SQ_SR_mSS_SV_bEUlT_E_NS1_11comp_targetILNS1_3genE4ELNS1_11target_archE910ELNS1_3gpuE8ELNS1_3repE0EEENS1_30default_config_static_selectorELNS0_4arch9wavefront6targetE0EEEvSP_, .Lfunc_end341-_ZN7rocprim17ROCPRIM_400000_NS6detail17trampoline_kernelINS0_14default_configENS1_27upper_bound_config_selectorIfiEEZNS1_14transform_implILb0ES3_S5_N6thrust23THRUST_200600_302600_NS6detail15normal_iteratorINS8_10device_ptrIfEEEENSA_INSB_IiEEEEZNS1_13binary_searchIS3_S5_SD_SD_SF_NS1_21upper_bound_search_opENS9_16wrapped_functionINS0_4lessIvEEbEEEE10hipError_tPvRmT1_T2_T3_mmT4_T5_P12ihipStream_tbEUlRKfE_EESM_SQ_SR_mSS_SV_bEUlT_E_NS1_11comp_targetILNS1_3genE4ELNS1_11target_archE910ELNS1_3gpuE8ELNS1_3repE0EEENS1_30default_config_static_selectorELNS0_4arch9wavefront6targetE0EEEvSP_
                                        ; -- End function
	.section	.AMDGPU.csdata,"",@progbits
; Kernel info:
; codeLenInByte = 0
; NumSgprs: 0
; NumVgprs: 0
; ScratchSize: 0
; MemoryBound: 0
; FloatMode: 240
; IeeeMode: 1
; LDSByteSize: 0 bytes/workgroup (compile time only)
; SGPRBlocks: 0
; VGPRBlocks: 0
; NumSGPRsForWavesPerEU: 1
; NumVGPRsForWavesPerEU: 1
; Occupancy: 16
; WaveLimiterHint : 0
; COMPUTE_PGM_RSRC2:SCRATCH_EN: 0
; COMPUTE_PGM_RSRC2:USER_SGPR: 15
; COMPUTE_PGM_RSRC2:TRAP_HANDLER: 0
; COMPUTE_PGM_RSRC2:TGID_X_EN: 1
; COMPUTE_PGM_RSRC2:TGID_Y_EN: 0
; COMPUTE_PGM_RSRC2:TGID_Z_EN: 0
; COMPUTE_PGM_RSRC2:TIDIG_COMP_CNT: 0
	.section	.text._ZN7rocprim17ROCPRIM_400000_NS6detail17trampoline_kernelINS0_14default_configENS1_27upper_bound_config_selectorIfiEEZNS1_14transform_implILb0ES3_S5_N6thrust23THRUST_200600_302600_NS6detail15normal_iteratorINS8_10device_ptrIfEEEENSA_INSB_IiEEEEZNS1_13binary_searchIS3_S5_SD_SD_SF_NS1_21upper_bound_search_opENS9_16wrapped_functionINS0_4lessIvEEbEEEE10hipError_tPvRmT1_T2_T3_mmT4_T5_P12ihipStream_tbEUlRKfE_EESM_SQ_SR_mSS_SV_bEUlT_E_NS1_11comp_targetILNS1_3genE3ELNS1_11target_archE908ELNS1_3gpuE7ELNS1_3repE0EEENS1_30default_config_static_selectorELNS0_4arch9wavefront6targetE0EEEvSP_,"axG",@progbits,_ZN7rocprim17ROCPRIM_400000_NS6detail17trampoline_kernelINS0_14default_configENS1_27upper_bound_config_selectorIfiEEZNS1_14transform_implILb0ES3_S5_N6thrust23THRUST_200600_302600_NS6detail15normal_iteratorINS8_10device_ptrIfEEEENSA_INSB_IiEEEEZNS1_13binary_searchIS3_S5_SD_SD_SF_NS1_21upper_bound_search_opENS9_16wrapped_functionINS0_4lessIvEEbEEEE10hipError_tPvRmT1_T2_T3_mmT4_T5_P12ihipStream_tbEUlRKfE_EESM_SQ_SR_mSS_SV_bEUlT_E_NS1_11comp_targetILNS1_3genE3ELNS1_11target_archE908ELNS1_3gpuE7ELNS1_3repE0EEENS1_30default_config_static_selectorELNS0_4arch9wavefront6targetE0EEEvSP_,comdat
	.protected	_ZN7rocprim17ROCPRIM_400000_NS6detail17trampoline_kernelINS0_14default_configENS1_27upper_bound_config_selectorIfiEEZNS1_14transform_implILb0ES3_S5_N6thrust23THRUST_200600_302600_NS6detail15normal_iteratorINS8_10device_ptrIfEEEENSA_INSB_IiEEEEZNS1_13binary_searchIS3_S5_SD_SD_SF_NS1_21upper_bound_search_opENS9_16wrapped_functionINS0_4lessIvEEbEEEE10hipError_tPvRmT1_T2_T3_mmT4_T5_P12ihipStream_tbEUlRKfE_EESM_SQ_SR_mSS_SV_bEUlT_E_NS1_11comp_targetILNS1_3genE3ELNS1_11target_archE908ELNS1_3gpuE7ELNS1_3repE0EEENS1_30default_config_static_selectorELNS0_4arch9wavefront6targetE0EEEvSP_ ; -- Begin function _ZN7rocprim17ROCPRIM_400000_NS6detail17trampoline_kernelINS0_14default_configENS1_27upper_bound_config_selectorIfiEEZNS1_14transform_implILb0ES3_S5_N6thrust23THRUST_200600_302600_NS6detail15normal_iteratorINS8_10device_ptrIfEEEENSA_INSB_IiEEEEZNS1_13binary_searchIS3_S5_SD_SD_SF_NS1_21upper_bound_search_opENS9_16wrapped_functionINS0_4lessIvEEbEEEE10hipError_tPvRmT1_T2_T3_mmT4_T5_P12ihipStream_tbEUlRKfE_EESM_SQ_SR_mSS_SV_bEUlT_E_NS1_11comp_targetILNS1_3genE3ELNS1_11target_archE908ELNS1_3gpuE7ELNS1_3repE0EEENS1_30default_config_static_selectorELNS0_4arch9wavefront6targetE0EEEvSP_
	.globl	_ZN7rocprim17ROCPRIM_400000_NS6detail17trampoline_kernelINS0_14default_configENS1_27upper_bound_config_selectorIfiEEZNS1_14transform_implILb0ES3_S5_N6thrust23THRUST_200600_302600_NS6detail15normal_iteratorINS8_10device_ptrIfEEEENSA_INSB_IiEEEEZNS1_13binary_searchIS3_S5_SD_SD_SF_NS1_21upper_bound_search_opENS9_16wrapped_functionINS0_4lessIvEEbEEEE10hipError_tPvRmT1_T2_T3_mmT4_T5_P12ihipStream_tbEUlRKfE_EESM_SQ_SR_mSS_SV_bEUlT_E_NS1_11comp_targetILNS1_3genE3ELNS1_11target_archE908ELNS1_3gpuE7ELNS1_3repE0EEENS1_30default_config_static_selectorELNS0_4arch9wavefront6targetE0EEEvSP_
	.p2align	8
	.type	_ZN7rocprim17ROCPRIM_400000_NS6detail17trampoline_kernelINS0_14default_configENS1_27upper_bound_config_selectorIfiEEZNS1_14transform_implILb0ES3_S5_N6thrust23THRUST_200600_302600_NS6detail15normal_iteratorINS8_10device_ptrIfEEEENSA_INSB_IiEEEEZNS1_13binary_searchIS3_S5_SD_SD_SF_NS1_21upper_bound_search_opENS9_16wrapped_functionINS0_4lessIvEEbEEEE10hipError_tPvRmT1_T2_T3_mmT4_T5_P12ihipStream_tbEUlRKfE_EESM_SQ_SR_mSS_SV_bEUlT_E_NS1_11comp_targetILNS1_3genE3ELNS1_11target_archE908ELNS1_3gpuE7ELNS1_3repE0EEENS1_30default_config_static_selectorELNS0_4arch9wavefront6targetE0EEEvSP_,@function
_ZN7rocprim17ROCPRIM_400000_NS6detail17trampoline_kernelINS0_14default_configENS1_27upper_bound_config_selectorIfiEEZNS1_14transform_implILb0ES3_S5_N6thrust23THRUST_200600_302600_NS6detail15normal_iteratorINS8_10device_ptrIfEEEENSA_INSB_IiEEEEZNS1_13binary_searchIS3_S5_SD_SD_SF_NS1_21upper_bound_search_opENS9_16wrapped_functionINS0_4lessIvEEbEEEE10hipError_tPvRmT1_T2_T3_mmT4_T5_P12ihipStream_tbEUlRKfE_EESM_SQ_SR_mSS_SV_bEUlT_E_NS1_11comp_targetILNS1_3genE3ELNS1_11target_archE908ELNS1_3gpuE7ELNS1_3repE0EEENS1_30default_config_static_selectorELNS0_4arch9wavefront6targetE0EEEvSP_: ; @_ZN7rocprim17ROCPRIM_400000_NS6detail17trampoline_kernelINS0_14default_configENS1_27upper_bound_config_selectorIfiEEZNS1_14transform_implILb0ES3_S5_N6thrust23THRUST_200600_302600_NS6detail15normal_iteratorINS8_10device_ptrIfEEEENSA_INSB_IiEEEEZNS1_13binary_searchIS3_S5_SD_SD_SF_NS1_21upper_bound_search_opENS9_16wrapped_functionINS0_4lessIvEEbEEEE10hipError_tPvRmT1_T2_T3_mmT4_T5_P12ihipStream_tbEUlRKfE_EESM_SQ_SR_mSS_SV_bEUlT_E_NS1_11comp_targetILNS1_3genE3ELNS1_11target_archE908ELNS1_3gpuE7ELNS1_3repE0EEENS1_30default_config_static_selectorELNS0_4arch9wavefront6targetE0EEEvSP_
; %bb.0:
	.section	.rodata,"a",@progbits
	.p2align	6, 0x0
	.amdhsa_kernel _ZN7rocprim17ROCPRIM_400000_NS6detail17trampoline_kernelINS0_14default_configENS1_27upper_bound_config_selectorIfiEEZNS1_14transform_implILb0ES3_S5_N6thrust23THRUST_200600_302600_NS6detail15normal_iteratorINS8_10device_ptrIfEEEENSA_INSB_IiEEEEZNS1_13binary_searchIS3_S5_SD_SD_SF_NS1_21upper_bound_search_opENS9_16wrapped_functionINS0_4lessIvEEbEEEE10hipError_tPvRmT1_T2_T3_mmT4_T5_P12ihipStream_tbEUlRKfE_EESM_SQ_SR_mSS_SV_bEUlT_E_NS1_11comp_targetILNS1_3genE3ELNS1_11target_archE908ELNS1_3gpuE7ELNS1_3repE0EEENS1_30default_config_static_selectorELNS0_4arch9wavefront6targetE0EEEvSP_
		.amdhsa_group_segment_fixed_size 0
		.amdhsa_private_segment_fixed_size 0
		.amdhsa_kernarg_size 56
		.amdhsa_user_sgpr_count 15
		.amdhsa_user_sgpr_dispatch_ptr 0
		.amdhsa_user_sgpr_queue_ptr 0
		.amdhsa_user_sgpr_kernarg_segment_ptr 1
		.amdhsa_user_sgpr_dispatch_id 0
		.amdhsa_user_sgpr_private_segment_size 0
		.amdhsa_wavefront_size32 1
		.amdhsa_uses_dynamic_stack 0
		.amdhsa_enable_private_segment 0
		.amdhsa_system_sgpr_workgroup_id_x 1
		.amdhsa_system_sgpr_workgroup_id_y 0
		.amdhsa_system_sgpr_workgroup_id_z 0
		.amdhsa_system_sgpr_workgroup_info 0
		.amdhsa_system_vgpr_workitem_id 0
		.amdhsa_next_free_vgpr 1
		.amdhsa_next_free_sgpr 1
		.amdhsa_reserve_vcc 0
		.amdhsa_float_round_mode_32 0
		.amdhsa_float_round_mode_16_64 0
		.amdhsa_float_denorm_mode_32 3
		.amdhsa_float_denorm_mode_16_64 3
		.amdhsa_dx10_clamp 1
		.amdhsa_ieee_mode 1
		.amdhsa_fp16_overflow 0
		.amdhsa_workgroup_processor_mode 1
		.amdhsa_memory_ordered 1
		.amdhsa_forward_progress 0
		.amdhsa_shared_vgpr_count 0
		.amdhsa_exception_fp_ieee_invalid_op 0
		.amdhsa_exception_fp_denorm_src 0
		.amdhsa_exception_fp_ieee_div_zero 0
		.amdhsa_exception_fp_ieee_overflow 0
		.amdhsa_exception_fp_ieee_underflow 0
		.amdhsa_exception_fp_ieee_inexact 0
		.amdhsa_exception_int_div_zero 0
	.end_amdhsa_kernel
	.section	.text._ZN7rocprim17ROCPRIM_400000_NS6detail17trampoline_kernelINS0_14default_configENS1_27upper_bound_config_selectorIfiEEZNS1_14transform_implILb0ES3_S5_N6thrust23THRUST_200600_302600_NS6detail15normal_iteratorINS8_10device_ptrIfEEEENSA_INSB_IiEEEEZNS1_13binary_searchIS3_S5_SD_SD_SF_NS1_21upper_bound_search_opENS9_16wrapped_functionINS0_4lessIvEEbEEEE10hipError_tPvRmT1_T2_T3_mmT4_T5_P12ihipStream_tbEUlRKfE_EESM_SQ_SR_mSS_SV_bEUlT_E_NS1_11comp_targetILNS1_3genE3ELNS1_11target_archE908ELNS1_3gpuE7ELNS1_3repE0EEENS1_30default_config_static_selectorELNS0_4arch9wavefront6targetE0EEEvSP_,"axG",@progbits,_ZN7rocprim17ROCPRIM_400000_NS6detail17trampoline_kernelINS0_14default_configENS1_27upper_bound_config_selectorIfiEEZNS1_14transform_implILb0ES3_S5_N6thrust23THRUST_200600_302600_NS6detail15normal_iteratorINS8_10device_ptrIfEEEENSA_INSB_IiEEEEZNS1_13binary_searchIS3_S5_SD_SD_SF_NS1_21upper_bound_search_opENS9_16wrapped_functionINS0_4lessIvEEbEEEE10hipError_tPvRmT1_T2_T3_mmT4_T5_P12ihipStream_tbEUlRKfE_EESM_SQ_SR_mSS_SV_bEUlT_E_NS1_11comp_targetILNS1_3genE3ELNS1_11target_archE908ELNS1_3gpuE7ELNS1_3repE0EEENS1_30default_config_static_selectorELNS0_4arch9wavefront6targetE0EEEvSP_,comdat
.Lfunc_end342:
	.size	_ZN7rocprim17ROCPRIM_400000_NS6detail17trampoline_kernelINS0_14default_configENS1_27upper_bound_config_selectorIfiEEZNS1_14transform_implILb0ES3_S5_N6thrust23THRUST_200600_302600_NS6detail15normal_iteratorINS8_10device_ptrIfEEEENSA_INSB_IiEEEEZNS1_13binary_searchIS3_S5_SD_SD_SF_NS1_21upper_bound_search_opENS9_16wrapped_functionINS0_4lessIvEEbEEEE10hipError_tPvRmT1_T2_T3_mmT4_T5_P12ihipStream_tbEUlRKfE_EESM_SQ_SR_mSS_SV_bEUlT_E_NS1_11comp_targetILNS1_3genE3ELNS1_11target_archE908ELNS1_3gpuE7ELNS1_3repE0EEENS1_30default_config_static_selectorELNS0_4arch9wavefront6targetE0EEEvSP_, .Lfunc_end342-_ZN7rocprim17ROCPRIM_400000_NS6detail17trampoline_kernelINS0_14default_configENS1_27upper_bound_config_selectorIfiEEZNS1_14transform_implILb0ES3_S5_N6thrust23THRUST_200600_302600_NS6detail15normal_iteratorINS8_10device_ptrIfEEEENSA_INSB_IiEEEEZNS1_13binary_searchIS3_S5_SD_SD_SF_NS1_21upper_bound_search_opENS9_16wrapped_functionINS0_4lessIvEEbEEEE10hipError_tPvRmT1_T2_T3_mmT4_T5_P12ihipStream_tbEUlRKfE_EESM_SQ_SR_mSS_SV_bEUlT_E_NS1_11comp_targetILNS1_3genE3ELNS1_11target_archE908ELNS1_3gpuE7ELNS1_3repE0EEENS1_30default_config_static_selectorELNS0_4arch9wavefront6targetE0EEEvSP_
                                        ; -- End function
	.section	.AMDGPU.csdata,"",@progbits
; Kernel info:
; codeLenInByte = 0
; NumSgprs: 0
; NumVgprs: 0
; ScratchSize: 0
; MemoryBound: 0
; FloatMode: 240
; IeeeMode: 1
; LDSByteSize: 0 bytes/workgroup (compile time only)
; SGPRBlocks: 0
; VGPRBlocks: 0
; NumSGPRsForWavesPerEU: 1
; NumVGPRsForWavesPerEU: 1
; Occupancy: 16
; WaveLimiterHint : 0
; COMPUTE_PGM_RSRC2:SCRATCH_EN: 0
; COMPUTE_PGM_RSRC2:USER_SGPR: 15
; COMPUTE_PGM_RSRC2:TRAP_HANDLER: 0
; COMPUTE_PGM_RSRC2:TGID_X_EN: 1
; COMPUTE_PGM_RSRC2:TGID_Y_EN: 0
; COMPUTE_PGM_RSRC2:TGID_Z_EN: 0
; COMPUTE_PGM_RSRC2:TIDIG_COMP_CNT: 0
	.section	.text._ZN7rocprim17ROCPRIM_400000_NS6detail17trampoline_kernelINS0_14default_configENS1_27upper_bound_config_selectorIfiEEZNS1_14transform_implILb0ES3_S5_N6thrust23THRUST_200600_302600_NS6detail15normal_iteratorINS8_10device_ptrIfEEEENSA_INSB_IiEEEEZNS1_13binary_searchIS3_S5_SD_SD_SF_NS1_21upper_bound_search_opENS9_16wrapped_functionINS0_4lessIvEEbEEEE10hipError_tPvRmT1_T2_T3_mmT4_T5_P12ihipStream_tbEUlRKfE_EESM_SQ_SR_mSS_SV_bEUlT_E_NS1_11comp_targetILNS1_3genE2ELNS1_11target_archE906ELNS1_3gpuE6ELNS1_3repE0EEENS1_30default_config_static_selectorELNS0_4arch9wavefront6targetE0EEEvSP_,"axG",@progbits,_ZN7rocprim17ROCPRIM_400000_NS6detail17trampoline_kernelINS0_14default_configENS1_27upper_bound_config_selectorIfiEEZNS1_14transform_implILb0ES3_S5_N6thrust23THRUST_200600_302600_NS6detail15normal_iteratorINS8_10device_ptrIfEEEENSA_INSB_IiEEEEZNS1_13binary_searchIS3_S5_SD_SD_SF_NS1_21upper_bound_search_opENS9_16wrapped_functionINS0_4lessIvEEbEEEE10hipError_tPvRmT1_T2_T3_mmT4_T5_P12ihipStream_tbEUlRKfE_EESM_SQ_SR_mSS_SV_bEUlT_E_NS1_11comp_targetILNS1_3genE2ELNS1_11target_archE906ELNS1_3gpuE6ELNS1_3repE0EEENS1_30default_config_static_selectorELNS0_4arch9wavefront6targetE0EEEvSP_,comdat
	.protected	_ZN7rocprim17ROCPRIM_400000_NS6detail17trampoline_kernelINS0_14default_configENS1_27upper_bound_config_selectorIfiEEZNS1_14transform_implILb0ES3_S5_N6thrust23THRUST_200600_302600_NS6detail15normal_iteratorINS8_10device_ptrIfEEEENSA_INSB_IiEEEEZNS1_13binary_searchIS3_S5_SD_SD_SF_NS1_21upper_bound_search_opENS9_16wrapped_functionINS0_4lessIvEEbEEEE10hipError_tPvRmT1_T2_T3_mmT4_T5_P12ihipStream_tbEUlRKfE_EESM_SQ_SR_mSS_SV_bEUlT_E_NS1_11comp_targetILNS1_3genE2ELNS1_11target_archE906ELNS1_3gpuE6ELNS1_3repE0EEENS1_30default_config_static_selectorELNS0_4arch9wavefront6targetE0EEEvSP_ ; -- Begin function _ZN7rocprim17ROCPRIM_400000_NS6detail17trampoline_kernelINS0_14default_configENS1_27upper_bound_config_selectorIfiEEZNS1_14transform_implILb0ES3_S5_N6thrust23THRUST_200600_302600_NS6detail15normal_iteratorINS8_10device_ptrIfEEEENSA_INSB_IiEEEEZNS1_13binary_searchIS3_S5_SD_SD_SF_NS1_21upper_bound_search_opENS9_16wrapped_functionINS0_4lessIvEEbEEEE10hipError_tPvRmT1_T2_T3_mmT4_T5_P12ihipStream_tbEUlRKfE_EESM_SQ_SR_mSS_SV_bEUlT_E_NS1_11comp_targetILNS1_3genE2ELNS1_11target_archE906ELNS1_3gpuE6ELNS1_3repE0EEENS1_30default_config_static_selectorELNS0_4arch9wavefront6targetE0EEEvSP_
	.globl	_ZN7rocprim17ROCPRIM_400000_NS6detail17trampoline_kernelINS0_14default_configENS1_27upper_bound_config_selectorIfiEEZNS1_14transform_implILb0ES3_S5_N6thrust23THRUST_200600_302600_NS6detail15normal_iteratorINS8_10device_ptrIfEEEENSA_INSB_IiEEEEZNS1_13binary_searchIS3_S5_SD_SD_SF_NS1_21upper_bound_search_opENS9_16wrapped_functionINS0_4lessIvEEbEEEE10hipError_tPvRmT1_T2_T3_mmT4_T5_P12ihipStream_tbEUlRKfE_EESM_SQ_SR_mSS_SV_bEUlT_E_NS1_11comp_targetILNS1_3genE2ELNS1_11target_archE906ELNS1_3gpuE6ELNS1_3repE0EEENS1_30default_config_static_selectorELNS0_4arch9wavefront6targetE0EEEvSP_
	.p2align	8
	.type	_ZN7rocprim17ROCPRIM_400000_NS6detail17trampoline_kernelINS0_14default_configENS1_27upper_bound_config_selectorIfiEEZNS1_14transform_implILb0ES3_S5_N6thrust23THRUST_200600_302600_NS6detail15normal_iteratorINS8_10device_ptrIfEEEENSA_INSB_IiEEEEZNS1_13binary_searchIS3_S5_SD_SD_SF_NS1_21upper_bound_search_opENS9_16wrapped_functionINS0_4lessIvEEbEEEE10hipError_tPvRmT1_T2_T3_mmT4_T5_P12ihipStream_tbEUlRKfE_EESM_SQ_SR_mSS_SV_bEUlT_E_NS1_11comp_targetILNS1_3genE2ELNS1_11target_archE906ELNS1_3gpuE6ELNS1_3repE0EEENS1_30default_config_static_selectorELNS0_4arch9wavefront6targetE0EEEvSP_,@function
_ZN7rocprim17ROCPRIM_400000_NS6detail17trampoline_kernelINS0_14default_configENS1_27upper_bound_config_selectorIfiEEZNS1_14transform_implILb0ES3_S5_N6thrust23THRUST_200600_302600_NS6detail15normal_iteratorINS8_10device_ptrIfEEEENSA_INSB_IiEEEEZNS1_13binary_searchIS3_S5_SD_SD_SF_NS1_21upper_bound_search_opENS9_16wrapped_functionINS0_4lessIvEEbEEEE10hipError_tPvRmT1_T2_T3_mmT4_T5_P12ihipStream_tbEUlRKfE_EESM_SQ_SR_mSS_SV_bEUlT_E_NS1_11comp_targetILNS1_3genE2ELNS1_11target_archE906ELNS1_3gpuE6ELNS1_3repE0EEENS1_30default_config_static_selectorELNS0_4arch9wavefront6targetE0EEEvSP_: ; @_ZN7rocprim17ROCPRIM_400000_NS6detail17trampoline_kernelINS0_14default_configENS1_27upper_bound_config_selectorIfiEEZNS1_14transform_implILb0ES3_S5_N6thrust23THRUST_200600_302600_NS6detail15normal_iteratorINS8_10device_ptrIfEEEENSA_INSB_IiEEEEZNS1_13binary_searchIS3_S5_SD_SD_SF_NS1_21upper_bound_search_opENS9_16wrapped_functionINS0_4lessIvEEbEEEE10hipError_tPvRmT1_T2_T3_mmT4_T5_P12ihipStream_tbEUlRKfE_EESM_SQ_SR_mSS_SV_bEUlT_E_NS1_11comp_targetILNS1_3genE2ELNS1_11target_archE906ELNS1_3gpuE6ELNS1_3repE0EEENS1_30default_config_static_selectorELNS0_4arch9wavefront6targetE0EEEvSP_
; %bb.0:
	.section	.rodata,"a",@progbits
	.p2align	6, 0x0
	.amdhsa_kernel _ZN7rocprim17ROCPRIM_400000_NS6detail17trampoline_kernelINS0_14default_configENS1_27upper_bound_config_selectorIfiEEZNS1_14transform_implILb0ES3_S5_N6thrust23THRUST_200600_302600_NS6detail15normal_iteratorINS8_10device_ptrIfEEEENSA_INSB_IiEEEEZNS1_13binary_searchIS3_S5_SD_SD_SF_NS1_21upper_bound_search_opENS9_16wrapped_functionINS0_4lessIvEEbEEEE10hipError_tPvRmT1_T2_T3_mmT4_T5_P12ihipStream_tbEUlRKfE_EESM_SQ_SR_mSS_SV_bEUlT_E_NS1_11comp_targetILNS1_3genE2ELNS1_11target_archE906ELNS1_3gpuE6ELNS1_3repE0EEENS1_30default_config_static_selectorELNS0_4arch9wavefront6targetE0EEEvSP_
		.amdhsa_group_segment_fixed_size 0
		.amdhsa_private_segment_fixed_size 0
		.amdhsa_kernarg_size 56
		.amdhsa_user_sgpr_count 15
		.amdhsa_user_sgpr_dispatch_ptr 0
		.amdhsa_user_sgpr_queue_ptr 0
		.amdhsa_user_sgpr_kernarg_segment_ptr 1
		.amdhsa_user_sgpr_dispatch_id 0
		.amdhsa_user_sgpr_private_segment_size 0
		.amdhsa_wavefront_size32 1
		.amdhsa_uses_dynamic_stack 0
		.amdhsa_enable_private_segment 0
		.amdhsa_system_sgpr_workgroup_id_x 1
		.amdhsa_system_sgpr_workgroup_id_y 0
		.amdhsa_system_sgpr_workgroup_id_z 0
		.amdhsa_system_sgpr_workgroup_info 0
		.amdhsa_system_vgpr_workitem_id 0
		.amdhsa_next_free_vgpr 1
		.amdhsa_next_free_sgpr 1
		.amdhsa_reserve_vcc 0
		.amdhsa_float_round_mode_32 0
		.amdhsa_float_round_mode_16_64 0
		.amdhsa_float_denorm_mode_32 3
		.amdhsa_float_denorm_mode_16_64 3
		.amdhsa_dx10_clamp 1
		.amdhsa_ieee_mode 1
		.amdhsa_fp16_overflow 0
		.amdhsa_workgroup_processor_mode 1
		.amdhsa_memory_ordered 1
		.amdhsa_forward_progress 0
		.amdhsa_shared_vgpr_count 0
		.amdhsa_exception_fp_ieee_invalid_op 0
		.amdhsa_exception_fp_denorm_src 0
		.amdhsa_exception_fp_ieee_div_zero 0
		.amdhsa_exception_fp_ieee_overflow 0
		.amdhsa_exception_fp_ieee_underflow 0
		.amdhsa_exception_fp_ieee_inexact 0
		.amdhsa_exception_int_div_zero 0
	.end_amdhsa_kernel
	.section	.text._ZN7rocprim17ROCPRIM_400000_NS6detail17trampoline_kernelINS0_14default_configENS1_27upper_bound_config_selectorIfiEEZNS1_14transform_implILb0ES3_S5_N6thrust23THRUST_200600_302600_NS6detail15normal_iteratorINS8_10device_ptrIfEEEENSA_INSB_IiEEEEZNS1_13binary_searchIS3_S5_SD_SD_SF_NS1_21upper_bound_search_opENS9_16wrapped_functionINS0_4lessIvEEbEEEE10hipError_tPvRmT1_T2_T3_mmT4_T5_P12ihipStream_tbEUlRKfE_EESM_SQ_SR_mSS_SV_bEUlT_E_NS1_11comp_targetILNS1_3genE2ELNS1_11target_archE906ELNS1_3gpuE6ELNS1_3repE0EEENS1_30default_config_static_selectorELNS0_4arch9wavefront6targetE0EEEvSP_,"axG",@progbits,_ZN7rocprim17ROCPRIM_400000_NS6detail17trampoline_kernelINS0_14default_configENS1_27upper_bound_config_selectorIfiEEZNS1_14transform_implILb0ES3_S5_N6thrust23THRUST_200600_302600_NS6detail15normal_iteratorINS8_10device_ptrIfEEEENSA_INSB_IiEEEEZNS1_13binary_searchIS3_S5_SD_SD_SF_NS1_21upper_bound_search_opENS9_16wrapped_functionINS0_4lessIvEEbEEEE10hipError_tPvRmT1_T2_T3_mmT4_T5_P12ihipStream_tbEUlRKfE_EESM_SQ_SR_mSS_SV_bEUlT_E_NS1_11comp_targetILNS1_3genE2ELNS1_11target_archE906ELNS1_3gpuE6ELNS1_3repE0EEENS1_30default_config_static_selectorELNS0_4arch9wavefront6targetE0EEEvSP_,comdat
.Lfunc_end343:
	.size	_ZN7rocprim17ROCPRIM_400000_NS6detail17trampoline_kernelINS0_14default_configENS1_27upper_bound_config_selectorIfiEEZNS1_14transform_implILb0ES3_S5_N6thrust23THRUST_200600_302600_NS6detail15normal_iteratorINS8_10device_ptrIfEEEENSA_INSB_IiEEEEZNS1_13binary_searchIS3_S5_SD_SD_SF_NS1_21upper_bound_search_opENS9_16wrapped_functionINS0_4lessIvEEbEEEE10hipError_tPvRmT1_T2_T3_mmT4_T5_P12ihipStream_tbEUlRKfE_EESM_SQ_SR_mSS_SV_bEUlT_E_NS1_11comp_targetILNS1_3genE2ELNS1_11target_archE906ELNS1_3gpuE6ELNS1_3repE0EEENS1_30default_config_static_selectorELNS0_4arch9wavefront6targetE0EEEvSP_, .Lfunc_end343-_ZN7rocprim17ROCPRIM_400000_NS6detail17trampoline_kernelINS0_14default_configENS1_27upper_bound_config_selectorIfiEEZNS1_14transform_implILb0ES3_S5_N6thrust23THRUST_200600_302600_NS6detail15normal_iteratorINS8_10device_ptrIfEEEENSA_INSB_IiEEEEZNS1_13binary_searchIS3_S5_SD_SD_SF_NS1_21upper_bound_search_opENS9_16wrapped_functionINS0_4lessIvEEbEEEE10hipError_tPvRmT1_T2_T3_mmT4_T5_P12ihipStream_tbEUlRKfE_EESM_SQ_SR_mSS_SV_bEUlT_E_NS1_11comp_targetILNS1_3genE2ELNS1_11target_archE906ELNS1_3gpuE6ELNS1_3repE0EEENS1_30default_config_static_selectorELNS0_4arch9wavefront6targetE0EEEvSP_
                                        ; -- End function
	.section	.AMDGPU.csdata,"",@progbits
; Kernel info:
; codeLenInByte = 0
; NumSgprs: 0
; NumVgprs: 0
; ScratchSize: 0
; MemoryBound: 0
; FloatMode: 240
; IeeeMode: 1
; LDSByteSize: 0 bytes/workgroup (compile time only)
; SGPRBlocks: 0
; VGPRBlocks: 0
; NumSGPRsForWavesPerEU: 1
; NumVGPRsForWavesPerEU: 1
; Occupancy: 16
; WaveLimiterHint : 0
; COMPUTE_PGM_RSRC2:SCRATCH_EN: 0
; COMPUTE_PGM_RSRC2:USER_SGPR: 15
; COMPUTE_PGM_RSRC2:TRAP_HANDLER: 0
; COMPUTE_PGM_RSRC2:TGID_X_EN: 1
; COMPUTE_PGM_RSRC2:TGID_Y_EN: 0
; COMPUTE_PGM_RSRC2:TGID_Z_EN: 0
; COMPUTE_PGM_RSRC2:TIDIG_COMP_CNT: 0
	.section	.text._ZN7rocprim17ROCPRIM_400000_NS6detail17trampoline_kernelINS0_14default_configENS1_27upper_bound_config_selectorIfiEEZNS1_14transform_implILb0ES3_S5_N6thrust23THRUST_200600_302600_NS6detail15normal_iteratorINS8_10device_ptrIfEEEENSA_INSB_IiEEEEZNS1_13binary_searchIS3_S5_SD_SD_SF_NS1_21upper_bound_search_opENS9_16wrapped_functionINS0_4lessIvEEbEEEE10hipError_tPvRmT1_T2_T3_mmT4_T5_P12ihipStream_tbEUlRKfE_EESM_SQ_SR_mSS_SV_bEUlT_E_NS1_11comp_targetILNS1_3genE10ELNS1_11target_archE1201ELNS1_3gpuE5ELNS1_3repE0EEENS1_30default_config_static_selectorELNS0_4arch9wavefront6targetE0EEEvSP_,"axG",@progbits,_ZN7rocprim17ROCPRIM_400000_NS6detail17trampoline_kernelINS0_14default_configENS1_27upper_bound_config_selectorIfiEEZNS1_14transform_implILb0ES3_S5_N6thrust23THRUST_200600_302600_NS6detail15normal_iteratorINS8_10device_ptrIfEEEENSA_INSB_IiEEEEZNS1_13binary_searchIS3_S5_SD_SD_SF_NS1_21upper_bound_search_opENS9_16wrapped_functionINS0_4lessIvEEbEEEE10hipError_tPvRmT1_T2_T3_mmT4_T5_P12ihipStream_tbEUlRKfE_EESM_SQ_SR_mSS_SV_bEUlT_E_NS1_11comp_targetILNS1_3genE10ELNS1_11target_archE1201ELNS1_3gpuE5ELNS1_3repE0EEENS1_30default_config_static_selectorELNS0_4arch9wavefront6targetE0EEEvSP_,comdat
	.protected	_ZN7rocprim17ROCPRIM_400000_NS6detail17trampoline_kernelINS0_14default_configENS1_27upper_bound_config_selectorIfiEEZNS1_14transform_implILb0ES3_S5_N6thrust23THRUST_200600_302600_NS6detail15normal_iteratorINS8_10device_ptrIfEEEENSA_INSB_IiEEEEZNS1_13binary_searchIS3_S5_SD_SD_SF_NS1_21upper_bound_search_opENS9_16wrapped_functionINS0_4lessIvEEbEEEE10hipError_tPvRmT1_T2_T3_mmT4_T5_P12ihipStream_tbEUlRKfE_EESM_SQ_SR_mSS_SV_bEUlT_E_NS1_11comp_targetILNS1_3genE10ELNS1_11target_archE1201ELNS1_3gpuE5ELNS1_3repE0EEENS1_30default_config_static_selectorELNS0_4arch9wavefront6targetE0EEEvSP_ ; -- Begin function _ZN7rocprim17ROCPRIM_400000_NS6detail17trampoline_kernelINS0_14default_configENS1_27upper_bound_config_selectorIfiEEZNS1_14transform_implILb0ES3_S5_N6thrust23THRUST_200600_302600_NS6detail15normal_iteratorINS8_10device_ptrIfEEEENSA_INSB_IiEEEEZNS1_13binary_searchIS3_S5_SD_SD_SF_NS1_21upper_bound_search_opENS9_16wrapped_functionINS0_4lessIvEEbEEEE10hipError_tPvRmT1_T2_T3_mmT4_T5_P12ihipStream_tbEUlRKfE_EESM_SQ_SR_mSS_SV_bEUlT_E_NS1_11comp_targetILNS1_3genE10ELNS1_11target_archE1201ELNS1_3gpuE5ELNS1_3repE0EEENS1_30default_config_static_selectorELNS0_4arch9wavefront6targetE0EEEvSP_
	.globl	_ZN7rocprim17ROCPRIM_400000_NS6detail17trampoline_kernelINS0_14default_configENS1_27upper_bound_config_selectorIfiEEZNS1_14transform_implILb0ES3_S5_N6thrust23THRUST_200600_302600_NS6detail15normal_iteratorINS8_10device_ptrIfEEEENSA_INSB_IiEEEEZNS1_13binary_searchIS3_S5_SD_SD_SF_NS1_21upper_bound_search_opENS9_16wrapped_functionINS0_4lessIvEEbEEEE10hipError_tPvRmT1_T2_T3_mmT4_T5_P12ihipStream_tbEUlRKfE_EESM_SQ_SR_mSS_SV_bEUlT_E_NS1_11comp_targetILNS1_3genE10ELNS1_11target_archE1201ELNS1_3gpuE5ELNS1_3repE0EEENS1_30default_config_static_selectorELNS0_4arch9wavefront6targetE0EEEvSP_
	.p2align	8
	.type	_ZN7rocprim17ROCPRIM_400000_NS6detail17trampoline_kernelINS0_14default_configENS1_27upper_bound_config_selectorIfiEEZNS1_14transform_implILb0ES3_S5_N6thrust23THRUST_200600_302600_NS6detail15normal_iteratorINS8_10device_ptrIfEEEENSA_INSB_IiEEEEZNS1_13binary_searchIS3_S5_SD_SD_SF_NS1_21upper_bound_search_opENS9_16wrapped_functionINS0_4lessIvEEbEEEE10hipError_tPvRmT1_T2_T3_mmT4_T5_P12ihipStream_tbEUlRKfE_EESM_SQ_SR_mSS_SV_bEUlT_E_NS1_11comp_targetILNS1_3genE10ELNS1_11target_archE1201ELNS1_3gpuE5ELNS1_3repE0EEENS1_30default_config_static_selectorELNS0_4arch9wavefront6targetE0EEEvSP_,@function
_ZN7rocprim17ROCPRIM_400000_NS6detail17trampoline_kernelINS0_14default_configENS1_27upper_bound_config_selectorIfiEEZNS1_14transform_implILb0ES3_S5_N6thrust23THRUST_200600_302600_NS6detail15normal_iteratorINS8_10device_ptrIfEEEENSA_INSB_IiEEEEZNS1_13binary_searchIS3_S5_SD_SD_SF_NS1_21upper_bound_search_opENS9_16wrapped_functionINS0_4lessIvEEbEEEE10hipError_tPvRmT1_T2_T3_mmT4_T5_P12ihipStream_tbEUlRKfE_EESM_SQ_SR_mSS_SV_bEUlT_E_NS1_11comp_targetILNS1_3genE10ELNS1_11target_archE1201ELNS1_3gpuE5ELNS1_3repE0EEENS1_30default_config_static_selectorELNS0_4arch9wavefront6targetE0EEEvSP_: ; @_ZN7rocprim17ROCPRIM_400000_NS6detail17trampoline_kernelINS0_14default_configENS1_27upper_bound_config_selectorIfiEEZNS1_14transform_implILb0ES3_S5_N6thrust23THRUST_200600_302600_NS6detail15normal_iteratorINS8_10device_ptrIfEEEENSA_INSB_IiEEEEZNS1_13binary_searchIS3_S5_SD_SD_SF_NS1_21upper_bound_search_opENS9_16wrapped_functionINS0_4lessIvEEbEEEE10hipError_tPvRmT1_T2_T3_mmT4_T5_P12ihipStream_tbEUlRKfE_EESM_SQ_SR_mSS_SV_bEUlT_E_NS1_11comp_targetILNS1_3genE10ELNS1_11target_archE1201ELNS1_3gpuE5ELNS1_3repE0EEENS1_30default_config_static_selectorELNS0_4arch9wavefront6targetE0EEEvSP_
; %bb.0:
	.section	.rodata,"a",@progbits
	.p2align	6, 0x0
	.amdhsa_kernel _ZN7rocprim17ROCPRIM_400000_NS6detail17trampoline_kernelINS0_14default_configENS1_27upper_bound_config_selectorIfiEEZNS1_14transform_implILb0ES3_S5_N6thrust23THRUST_200600_302600_NS6detail15normal_iteratorINS8_10device_ptrIfEEEENSA_INSB_IiEEEEZNS1_13binary_searchIS3_S5_SD_SD_SF_NS1_21upper_bound_search_opENS9_16wrapped_functionINS0_4lessIvEEbEEEE10hipError_tPvRmT1_T2_T3_mmT4_T5_P12ihipStream_tbEUlRKfE_EESM_SQ_SR_mSS_SV_bEUlT_E_NS1_11comp_targetILNS1_3genE10ELNS1_11target_archE1201ELNS1_3gpuE5ELNS1_3repE0EEENS1_30default_config_static_selectorELNS0_4arch9wavefront6targetE0EEEvSP_
		.amdhsa_group_segment_fixed_size 0
		.amdhsa_private_segment_fixed_size 0
		.amdhsa_kernarg_size 56
		.amdhsa_user_sgpr_count 15
		.amdhsa_user_sgpr_dispatch_ptr 0
		.amdhsa_user_sgpr_queue_ptr 0
		.amdhsa_user_sgpr_kernarg_segment_ptr 1
		.amdhsa_user_sgpr_dispatch_id 0
		.amdhsa_user_sgpr_private_segment_size 0
		.amdhsa_wavefront_size32 1
		.amdhsa_uses_dynamic_stack 0
		.amdhsa_enable_private_segment 0
		.amdhsa_system_sgpr_workgroup_id_x 1
		.amdhsa_system_sgpr_workgroup_id_y 0
		.amdhsa_system_sgpr_workgroup_id_z 0
		.amdhsa_system_sgpr_workgroup_info 0
		.amdhsa_system_vgpr_workitem_id 0
		.amdhsa_next_free_vgpr 1
		.amdhsa_next_free_sgpr 1
		.amdhsa_reserve_vcc 0
		.amdhsa_float_round_mode_32 0
		.amdhsa_float_round_mode_16_64 0
		.amdhsa_float_denorm_mode_32 3
		.amdhsa_float_denorm_mode_16_64 3
		.amdhsa_dx10_clamp 1
		.amdhsa_ieee_mode 1
		.amdhsa_fp16_overflow 0
		.amdhsa_workgroup_processor_mode 1
		.amdhsa_memory_ordered 1
		.amdhsa_forward_progress 0
		.amdhsa_shared_vgpr_count 0
		.amdhsa_exception_fp_ieee_invalid_op 0
		.amdhsa_exception_fp_denorm_src 0
		.amdhsa_exception_fp_ieee_div_zero 0
		.amdhsa_exception_fp_ieee_overflow 0
		.amdhsa_exception_fp_ieee_underflow 0
		.amdhsa_exception_fp_ieee_inexact 0
		.amdhsa_exception_int_div_zero 0
	.end_amdhsa_kernel
	.section	.text._ZN7rocprim17ROCPRIM_400000_NS6detail17trampoline_kernelINS0_14default_configENS1_27upper_bound_config_selectorIfiEEZNS1_14transform_implILb0ES3_S5_N6thrust23THRUST_200600_302600_NS6detail15normal_iteratorINS8_10device_ptrIfEEEENSA_INSB_IiEEEEZNS1_13binary_searchIS3_S5_SD_SD_SF_NS1_21upper_bound_search_opENS9_16wrapped_functionINS0_4lessIvEEbEEEE10hipError_tPvRmT1_T2_T3_mmT4_T5_P12ihipStream_tbEUlRKfE_EESM_SQ_SR_mSS_SV_bEUlT_E_NS1_11comp_targetILNS1_3genE10ELNS1_11target_archE1201ELNS1_3gpuE5ELNS1_3repE0EEENS1_30default_config_static_selectorELNS0_4arch9wavefront6targetE0EEEvSP_,"axG",@progbits,_ZN7rocprim17ROCPRIM_400000_NS6detail17trampoline_kernelINS0_14default_configENS1_27upper_bound_config_selectorIfiEEZNS1_14transform_implILb0ES3_S5_N6thrust23THRUST_200600_302600_NS6detail15normal_iteratorINS8_10device_ptrIfEEEENSA_INSB_IiEEEEZNS1_13binary_searchIS3_S5_SD_SD_SF_NS1_21upper_bound_search_opENS9_16wrapped_functionINS0_4lessIvEEbEEEE10hipError_tPvRmT1_T2_T3_mmT4_T5_P12ihipStream_tbEUlRKfE_EESM_SQ_SR_mSS_SV_bEUlT_E_NS1_11comp_targetILNS1_3genE10ELNS1_11target_archE1201ELNS1_3gpuE5ELNS1_3repE0EEENS1_30default_config_static_selectorELNS0_4arch9wavefront6targetE0EEEvSP_,comdat
.Lfunc_end344:
	.size	_ZN7rocprim17ROCPRIM_400000_NS6detail17trampoline_kernelINS0_14default_configENS1_27upper_bound_config_selectorIfiEEZNS1_14transform_implILb0ES3_S5_N6thrust23THRUST_200600_302600_NS6detail15normal_iteratorINS8_10device_ptrIfEEEENSA_INSB_IiEEEEZNS1_13binary_searchIS3_S5_SD_SD_SF_NS1_21upper_bound_search_opENS9_16wrapped_functionINS0_4lessIvEEbEEEE10hipError_tPvRmT1_T2_T3_mmT4_T5_P12ihipStream_tbEUlRKfE_EESM_SQ_SR_mSS_SV_bEUlT_E_NS1_11comp_targetILNS1_3genE10ELNS1_11target_archE1201ELNS1_3gpuE5ELNS1_3repE0EEENS1_30default_config_static_selectorELNS0_4arch9wavefront6targetE0EEEvSP_, .Lfunc_end344-_ZN7rocprim17ROCPRIM_400000_NS6detail17trampoline_kernelINS0_14default_configENS1_27upper_bound_config_selectorIfiEEZNS1_14transform_implILb0ES3_S5_N6thrust23THRUST_200600_302600_NS6detail15normal_iteratorINS8_10device_ptrIfEEEENSA_INSB_IiEEEEZNS1_13binary_searchIS3_S5_SD_SD_SF_NS1_21upper_bound_search_opENS9_16wrapped_functionINS0_4lessIvEEbEEEE10hipError_tPvRmT1_T2_T3_mmT4_T5_P12ihipStream_tbEUlRKfE_EESM_SQ_SR_mSS_SV_bEUlT_E_NS1_11comp_targetILNS1_3genE10ELNS1_11target_archE1201ELNS1_3gpuE5ELNS1_3repE0EEENS1_30default_config_static_selectorELNS0_4arch9wavefront6targetE0EEEvSP_
                                        ; -- End function
	.section	.AMDGPU.csdata,"",@progbits
; Kernel info:
; codeLenInByte = 0
; NumSgprs: 0
; NumVgprs: 0
; ScratchSize: 0
; MemoryBound: 0
; FloatMode: 240
; IeeeMode: 1
; LDSByteSize: 0 bytes/workgroup (compile time only)
; SGPRBlocks: 0
; VGPRBlocks: 0
; NumSGPRsForWavesPerEU: 1
; NumVGPRsForWavesPerEU: 1
; Occupancy: 16
; WaveLimiterHint : 0
; COMPUTE_PGM_RSRC2:SCRATCH_EN: 0
; COMPUTE_PGM_RSRC2:USER_SGPR: 15
; COMPUTE_PGM_RSRC2:TRAP_HANDLER: 0
; COMPUTE_PGM_RSRC2:TGID_X_EN: 1
; COMPUTE_PGM_RSRC2:TGID_Y_EN: 0
; COMPUTE_PGM_RSRC2:TGID_Z_EN: 0
; COMPUTE_PGM_RSRC2:TIDIG_COMP_CNT: 0
	.section	.text._ZN7rocprim17ROCPRIM_400000_NS6detail17trampoline_kernelINS0_14default_configENS1_27upper_bound_config_selectorIfiEEZNS1_14transform_implILb0ES3_S5_N6thrust23THRUST_200600_302600_NS6detail15normal_iteratorINS8_10device_ptrIfEEEENSA_INSB_IiEEEEZNS1_13binary_searchIS3_S5_SD_SD_SF_NS1_21upper_bound_search_opENS9_16wrapped_functionINS0_4lessIvEEbEEEE10hipError_tPvRmT1_T2_T3_mmT4_T5_P12ihipStream_tbEUlRKfE_EESM_SQ_SR_mSS_SV_bEUlT_E_NS1_11comp_targetILNS1_3genE10ELNS1_11target_archE1200ELNS1_3gpuE4ELNS1_3repE0EEENS1_30default_config_static_selectorELNS0_4arch9wavefront6targetE0EEEvSP_,"axG",@progbits,_ZN7rocprim17ROCPRIM_400000_NS6detail17trampoline_kernelINS0_14default_configENS1_27upper_bound_config_selectorIfiEEZNS1_14transform_implILb0ES3_S5_N6thrust23THRUST_200600_302600_NS6detail15normal_iteratorINS8_10device_ptrIfEEEENSA_INSB_IiEEEEZNS1_13binary_searchIS3_S5_SD_SD_SF_NS1_21upper_bound_search_opENS9_16wrapped_functionINS0_4lessIvEEbEEEE10hipError_tPvRmT1_T2_T3_mmT4_T5_P12ihipStream_tbEUlRKfE_EESM_SQ_SR_mSS_SV_bEUlT_E_NS1_11comp_targetILNS1_3genE10ELNS1_11target_archE1200ELNS1_3gpuE4ELNS1_3repE0EEENS1_30default_config_static_selectorELNS0_4arch9wavefront6targetE0EEEvSP_,comdat
	.protected	_ZN7rocprim17ROCPRIM_400000_NS6detail17trampoline_kernelINS0_14default_configENS1_27upper_bound_config_selectorIfiEEZNS1_14transform_implILb0ES3_S5_N6thrust23THRUST_200600_302600_NS6detail15normal_iteratorINS8_10device_ptrIfEEEENSA_INSB_IiEEEEZNS1_13binary_searchIS3_S5_SD_SD_SF_NS1_21upper_bound_search_opENS9_16wrapped_functionINS0_4lessIvEEbEEEE10hipError_tPvRmT1_T2_T3_mmT4_T5_P12ihipStream_tbEUlRKfE_EESM_SQ_SR_mSS_SV_bEUlT_E_NS1_11comp_targetILNS1_3genE10ELNS1_11target_archE1200ELNS1_3gpuE4ELNS1_3repE0EEENS1_30default_config_static_selectorELNS0_4arch9wavefront6targetE0EEEvSP_ ; -- Begin function _ZN7rocprim17ROCPRIM_400000_NS6detail17trampoline_kernelINS0_14default_configENS1_27upper_bound_config_selectorIfiEEZNS1_14transform_implILb0ES3_S5_N6thrust23THRUST_200600_302600_NS6detail15normal_iteratorINS8_10device_ptrIfEEEENSA_INSB_IiEEEEZNS1_13binary_searchIS3_S5_SD_SD_SF_NS1_21upper_bound_search_opENS9_16wrapped_functionINS0_4lessIvEEbEEEE10hipError_tPvRmT1_T2_T3_mmT4_T5_P12ihipStream_tbEUlRKfE_EESM_SQ_SR_mSS_SV_bEUlT_E_NS1_11comp_targetILNS1_3genE10ELNS1_11target_archE1200ELNS1_3gpuE4ELNS1_3repE0EEENS1_30default_config_static_selectorELNS0_4arch9wavefront6targetE0EEEvSP_
	.globl	_ZN7rocprim17ROCPRIM_400000_NS6detail17trampoline_kernelINS0_14default_configENS1_27upper_bound_config_selectorIfiEEZNS1_14transform_implILb0ES3_S5_N6thrust23THRUST_200600_302600_NS6detail15normal_iteratorINS8_10device_ptrIfEEEENSA_INSB_IiEEEEZNS1_13binary_searchIS3_S5_SD_SD_SF_NS1_21upper_bound_search_opENS9_16wrapped_functionINS0_4lessIvEEbEEEE10hipError_tPvRmT1_T2_T3_mmT4_T5_P12ihipStream_tbEUlRKfE_EESM_SQ_SR_mSS_SV_bEUlT_E_NS1_11comp_targetILNS1_3genE10ELNS1_11target_archE1200ELNS1_3gpuE4ELNS1_3repE0EEENS1_30default_config_static_selectorELNS0_4arch9wavefront6targetE0EEEvSP_
	.p2align	8
	.type	_ZN7rocprim17ROCPRIM_400000_NS6detail17trampoline_kernelINS0_14default_configENS1_27upper_bound_config_selectorIfiEEZNS1_14transform_implILb0ES3_S5_N6thrust23THRUST_200600_302600_NS6detail15normal_iteratorINS8_10device_ptrIfEEEENSA_INSB_IiEEEEZNS1_13binary_searchIS3_S5_SD_SD_SF_NS1_21upper_bound_search_opENS9_16wrapped_functionINS0_4lessIvEEbEEEE10hipError_tPvRmT1_T2_T3_mmT4_T5_P12ihipStream_tbEUlRKfE_EESM_SQ_SR_mSS_SV_bEUlT_E_NS1_11comp_targetILNS1_3genE10ELNS1_11target_archE1200ELNS1_3gpuE4ELNS1_3repE0EEENS1_30default_config_static_selectorELNS0_4arch9wavefront6targetE0EEEvSP_,@function
_ZN7rocprim17ROCPRIM_400000_NS6detail17trampoline_kernelINS0_14default_configENS1_27upper_bound_config_selectorIfiEEZNS1_14transform_implILb0ES3_S5_N6thrust23THRUST_200600_302600_NS6detail15normal_iteratorINS8_10device_ptrIfEEEENSA_INSB_IiEEEEZNS1_13binary_searchIS3_S5_SD_SD_SF_NS1_21upper_bound_search_opENS9_16wrapped_functionINS0_4lessIvEEbEEEE10hipError_tPvRmT1_T2_T3_mmT4_T5_P12ihipStream_tbEUlRKfE_EESM_SQ_SR_mSS_SV_bEUlT_E_NS1_11comp_targetILNS1_3genE10ELNS1_11target_archE1200ELNS1_3gpuE4ELNS1_3repE0EEENS1_30default_config_static_selectorELNS0_4arch9wavefront6targetE0EEEvSP_: ; @_ZN7rocprim17ROCPRIM_400000_NS6detail17trampoline_kernelINS0_14default_configENS1_27upper_bound_config_selectorIfiEEZNS1_14transform_implILb0ES3_S5_N6thrust23THRUST_200600_302600_NS6detail15normal_iteratorINS8_10device_ptrIfEEEENSA_INSB_IiEEEEZNS1_13binary_searchIS3_S5_SD_SD_SF_NS1_21upper_bound_search_opENS9_16wrapped_functionINS0_4lessIvEEbEEEE10hipError_tPvRmT1_T2_T3_mmT4_T5_P12ihipStream_tbEUlRKfE_EESM_SQ_SR_mSS_SV_bEUlT_E_NS1_11comp_targetILNS1_3genE10ELNS1_11target_archE1200ELNS1_3gpuE4ELNS1_3repE0EEENS1_30default_config_static_selectorELNS0_4arch9wavefront6targetE0EEEvSP_
; %bb.0:
	.section	.rodata,"a",@progbits
	.p2align	6, 0x0
	.amdhsa_kernel _ZN7rocprim17ROCPRIM_400000_NS6detail17trampoline_kernelINS0_14default_configENS1_27upper_bound_config_selectorIfiEEZNS1_14transform_implILb0ES3_S5_N6thrust23THRUST_200600_302600_NS6detail15normal_iteratorINS8_10device_ptrIfEEEENSA_INSB_IiEEEEZNS1_13binary_searchIS3_S5_SD_SD_SF_NS1_21upper_bound_search_opENS9_16wrapped_functionINS0_4lessIvEEbEEEE10hipError_tPvRmT1_T2_T3_mmT4_T5_P12ihipStream_tbEUlRKfE_EESM_SQ_SR_mSS_SV_bEUlT_E_NS1_11comp_targetILNS1_3genE10ELNS1_11target_archE1200ELNS1_3gpuE4ELNS1_3repE0EEENS1_30default_config_static_selectorELNS0_4arch9wavefront6targetE0EEEvSP_
		.amdhsa_group_segment_fixed_size 0
		.amdhsa_private_segment_fixed_size 0
		.amdhsa_kernarg_size 56
		.amdhsa_user_sgpr_count 15
		.amdhsa_user_sgpr_dispatch_ptr 0
		.amdhsa_user_sgpr_queue_ptr 0
		.amdhsa_user_sgpr_kernarg_segment_ptr 1
		.amdhsa_user_sgpr_dispatch_id 0
		.amdhsa_user_sgpr_private_segment_size 0
		.amdhsa_wavefront_size32 1
		.amdhsa_uses_dynamic_stack 0
		.amdhsa_enable_private_segment 0
		.amdhsa_system_sgpr_workgroup_id_x 1
		.amdhsa_system_sgpr_workgroup_id_y 0
		.amdhsa_system_sgpr_workgroup_id_z 0
		.amdhsa_system_sgpr_workgroup_info 0
		.amdhsa_system_vgpr_workitem_id 0
		.amdhsa_next_free_vgpr 1
		.amdhsa_next_free_sgpr 1
		.amdhsa_reserve_vcc 0
		.amdhsa_float_round_mode_32 0
		.amdhsa_float_round_mode_16_64 0
		.amdhsa_float_denorm_mode_32 3
		.amdhsa_float_denorm_mode_16_64 3
		.amdhsa_dx10_clamp 1
		.amdhsa_ieee_mode 1
		.amdhsa_fp16_overflow 0
		.amdhsa_workgroup_processor_mode 1
		.amdhsa_memory_ordered 1
		.amdhsa_forward_progress 0
		.amdhsa_shared_vgpr_count 0
		.amdhsa_exception_fp_ieee_invalid_op 0
		.amdhsa_exception_fp_denorm_src 0
		.amdhsa_exception_fp_ieee_div_zero 0
		.amdhsa_exception_fp_ieee_overflow 0
		.amdhsa_exception_fp_ieee_underflow 0
		.amdhsa_exception_fp_ieee_inexact 0
		.amdhsa_exception_int_div_zero 0
	.end_amdhsa_kernel
	.section	.text._ZN7rocprim17ROCPRIM_400000_NS6detail17trampoline_kernelINS0_14default_configENS1_27upper_bound_config_selectorIfiEEZNS1_14transform_implILb0ES3_S5_N6thrust23THRUST_200600_302600_NS6detail15normal_iteratorINS8_10device_ptrIfEEEENSA_INSB_IiEEEEZNS1_13binary_searchIS3_S5_SD_SD_SF_NS1_21upper_bound_search_opENS9_16wrapped_functionINS0_4lessIvEEbEEEE10hipError_tPvRmT1_T2_T3_mmT4_T5_P12ihipStream_tbEUlRKfE_EESM_SQ_SR_mSS_SV_bEUlT_E_NS1_11comp_targetILNS1_3genE10ELNS1_11target_archE1200ELNS1_3gpuE4ELNS1_3repE0EEENS1_30default_config_static_selectorELNS0_4arch9wavefront6targetE0EEEvSP_,"axG",@progbits,_ZN7rocprim17ROCPRIM_400000_NS6detail17trampoline_kernelINS0_14default_configENS1_27upper_bound_config_selectorIfiEEZNS1_14transform_implILb0ES3_S5_N6thrust23THRUST_200600_302600_NS6detail15normal_iteratorINS8_10device_ptrIfEEEENSA_INSB_IiEEEEZNS1_13binary_searchIS3_S5_SD_SD_SF_NS1_21upper_bound_search_opENS9_16wrapped_functionINS0_4lessIvEEbEEEE10hipError_tPvRmT1_T2_T3_mmT4_T5_P12ihipStream_tbEUlRKfE_EESM_SQ_SR_mSS_SV_bEUlT_E_NS1_11comp_targetILNS1_3genE10ELNS1_11target_archE1200ELNS1_3gpuE4ELNS1_3repE0EEENS1_30default_config_static_selectorELNS0_4arch9wavefront6targetE0EEEvSP_,comdat
.Lfunc_end345:
	.size	_ZN7rocprim17ROCPRIM_400000_NS6detail17trampoline_kernelINS0_14default_configENS1_27upper_bound_config_selectorIfiEEZNS1_14transform_implILb0ES3_S5_N6thrust23THRUST_200600_302600_NS6detail15normal_iteratorINS8_10device_ptrIfEEEENSA_INSB_IiEEEEZNS1_13binary_searchIS3_S5_SD_SD_SF_NS1_21upper_bound_search_opENS9_16wrapped_functionINS0_4lessIvEEbEEEE10hipError_tPvRmT1_T2_T3_mmT4_T5_P12ihipStream_tbEUlRKfE_EESM_SQ_SR_mSS_SV_bEUlT_E_NS1_11comp_targetILNS1_3genE10ELNS1_11target_archE1200ELNS1_3gpuE4ELNS1_3repE0EEENS1_30default_config_static_selectorELNS0_4arch9wavefront6targetE0EEEvSP_, .Lfunc_end345-_ZN7rocprim17ROCPRIM_400000_NS6detail17trampoline_kernelINS0_14default_configENS1_27upper_bound_config_selectorIfiEEZNS1_14transform_implILb0ES3_S5_N6thrust23THRUST_200600_302600_NS6detail15normal_iteratorINS8_10device_ptrIfEEEENSA_INSB_IiEEEEZNS1_13binary_searchIS3_S5_SD_SD_SF_NS1_21upper_bound_search_opENS9_16wrapped_functionINS0_4lessIvEEbEEEE10hipError_tPvRmT1_T2_T3_mmT4_T5_P12ihipStream_tbEUlRKfE_EESM_SQ_SR_mSS_SV_bEUlT_E_NS1_11comp_targetILNS1_3genE10ELNS1_11target_archE1200ELNS1_3gpuE4ELNS1_3repE0EEENS1_30default_config_static_selectorELNS0_4arch9wavefront6targetE0EEEvSP_
                                        ; -- End function
	.section	.AMDGPU.csdata,"",@progbits
; Kernel info:
; codeLenInByte = 0
; NumSgprs: 0
; NumVgprs: 0
; ScratchSize: 0
; MemoryBound: 0
; FloatMode: 240
; IeeeMode: 1
; LDSByteSize: 0 bytes/workgroup (compile time only)
; SGPRBlocks: 0
; VGPRBlocks: 0
; NumSGPRsForWavesPerEU: 1
; NumVGPRsForWavesPerEU: 1
; Occupancy: 16
; WaveLimiterHint : 0
; COMPUTE_PGM_RSRC2:SCRATCH_EN: 0
; COMPUTE_PGM_RSRC2:USER_SGPR: 15
; COMPUTE_PGM_RSRC2:TRAP_HANDLER: 0
; COMPUTE_PGM_RSRC2:TGID_X_EN: 1
; COMPUTE_PGM_RSRC2:TGID_Y_EN: 0
; COMPUTE_PGM_RSRC2:TGID_Z_EN: 0
; COMPUTE_PGM_RSRC2:TIDIG_COMP_CNT: 0
	.section	.text._ZN7rocprim17ROCPRIM_400000_NS6detail17trampoline_kernelINS0_14default_configENS1_27upper_bound_config_selectorIfiEEZNS1_14transform_implILb0ES3_S5_N6thrust23THRUST_200600_302600_NS6detail15normal_iteratorINS8_10device_ptrIfEEEENSA_INSB_IiEEEEZNS1_13binary_searchIS3_S5_SD_SD_SF_NS1_21upper_bound_search_opENS9_16wrapped_functionINS0_4lessIvEEbEEEE10hipError_tPvRmT1_T2_T3_mmT4_T5_P12ihipStream_tbEUlRKfE_EESM_SQ_SR_mSS_SV_bEUlT_E_NS1_11comp_targetILNS1_3genE9ELNS1_11target_archE1100ELNS1_3gpuE3ELNS1_3repE0EEENS1_30default_config_static_selectorELNS0_4arch9wavefront6targetE0EEEvSP_,"axG",@progbits,_ZN7rocprim17ROCPRIM_400000_NS6detail17trampoline_kernelINS0_14default_configENS1_27upper_bound_config_selectorIfiEEZNS1_14transform_implILb0ES3_S5_N6thrust23THRUST_200600_302600_NS6detail15normal_iteratorINS8_10device_ptrIfEEEENSA_INSB_IiEEEEZNS1_13binary_searchIS3_S5_SD_SD_SF_NS1_21upper_bound_search_opENS9_16wrapped_functionINS0_4lessIvEEbEEEE10hipError_tPvRmT1_T2_T3_mmT4_T5_P12ihipStream_tbEUlRKfE_EESM_SQ_SR_mSS_SV_bEUlT_E_NS1_11comp_targetILNS1_3genE9ELNS1_11target_archE1100ELNS1_3gpuE3ELNS1_3repE0EEENS1_30default_config_static_selectorELNS0_4arch9wavefront6targetE0EEEvSP_,comdat
	.protected	_ZN7rocprim17ROCPRIM_400000_NS6detail17trampoline_kernelINS0_14default_configENS1_27upper_bound_config_selectorIfiEEZNS1_14transform_implILb0ES3_S5_N6thrust23THRUST_200600_302600_NS6detail15normal_iteratorINS8_10device_ptrIfEEEENSA_INSB_IiEEEEZNS1_13binary_searchIS3_S5_SD_SD_SF_NS1_21upper_bound_search_opENS9_16wrapped_functionINS0_4lessIvEEbEEEE10hipError_tPvRmT1_T2_T3_mmT4_T5_P12ihipStream_tbEUlRKfE_EESM_SQ_SR_mSS_SV_bEUlT_E_NS1_11comp_targetILNS1_3genE9ELNS1_11target_archE1100ELNS1_3gpuE3ELNS1_3repE0EEENS1_30default_config_static_selectorELNS0_4arch9wavefront6targetE0EEEvSP_ ; -- Begin function _ZN7rocprim17ROCPRIM_400000_NS6detail17trampoline_kernelINS0_14default_configENS1_27upper_bound_config_selectorIfiEEZNS1_14transform_implILb0ES3_S5_N6thrust23THRUST_200600_302600_NS6detail15normal_iteratorINS8_10device_ptrIfEEEENSA_INSB_IiEEEEZNS1_13binary_searchIS3_S5_SD_SD_SF_NS1_21upper_bound_search_opENS9_16wrapped_functionINS0_4lessIvEEbEEEE10hipError_tPvRmT1_T2_T3_mmT4_T5_P12ihipStream_tbEUlRKfE_EESM_SQ_SR_mSS_SV_bEUlT_E_NS1_11comp_targetILNS1_3genE9ELNS1_11target_archE1100ELNS1_3gpuE3ELNS1_3repE0EEENS1_30default_config_static_selectorELNS0_4arch9wavefront6targetE0EEEvSP_
	.globl	_ZN7rocprim17ROCPRIM_400000_NS6detail17trampoline_kernelINS0_14default_configENS1_27upper_bound_config_selectorIfiEEZNS1_14transform_implILb0ES3_S5_N6thrust23THRUST_200600_302600_NS6detail15normal_iteratorINS8_10device_ptrIfEEEENSA_INSB_IiEEEEZNS1_13binary_searchIS3_S5_SD_SD_SF_NS1_21upper_bound_search_opENS9_16wrapped_functionINS0_4lessIvEEbEEEE10hipError_tPvRmT1_T2_T3_mmT4_T5_P12ihipStream_tbEUlRKfE_EESM_SQ_SR_mSS_SV_bEUlT_E_NS1_11comp_targetILNS1_3genE9ELNS1_11target_archE1100ELNS1_3gpuE3ELNS1_3repE0EEENS1_30default_config_static_selectorELNS0_4arch9wavefront6targetE0EEEvSP_
	.p2align	8
	.type	_ZN7rocprim17ROCPRIM_400000_NS6detail17trampoline_kernelINS0_14default_configENS1_27upper_bound_config_selectorIfiEEZNS1_14transform_implILb0ES3_S5_N6thrust23THRUST_200600_302600_NS6detail15normal_iteratorINS8_10device_ptrIfEEEENSA_INSB_IiEEEEZNS1_13binary_searchIS3_S5_SD_SD_SF_NS1_21upper_bound_search_opENS9_16wrapped_functionINS0_4lessIvEEbEEEE10hipError_tPvRmT1_T2_T3_mmT4_T5_P12ihipStream_tbEUlRKfE_EESM_SQ_SR_mSS_SV_bEUlT_E_NS1_11comp_targetILNS1_3genE9ELNS1_11target_archE1100ELNS1_3gpuE3ELNS1_3repE0EEENS1_30default_config_static_selectorELNS0_4arch9wavefront6targetE0EEEvSP_,@function
_ZN7rocprim17ROCPRIM_400000_NS6detail17trampoline_kernelINS0_14default_configENS1_27upper_bound_config_selectorIfiEEZNS1_14transform_implILb0ES3_S5_N6thrust23THRUST_200600_302600_NS6detail15normal_iteratorINS8_10device_ptrIfEEEENSA_INSB_IiEEEEZNS1_13binary_searchIS3_S5_SD_SD_SF_NS1_21upper_bound_search_opENS9_16wrapped_functionINS0_4lessIvEEbEEEE10hipError_tPvRmT1_T2_T3_mmT4_T5_P12ihipStream_tbEUlRKfE_EESM_SQ_SR_mSS_SV_bEUlT_E_NS1_11comp_targetILNS1_3genE9ELNS1_11target_archE1100ELNS1_3gpuE3ELNS1_3repE0EEENS1_30default_config_static_selectorELNS0_4arch9wavefront6targetE0EEEvSP_: ; @_ZN7rocprim17ROCPRIM_400000_NS6detail17trampoline_kernelINS0_14default_configENS1_27upper_bound_config_selectorIfiEEZNS1_14transform_implILb0ES3_S5_N6thrust23THRUST_200600_302600_NS6detail15normal_iteratorINS8_10device_ptrIfEEEENSA_INSB_IiEEEEZNS1_13binary_searchIS3_S5_SD_SD_SF_NS1_21upper_bound_search_opENS9_16wrapped_functionINS0_4lessIvEEbEEEE10hipError_tPvRmT1_T2_T3_mmT4_T5_P12ihipStream_tbEUlRKfE_EESM_SQ_SR_mSS_SV_bEUlT_E_NS1_11comp_targetILNS1_3genE9ELNS1_11target_archE1100ELNS1_3gpuE3ELNS1_3repE0EEENS1_30default_config_static_selectorELNS0_4arch9wavefront6targetE0EEEvSP_
; %bb.0:
	s_clause 0x3
	s_load_b128 s[16:19], s[0:1], 0x0
	s_load_b128 s[4:7], s[0:1], 0x18
	s_load_b32 s12, s[0:1], 0x38
	s_load_b64 s[8:9], s[0:1], 0x28
	s_waitcnt lgkmcnt(0)
	s_lshl_b64 s[2:3], s[18:19], 2
	s_delay_alu instid0(SALU_CYCLE_1)
	s_add_u32 s10, s16, s2
	s_addc_u32 s11, s17, s3
	s_add_u32 s4, s4, s2
	s_addc_u32 s5, s5, s3
	s_add_i32 s12, s12, -1
	s_lshl_b32 s2, s15, 8
	s_mov_b32 s3, 0
	s_cmp_lg_u32 s15, s12
	s_mov_b32 s12, -1
	s_cbranch_scc0 .LBB346_6
; %bb.1:
	v_mov_b32_e32 v1, 0
	s_cmp_eq_u64 s[8:9], 0
	s_cbranch_scc1 .LBB346_5
; %bb.2:
	v_lshlrev_b32_e32 v1, 2, v0
	s_lshl_b64 s[12:13], s[2:3], 2
	v_dual_mov_b32 v3, s8 :: v_dual_mov_b32 v4, s9
	s_add_u32 s12, s10, s12
	s_addc_u32 s13, s11, s13
	v_add_co_u32 v1, s12, s12, v1
	s_delay_alu instid0(VALU_DEP_1)
	v_add_co_ci_u32_e64 v2, null, s13, 0, s12
	s_mov_b32 s12, 0
	flat_load_b32 v5, v[1:2]
	v_mov_b32_e32 v1, 0
	v_mov_b32_e32 v2, 0
	.p2align	6
.LBB346_3:                              ; =>This Inner Loop Header: Depth=1
	s_delay_alu instid0(VALU_DEP_2) | instskip(NEXT) | instid1(VALU_DEP_2)
	v_sub_co_u32 v6, vcc_lo, v3, v1
	v_sub_co_ci_u32_e32 v7, vcc_lo, v4, v2, vcc_lo
	s_delay_alu instid0(VALU_DEP_1) | instskip(SKIP_1) | instid1(VALU_DEP_2)
	v_lshrrev_b64 v[8:9], 1, v[6:7]
	v_lshrrev_b64 v[6:7], 6, v[6:7]
	v_add_co_u32 v8, vcc_lo, v8, v1
	s_delay_alu instid0(VALU_DEP_3) | instskip(NEXT) | instid1(VALU_DEP_2)
	v_add_co_ci_u32_e32 v9, vcc_lo, v9, v2, vcc_lo
	v_add_co_u32 v6, vcc_lo, v8, v6
	s_delay_alu instid0(VALU_DEP_2) | instskip(NEXT) | instid1(VALU_DEP_1)
	v_add_co_ci_u32_e32 v7, vcc_lo, v9, v7, vcc_lo
	v_lshlrev_b64 v[8:9], 2, v[6:7]
	s_delay_alu instid0(VALU_DEP_1) | instskip(NEXT) | instid1(VALU_DEP_2)
	v_add_co_u32 v8, vcc_lo, s6, v8
	v_add_co_ci_u32_e32 v9, vcc_lo, s7, v9, vcc_lo
	global_load_b32 v8, v[8:9], off
	v_add_co_u32 v9, vcc_lo, v6, 1
	v_add_co_ci_u32_e32 v10, vcc_lo, 0, v7, vcc_lo
	s_waitcnt vmcnt(0) lgkmcnt(0)
	v_cmp_gt_f32_e32 vcc_lo, v8, v5
	v_dual_cndmask_b32 v4, v4, v7 :: v_dual_cndmask_b32 v3, v3, v6
	s_delay_alu instid0(VALU_DEP_3) | instskip(NEXT) | instid1(VALU_DEP_1)
	v_dual_cndmask_b32 v2, v10, v2 :: v_dual_cndmask_b32 v1, v9, v1
	v_cmp_ge_u64_e32 vcc_lo, v[1:2], v[3:4]
	s_or_b32 s12, vcc_lo, s12
	s_delay_alu instid0(SALU_CYCLE_1)
	s_and_not1_b32 exec_lo, exec_lo, s12
	s_cbranch_execnz .LBB346_3
; %bb.4:
	s_or_b32 exec_lo, exec_lo, s12
.LBB346_5:
	v_lshlrev_b32_e32 v2, 2, v0
	s_lshl_b64 s[12:13], s[2:3], 2
	s_delay_alu instid0(SALU_CYCLE_1) | instskip(SKIP_1) | instid1(VALU_DEP_1)
	s_add_u32 s12, s4, s12
	s_addc_u32 s13, s5, s13
	v_add_co_u32 v2, s12, s12, v2
	s_delay_alu instid0(VALU_DEP_1)
	v_add_co_ci_u32_e64 v3, null, s13, 0, s12
	s_mov_b32 s12, 0
	flat_store_b32 v[2:3], v1
.LBB346_6:
	s_and_b32 vcc_lo, exec_lo, s12
	s_cbranch_vccz .LBB346_11
; %bb.7:
	s_load_b32 s0, s[0:1], 0x10
                                        ; implicit-def: $vgpr5
	s_waitcnt lgkmcnt(0)
	s_sub_i32 s0, s0, s2
	s_delay_alu instid0(SALU_CYCLE_1)
	v_cmp_gt_u32_e32 vcc_lo, s0, v0
	s_and_saveexec_b32 s0, vcc_lo
	s_cbranch_execnz .LBB346_12
; %bb.8:
	s_or_b32 exec_lo, exec_lo, s0
                                        ; implicit-def: $vgpr1
	s_and_saveexec_b32 s1, vcc_lo
	s_cbranch_execnz .LBB346_13
.LBB346_9:
	s_or_b32 exec_lo, exec_lo, s1
	s_and_saveexec_b32 s0, vcc_lo
	s_cbranch_execz .LBB346_11
.LBB346_10:
	v_lshlrev_b32_e32 v0, 2, v0
	s_lshl_b64 s[0:1], s[2:3], 2
	s_delay_alu instid0(SALU_CYCLE_1) | instskip(SKIP_1) | instid1(VALU_DEP_1)
	s_add_u32 s0, s4, s0
	s_addc_u32 s1, s5, s1
	v_add_co_u32 v2, s0, s0, v0
	s_delay_alu instid0(VALU_DEP_1)
	v_add_co_ci_u32_e64 v3, null, s1, 0, s0
	flat_store_b32 v[2:3], v1
.LBB346_11:
	s_endpgm
.LBB346_12:
	v_lshlrev_b32_e32 v1, 2, v0
	s_lshl_b64 s[12:13], s[2:3], 2
	s_delay_alu instid0(SALU_CYCLE_1) | instskip(SKIP_1) | instid1(VALU_DEP_1)
	s_add_u32 s1, s10, s12
	s_addc_u32 s10, s11, s13
	v_add_co_u32 v1, s1, s1, v1
	s_delay_alu instid0(VALU_DEP_1)
	v_add_co_ci_u32_e64 v2, null, s10, 0, s1
	flat_load_b32 v5, v[1:2]
	s_or_b32 exec_lo, exec_lo, s0
                                        ; implicit-def: $vgpr1
	s_and_saveexec_b32 s1, vcc_lo
	s_cbranch_execz .LBB346_9
.LBB346_13:
	s_cmp_eq_u64 s[8:9], 0
	s_cbranch_scc1 .LBB346_17
; %bb.14:
	v_mov_b32_e32 v1, 0
	v_dual_mov_b32 v2, 0 :: v_dual_mov_b32 v3, s8
	v_mov_b32_e32 v4, s9
	s_mov_b32 s8, 0
	s_set_inst_prefetch_distance 0x1
	.p2align	6
.LBB346_15:                             ; =>This Inner Loop Header: Depth=1
	s_delay_alu instid0(VALU_DEP_2) | instskip(NEXT) | instid1(VALU_DEP_1)
	v_sub_co_u32 v6, s0, v3, v1
	v_sub_co_ci_u32_e64 v7, s0, v4, v2, s0
	s_delay_alu instid0(VALU_DEP_1) | instskip(SKIP_1) | instid1(VALU_DEP_2)
	v_lshrrev_b64 v[8:9], 1, v[6:7]
	v_lshrrev_b64 v[6:7], 6, v[6:7]
	v_add_co_u32 v8, s0, v8, v1
	s_delay_alu instid0(VALU_DEP_1) | instskip(NEXT) | instid1(VALU_DEP_2)
	v_add_co_ci_u32_e64 v9, s0, v9, v2, s0
	v_add_co_u32 v6, s0, v8, v6
	s_delay_alu instid0(VALU_DEP_1) | instskip(NEXT) | instid1(VALU_DEP_1)
	v_add_co_ci_u32_e64 v7, s0, v9, v7, s0
	v_lshlrev_b64 v[8:9], 2, v[6:7]
	s_delay_alu instid0(VALU_DEP_1) | instskip(NEXT) | instid1(VALU_DEP_1)
	v_add_co_u32 v8, s0, s6, v8
	v_add_co_ci_u32_e64 v9, s0, s7, v9, s0
	global_load_b32 v8, v[8:9], off
	v_add_co_u32 v9, s0, v6, 1
	s_delay_alu instid0(VALU_DEP_1) | instskip(SKIP_2) | instid1(VALU_DEP_1)
	v_add_co_ci_u32_e64 v10, s0, 0, v7, s0
	s_waitcnt vmcnt(0) lgkmcnt(0)
	v_cmp_gt_f32_e64 s0, v8, v5
	v_cndmask_b32_e64 v4, v4, v7, s0
	v_cndmask_b32_e64 v3, v3, v6, s0
	;; [unrolled: 1-line block ×4, first 2 shown]
	s_delay_alu instid0(VALU_DEP_1) | instskip(NEXT) | instid1(VALU_DEP_1)
	v_cmp_ge_u64_e64 s0, v[1:2], v[3:4]
	s_or_b32 s8, s0, s8
	s_delay_alu instid0(SALU_CYCLE_1)
	s_and_not1_b32 exec_lo, exec_lo, s8
	s_cbranch_execnz .LBB346_15
; %bb.16:
	s_set_inst_prefetch_distance 0x2
	s_or_b32 exec_lo, exec_lo, s8
	s_delay_alu instid0(SALU_CYCLE_1)
	s_or_b32 exec_lo, exec_lo, s1
	s_and_saveexec_b32 s0, vcc_lo
	s_cbranch_execnz .LBB346_10
	s_branch .LBB346_11
.LBB346_17:
	v_mov_b32_e32 v1, 0
	s_or_b32 exec_lo, exec_lo, s1
	s_and_saveexec_b32 s0, vcc_lo
	s_cbranch_execnz .LBB346_10
	s_branch .LBB346_11
	.section	.rodata,"a",@progbits
	.p2align	6, 0x0
	.amdhsa_kernel _ZN7rocprim17ROCPRIM_400000_NS6detail17trampoline_kernelINS0_14default_configENS1_27upper_bound_config_selectorIfiEEZNS1_14transform_implILb0ES3_S5_N6thrust23THRUST_200600_302600_NS6detail15normal_iteratorINS8_10device_ptrIfEEEENSA_INSB_IiEEEEZNS1_13binary_searchIS3_S5_SD_SD_SF_NS1_21upper_bound_search_opENS9_16wrapped_functionINS0_4lessIvEEbEEEE10hipError_tPvRmT1_T2_T3_mmT4_T5_P12ihipStream_tbEUlRKfE_EESM_SQ_SR_mSS_SV_bEUlT_E_NS1_11comp_targetILNS1_3genE9ELNS1_11target_archE1100ELNS1_3gpuE3ELNS1_3repE0EEENS1_30default_config_static_selectorELNS0_4arch9wavefront6targetE0EEEvSP_
		.amdhsa_group_segment_fixed_size 0
		.amdhsa_private_segment_fixed_size 0
		.amdhsa_kernarg_size 312
		.amdhsa_user_sgpr_count 15
		.amdhsa_user_sgpr_dispatch_ptr 0
		.amdhsa_user_sgpr_queue_ptr 0
		.amdhsa_user_sgpr_kernarg_segment_ptr 1
		.amdhsa_user_sgpr_dispatch_id 0
		.amdhsa_user_sgpr_private_segment_size 0
		.amdhsa_wavefront_size32 1
		.amdhsa_uses_dynamic_stack 0
		.amdhsa_enable_private_segment 0
		.amdhsa_system_sgpr_workgroup_id_x 1
		.amdhsa_system_sgpr_workgroup_id_y 0
		.amdhsa_system_sgpr_workgroup_id_z 0
		.amdhsa_system_sgpr_workgroup_info 0
		.amdhsa_system_vgpr_workitem_id 0
		.amdhsa_next_free_vgpr 11
		.amdhsa_next_free_sgpr 20
		.amdhsa_reserve_vcc 1
		.amdhsa_float_round_mode_32 0
		.amdhsa_float_round_mode_16_64 0
		.amdhsa_float_denorm_mode_32 3
		.amdhsa_float_denorm_mode_16_64 3
		.amdhsa_dx10_clamp 1
		.amdhsa_ieee_mode 1
		.amdhsa_fp16_overflow 0
		.amdhsa_workgroup_processor_mode 1
		.amdhsa_memory_ordered 1
		.amdhsa_forward_progress 0
		.amdhsa_shared_vgpr_count 0
		.amdhsa_exception_fp_ieee_invalid_op 0
		.amdhsa_exception_fp_denorm_src 0
		.amdhsa_exception_fp_ieee_div_zero 0
		.amdhsa_exception_fp_ieee_overflow 0
		.amdhsa_exception_fp_ieee_underflow 0
		.amdhsa_exception_fp_ieee_inexact 0
		.amdhsa_exception_int_div_zero 0
	.end_amdhsa_kernel
	.section	.text._ZN7rocprim17ROCPRIM_400000_NS6detail17trampoline_kernelINS0_14default_configENS1_27upper_bound_config_selectorIfiEEZNS1_14transform_implILb0ES3_S5_N6thrust23THRUST_200600_302600_NS6detail15normal_iteratorINS8_10device_ptrIfEEEENSA_INSB_IiEEEEZNS1_13binary_searchIS3_S5_SD_SD_SF_NS1_21upper_bound_search_opENS9_16wrapped_functionINS0_4lessIvEEbEEEE10hipError_tPvRmT1_T2_T3_mmT4_T5_P12ihipStream_tbEUlRKfE_EESM_SQ_SR_mSS_SV_bEUlT_E_NS1_11comp_targetILNS1_3genE9ELNS1_11target_archE1100ELNS1_3gpuE3ELNS1_3repE0EEENS1_30default_config_static_selectorELNS0_4arch9wavefront6targetE0EEEvSP_,"axG",@progbits,_ZN7rocprim17ROCPRIM_400000_NS6detail17trampoline_kernelINS0_14default_configENS1_27upper_bound_config_selectorIfiEEZNS1_14transform_implILb0ES3_S5_N6thrust23THRUST_200600_302600_NS6detail15normal_iteratorINS8_10device_ptrIfEEEENSA_INSB_IiEEEEZNS1_13binary_searchIS3_S5_SD_SD_SF_NS1_21upper_bound_search_opENS9_16wrapped_functionINS0_4lessIvEEbEEEE10hipError_tPvRmT1_T2_T3_mmT4_T5_P12ihipStream_tbEUlRKfE_EESM_SQ_SR_mSS_SV_bEUlT_E_NS1_11comp_targetILNS1_3genE9ELNS1_11target_archE1100ELNS1_3gpuE3ELNS1_3repE0EEENS1_30default_config_static_selectorELNS0_4arch9wavefront6targetE0EEEvSP_,comdat
.Lfunc_end346:
	.size	_ZN7rocprim17ROCPRIM_400000_NS6detail17trampoline_kernelINS0_14default_configENS1_27upper_bound_config_selectorIfiEEZNS1_14transform_implILb0ES3_S5_N6thrust23THRUST_200600_302600_NS6detail15normal_iteratorINS8_10device_ptrIfEEEENSA_INSB_IiEEEEZNS1_13binary_searchIS3_S5_SD_SD_SF_NS1_21upper_bound_search_opENS9_16wrapped_functionINS0_4lessIvEEbEEEE10hipError_tPvRmT1_T2_T3_mmT4_T5_P12ihipStream_tbEUlRKfE_EESM_SQ_SR_mSS_SV_bEUlT_E_NS1_11comp_targetILNS1_3genE9ELNS1_11target_archE1100ELNS1_3gpuE3ELNS1_3repE0EEENS1_30default_config_static_selectorELNS0_4arch9wavefront6targetE0EEEvSP_, .Lfunc_end346-_ZN7rocprim17ROCPRIM_400000_NS6detail17trampoline_kernelINS0_14default_configENS1_27upper_bound_config_selectorIfiEEZNS1_14transform_implILb0ES3_S5_N6thrust23THRUST_200600_302600_NS6detail15normal_iteratorINS8_10device_ptrIfEEEENSA_INSB_IiEEEEZNS1_13binary_searchIS3_S5_SD_SD_SF_NS1_21upper_bound_search_opENS9_16wrapped_functionINS0_4lessIvEEbEEEE10hipError_tPvRmT1_T2_T3_mmT4_T5_P12ihipStream_tbEUlRKfE_EESM_SQ_SR_mSS_SV_bEUlT_E_NS1_11comp_targetILNS1_3genE9ELNS1_11target_archE1100ELNS1_3gpuE3ELNS1_3repE0EEENS1_30default_config_static_selectorELNS0_4arch9wavefront6targetE0EEEvSP_
                                        ; -- End function
	.section	.AMDGPU.csdata,"",@progbits
; Kernel info:
; codeLenInByte = 844
; NumSgprs: 22
; NumVgprs: 11
; ScratchSize: 0
; MemoryBound: 0
; FloatMode: 240
; IeeeMode: 1
; LDSByteSize: 0 bytes/workgroup (compile time only)
; SGPRBlocks: 2
; VGPRBlocks: 1
; NumSGPRsForWavesPerEU: 22
; NumVGPRsForWavesPerEU: 11
; Occupancy: 16
; WaveLimiterHint : 0
; COMPUTE_PGM_RSRC2:SCRATCH_EN: 0
; COMPUTE_PGM_RSRC2:USER_SGPR: 15
; COMPUTE_PGM_RSRC2:TRAP_HANDLER: 0
; COMPUTE_PGM_RSRC2:TGID_X_EN: 1
; COMPUTE_PGM_RSRC2:TGID_Y_EN: 0
; COMPUTE_PGM_RSRC2:TGID_Z_EN: 0
; COMPUTE_PGM_RSRC2:TIDIG_COMP_CNT: 0
	.section	.text._ZN7rocprim17ROCPRIM_400000_NS6detail17trampoline_kernelINS0_14default_configENS1_27upper_bound_config_selectorIfiEEZNS1_14transform_implILb0ES3_S5_N6thrust23THRUST_200600_302600_NS6detail15normal_iteratorINS8_10device_ptrIfEEEENSA_INSB_IiEEEEZNS1_13binary_searchIS3_S5_SD_SD_SF_NS1_21upper_bound_search_opENS9_16wrapped_functionINS0_4lessIvEEbEEEE10hipError_tPvRmT1_T2_T3_mmT4_T5_P12ihipStream_tbEUlRKfE_EESM_SQ_SR_mSS_SV_bEUlT_E_NS1_11comp_targetILNS1_3genE8ELNS1_11target_archE1030ELNS1_3gpuE2ELNS1_3repE0EEENS1_30default_config_static_selectorELNS0_4arch9wavefront6targetE0EEEvSP_,"axG",@progbits,_ZN7rocprim17ROCPRIM_400000_NS6detail17trampoline_kernelINS0_14default_configENS1_27upper_bound_config_selectorIfiEEZNS1_14transform_implILb0ES3_S5_N6thrust23THRUST_200600_302600_NS6detail15normal_iteratorINS8_10device_ptrIfEEEENSA_INSB_IiEEEEZNS1_13binary_searchIS3_S5_SD_SD_SF_NS1_21upper_bound_search_opENS9_16wrapped_functionINS0_4lessIvEEbEEEE10hipError_tPvRmT1_T2_T3_mmT4_T5_P12ihipStream_tbEUlRKfE_EESM_SQ_SR_mSS_SV_bEUlT_E_NS1_11comp_targetILNS1_3genE8ELNS1_11target_archE1030ELNS1_3gpuE2ELNS1_3repE0EEENS1_30default_config_static_selectorELNS0_4arch9wavefront6targetE0EEEvSP_,comdat
	.protected	_ZN7rocprim17ROCPRIM_400000_NS6detail17trampoline_kernelINS0_14default_configENS1_27upper_bound_config_selectorIfiEEZNS1_14transform_implILb0ES3_S5_N6thrust23THRUST_200600_302600_NS6detail15normal_iteratorINS8_10device_ptrIfEEEENSA_INSB_IiEEEEZNS1_13binary_searchIS3_S5_SD_SD_SF_NS1_21upper_bound_search_opENS9_16wrapped_functionINS0_4lessIvEEbEEEE10hipError_tPvRmT1_T2_T3_mmT4_T5_P12ihipStream_tbEUlRKfE_EESM_SQ_SR_mSS_SV_bEUlT_E_NS1_11comp_targetILNS1_3genE8ELNS1_11target_archE1030ELNS1_3gpuE2ELNS1_3repE0EEENS1_30default_config_static_selectorELNS0_4arch9wavefront6targetE0EEEvSP_ ; -- Begin function _ZN7rocprim17ROCPRIM_400000_NS6detail17trampoline_kernelINS0_14default_configENS1_27upper_bound_config_selectorIfiEEZNS1_14transform_implILb0ES3_S5_N6thrust23THRUST_200600_302600_NS6detail15normal_iteratorINS8_10device_ptrIfEEEENSA_INSB_IiEEEEZNS1_13binary_searchIS3_S5_SD_SD_SF_NS1_21upper_bound_search_opENS9_16wrapped_functionINS0_4lessIvEEbEEEE10hipError_tPvRmT1_T2_T3_mmT4_T5_P12ihipStream_tbEUlRKfE_EESM_SQ_SR_mSS_SV_bEUlT_E_NS1_11comp_targetILNS1_3genE8ELNS1_11target_archE1030ELNS1_3gpuE2ELNS1_3repE0EEENS1_30default_config_static_selectorELNS0_4arch9wavefront6targetE0EEEvSP_
	.globl	_ZN7rocprim17ROCPRIM_400000_NS6detail17trampoline_kernelINS0_14default_configENS1_27upper_bound_config_selectorIfiEEZNS1_14transform_implILb0ES3_S5_N6thrust23THRUST_200600_302600_NS6detail15normal_iteratorINS8_10device_ptrIfEEEENSA_INSB_IiEEEEZNS1_13binary_searchIS3_S5_SD_SD_SF_NS1_21upper_bound_search_opENS9_16wrapped_functionINS0_4lessIvEEbEEEE10hipError_tPvRmT1_T2_T3_mmT4_T5_P12ihipStream_tbEUlRKfE_EESM_SQ_SR_mSS_SV_bEUlT_E_NS1_11comp_targetILNS1_3genE8ELNS1_11target_archE1030ELNS1_3gpuE2ELNS1_3repE0EEENS1_30default_config_static_selectorELNS0_4arch9wavefront6targetE0EEEvSP_
	.p2align	8
	.type	_ZN7rocprim17ROCPRIM_400000_NS6detail17trampoline_kernelINS0_14default_configENS1_27upper_bound_config_selectorIfiEEZNS1_14transform_implILb0ES3_S5_N6thrust23THRUST_200600_302600_NS6detail15normal_iteratorINS8_10device_ptrIfEEEENSA_INSB_IiEEEEZNS1_13binary_searchIS3_S5_SD_SD_SF_NS1_21upper_bound_search_opENS9_16wrapped_functionINS0_4lessIvEEbEEEE10hipError_tPvRmT1_T2_T3_mmT4_T5_P12ihipStream_tbEUlRKfE_EESM_SQ_SR_mSS_SV_bEUlT_E_NS1_11comp_targetILNS1_3genE8ELNS1_11target_archE1030ELNS1_3gpuE2ELNS1_3repE0EEENS1_30default_config_static_selectorELNS0_4arch9wavefront6targetE0EEEvSP_,@function
_ZN7rocprim17ROCPRIM_400000_NS6detail17trampoline_kernelINS0_14default_configENS1_27upper_bound_config_selectorIfiEEZNS1_14transform_implILb0ES3_S5_N6thrust23THRUST_200600_302600_NS6detail15normal_iteratorINS8_10device_ptrIfEEEENSA_INSB_IiEEEEZNS1_13binary_searchIS3_S5_SD_SD_SF_NS1_21upper_bound_search_opENS9_16wrapped_functionINS0_4lessIvEEbEEEE10hipError_tPvRmT1_T2_T3_mmT4_T5_P12ihipStream_tbEUlRKfE_EESM_SQ_SR_mSS_SV_bEUlT_E_NS1_11comp_targetILNS1_3genE8ELNS1_11target_archE1030ELNS1_3gpuE2ELNS1_3repE0EEENS1_30default_config_static_selectorELNS0_4arch9wavefront6targetE0EEEvSP_: ; @_ZN7rocprim17ROCPRIM_400000_NS6detail17trampoline_kernelINS0_14default_configENS1_27upper_bound_config_selectorIfiEEZNS1_14transform_implILb0ES3_S5_N6thrust23THRUST_200600_302600_NS6detail15normal_iteratorINS8_10device_ptrIfEEEENSA_INSB_IiEEEEZNS1_13binary_searchIS3_S5_SD_SD_SF_NS1_21upper_bound_search_opENS9_16wrapped_functionINS0_4lessIvEEbEEEE10hipError_tPvRmT1_T2_T3_mmT4_T5_P12ihipStream_tbEUlRKfE_EESM_SQ_SR_mSS_SV_bEUlT_E_NS1_11comp_targetILNS1_3genE8ELNS1_11target_archE1030ELNS1_3gpuE2ELNS1_3repE0EEENS1_30default_config_static_selectorELNS0_4arch9wavefront6targetE0EEEvSP_
; %bb.0:
	.section	.rodata,"a",@progbits
	.p2align	6, 0x0
	.amdhsa_kernel _ZN7rocprim17ROCPRIM_400000_NS6detail17trampoline_kernelINS0_14default_configENS1_27upper_bound_config_selectorIfiEEZNS1_14transform_implILb0ES3_S5_N6thrust23THRUST_200600_302600_NS6detail15normal_iteratorINS8_10device_ptrIfEEEENSA_INSB_IiEEEEZNS1_13binary_searchIS3_S5_SD_SD_SF_NS1_21upper_bound_search_opENS9_16wrapped_functionINS0_4lessIvEEbEEEE10hipError_tPvRmT1_T2_T3_mmT4_T5_P12ihipStream_tbEUlRKfE_EESM_SQ_SR_mSS_SV_bEUlT_E_NS1_11comp_targetILNS1_3genE8ELNS1_11target_archE1030ELNS1_3gpuE2ELNS1_3repE0EEENS1_30default_config_static_selectorELNS0_4arch9wavefront6targetE0EEEvSP_
		.amdhsa_group_segment_fixed_size 0
		.amdhsa_private_segment_fixed_size 0
		.amdhsa_kernarg_size 56
		.amdhsa_user_sgpr_count 15
		.amdhsa_user_sgpr_dispatch_ptr 0
		.amdhsa_user_sgpr_queue_ptr 0
		.amdhsa_user_sgpr_kernarg_segment_ptr 1
		.amdhsa_user_sgpr_dispatch_id 0
		.amdhsa_user_sgpr_private_segment_size 0
		.amdhsa_wavefront_size32 1
		.amdhsa_uses_dynamic_stack 0
		.amdhsa_enable_private_segment 0
		.amdhsa_system_sgpr_workgroup_id_x 1
		.amdhsa_system_sgpr_workgroup_id_y 0
		.amdhsa_system_sgpr_workgroup_id_z 0
		.amdhsa_system_sgpr_workgroup_info 0
		.amdhsa_system_vgpr_workitem_id 0
		.amdhsa_next_free_vgpr 1
		.amdhsa_next_free_sgpr 1
		.amdhsa_reserve_vcc 0
		.amdhsa_float_round_mode_32 0
		.amdhsa_float_round_mode_16_64 0
		.amdhsa_float_denorm_mode_32 3
		.amdhsa_float_denorm_mode_16_64 3
		.amdhsa_dx10_clamp 1
		.amdhsa_ieee_mode 1
		.amdhsa_fp16_overflow 0
		.amdhsa_workgroup_processor_mode 1
		.amdhsa_memory_ordered 1
		.amdhsa_forward_progress 0
		.amdhsa_shared_vgpr_count 0
		.amdhsa_exception_fp_ieee_invalid_op 0
		.amdhsa_exception_fp_denorm_src 0
		.amdhsa_exception_fp_ieee_div_zero 0
		.amdhsa_exception_fp_ieee_overflow 0
		.amdhsa_exception_fp_ieee_underflow 0
		.amdhsa_exception_fp_ieee_inexact 0
		.amdhsa_exception_int_div_zero 0
	.end_amdhsa_kernel
	.section	.text._ZN7rocprim17ROCPRIM_400000_NS6detail17trampoline_kernelINS0_14default_configENS1_27upper_bound_config_selectorIfiEEZNS1_14transform_implILb0ES3_S5_N6thrust23THRUST_200600_302600_NS6detail15normal_iteratorINS8_10device_ptrIfEEEENSA_INSB_IiEEEEZNS1_13binary_searchIS3_S5_SD_SD_SF_NS1_21upper_bound_search_opENS9_16wrapped_functionINS0_4lessIvEEbEEEE10hipError_tPvRmT1_T2_T3_mmT4_T5_P12ihipStream_tbEUlRKfE_EESM_SQ_SR_mSS_SV_bEUlT_E_NS1_11comp_targetILNS1_3genE8ELNS1_11target_archE1030ELNS1_3gpuE2ELNS1_3repE0EEENS1_30default_config_static_selectorELNS0_4arch9wavefront6targetE0EEEvSP_,"axG",@progbits,_ZN7rocprim17ROCPRIM_400000_NS6detail17trampoline_kernelINS0_14default_configENS1_27upper_bound_config_selectorIfiEEZNS1_14transform_implILb0ES3_S5_N6thrust23THRUST_200600_302600_NS6detail15normal_iteratorINS8_10device_ptrIfEEEENSA_INSB_IiEEEEZNS1_13binary_searchIS3_S5_SD_SD_SF_NS1_21upper_bound_search_opENS9_16wrapped_functionINS0_4lessIvEEbEEEE10hipError_tPvRmT1_T2_T3_mmT4_T5_P12ihipStream_tbEUlRKfE_EESM_SQ_SR_mSS_SV_bEUlT_E_NS1_11comp_targetILNS1_3genE8ELNS1_11target_archE1030ELNS1_3gpuE2ELNS1_3repE0EEENS1_30default_config_static_selectorELNS0_4arch9wavefront6targetE0EEEvSP_,comdat
.Lfunc_end347:
	.size	_ZN7rocprim17ROCPRIM_400000_NS6detail17trampoline_kernelINS0_14default_configENS1_27upper_bound_config_selectorIfiEEZNS1_14transform_implILb0ES3_S5_N6thrust23THRUST_200600_302600_NS6detail15normal_iteratorINS8_10device_ptrIfEEEENSA_INSB_IiEEEEZNS1_13binary_searchIS3_S5_SD_SD_SF_NS1_21upper_bound_search_opENS9_16wrapped_functionINS0_4lessIvEEbEEEE10hipError_tPvRmT1_T2_T3_mmT4_T5_P12ihipStream_tbEUlRKfE_EESM_SQ_SR_mSS_SV_bEUlT_E_NS1_11comp_targetILNS1_3genE8ELNS1_11target_archE1030ELNS1_3gpuE2ELNS1_3repE0EEENS1_30default_config_static_selectorELNS0_4arch9wavefront6targetE0EEEvSP_, .Lfunc_end347-_ZN7rocprim17ROCPRIM_400000_NS6detail17trampoline_kernelINS0_14default_configENS1_27upper_bound_config_selectorIfiEEZNS1_14transform_implILb0ES3_S5_N6thrust23THRUST_200600_302600_NS6detail15normal_iteratorINS8_10device_ptrIfEEEENSA_INSB_IiEEEEZNS1_13binary_searchIS3_S5_SD_SD_SF_NS1_21upper_bound_search_opENS9_16wrapped_functionINS0_4lessIvEEbEEEE10hipError_tPvRmT1_T2_T3_mmT4_T5_P12ihipStream_tbEUlRKfE_EESM_SQ_SR_mSS_SV_bEUlT_E_NS1_11comp_targetILNS1_3genE8ELNS1_11target_archE1030ELNS1_3gpuE2ELNS1_3repE0EEENS1_30default_config_static_selectorELNS0_4arch9wavefront6targetE0EEEvSP_
                                        ; -- End function
	.section	.AMDGPU.csdata,"",@progbits
; Kernel info:
; codeLenInByte = 0
; NumSgprs: 0
; NumVgprs: 0
; ScratchSize: 0
; MemoryBound: 0
; FloatMode: 240
; IeeeMode: 1
; LDSByteSize: 0 bytes/workgroup (compile time only)
; SGPRBlocks: 0
; VGPRBlocks: 0
; NumSGPRsForWavesPerEU: 1
; NumVGPRsForWavesPerEU: 1
; Occupancy: 16
; WaveLimiterHint : 0
; COMPUTE_PGM_RSRC2:SCRATCH_EN: 0
; COMPUTE_PGM_RSRC2:USER_SGPR: 15
; COMPUTE_PGM_RSRC2:TRAP_HANDLER: 0
; COMPUTE_PGM_RSRC2:TGID_X_EN: 1
; COMPUTE_PGM_RSRC2:TGID_Y_EN: 0
; COMPUTE_PGM_RSRC2:TGID_Z_EN: 0
; COMPUTE_PGM_RSRC2:TIDIG_COMP_CNT: 0
	.section	.text._ZN7rocprim17ROCPRIM_400000_NS6detail17trampoline_kernelINS0_14default_configENS1_27upper_bound_config_selectorIyiEEZNS1_14transform_implILb0ES3_S5_N6thrust23THRUST_200600_302600_NS6detail15normal_iteratorINS8_10device_ptrIyEEEENSA_INSB_IiEEEEZNS1_13binary_searchIS3_S5_SD_SD_SF_NS1_21upper_bound_search_opENS9_16wrapped_functionINS0_4lessIvEEbEEEE10hipError_tPvRmT1_T2_T3_mmT4_T5_P12ihipStream_tbEUlRKyE_EESM_SQ_SR_mSS_SV_bEUlT_E_NS1_11comp_targetILNS1_3genE0ELNS1_11target_archE4294967295ELNS1_3gpuE0ELNS1_3repE0EEENS1_30default_config_static_selectorELNS0_4arch9wavefront6targetE0EEEvSP_,"axG",@progbits,_ZN7rocprim17ROCPRIM_400000_NS6detail17trampoline_kernelINS0_14default_configENS1_27upper_bound_config_selectorIyiEEZNS1_14transform_implILb0ES3_S5_N6thrust23THRUST_200600_302600_NS6detail15normal_iteratorINS8_10device_ptrIyEEEENSA_INSB_IiEEEEZNS1_13binary_searchIS3_S5_SD_SD_SF_NS1_21upper_bound_search_opENS9_16wrapped_functionINS0_4lessIvEEbEEEE10hipError_tPvRmT1_T2_T3_mmT4_T5_P12ihipStream_tbEUlRKyE_EESM_SQ_SR_mSS_SV_bEUlT_E_NS1_11comp_targetILNS1_3genE0ELNS1_11target_archE4294967295ELNS1_3gpuE0ELNS1_3repE0EEENS1_30default_config_static_selectorELNS0_4arch9wavefront6targetE0EEEvSP_,comdat
	.protected	_ZN7rocprim17ROCPRIM_400000_NS6detail17trampoline_kernelINS0_14default_configENS1_27upper_bound_config_selectorIyiEEZNS1_14transform_implILb0ES3_S5_N6thrust23THRUST_200600_302600_NS6detail15normal_iteratorINS8_10device_ptrIyEEEENSA_INSB_IiEEEEZNS1_13binary_searchIS3_S5_SD_SD_SF_NS1_21upper_bound_search_opENS9_16wrapped_functionINS0_4lessIvEEbEEEE10hipError_tPvRmT1_T2_T3_mmT4_T5_P12ihipStream_tbEUlRKyE_EESM_SQ_SR_mSS_SV_bEUlT_E_NS1_11comp_targetILNS1_3genE0ELNS1_11target_archE4294967295ELNS1_3gpuE0ELNS1_3repE0EEENS1_30default_config_static_selectorELNS0_4arch9wavefront6targetE0EEEvSP_ ; -- Begin function _ZN7rocprim17ROCPRIM_400000_NS6detail17trampoline_kernelINS0_14default_configENS1_27upper_bound_config_selectorIyiEEZNS1_14transform_implILb0ES3_S5_N6thrust23THRUST_200600_302600_NS6detail15normal_iteratorINS8_10device_ptrIyEEEENSA_INSB_IiEEEEZNS1_13binary_searchIS3_S5_SD_SD_SF_NS1_21upper_bound_search_opENS9_16wrapped_functionINS0_4lessIvEEbEEEE10hipError_tPvRmT1_T2_T3_mmT4_T5_P12ihipStream_tbEUlRKyE_EESM_SQ_SR_mSS_SV_bEUlT_E_NS1_11comp_targetILNS1_3genE0ELNS1_11target_archE4294967295ELNS1_3gpuE0ELNS1_3repE0EEENS1_30default_config_static_selectorELNS0_4arch9wavefront6targetE0EEEvSP_
	.globl	_ZN7rocprim17ROCPRIM_400000_NS6detail17trampoline_kernelINS0_14default_configENS1_27upper_bound_config_selectorIyiEEZNS1_14transform_implILb0ES3_S5_N6thrust23THRUST_200600_302600_NS6detail15normal_iteratorINS8_10device_ptrIyEEEENSA_INSB_IiEEEEZNS1_13binary_searchIS3_S5_SD_SD_SF_NS1_21upper_bound_search_opENS9_16wrapped_functionINS0_4lessIvEEbEEEE10hipError_tPvRmT1_T2_T3_mmT4_T5_P12ihipStream_tbEUlRKyE_EESM_SQ_SR_mSS_SV_bEUlT_E_NS1_11comp_targetILNS1_3genE0ELNS1_11target_archE4294967295ELNS1_3gpuE0ELNS1_3repE0EEENS1_30default_config_static_selectorELNS0_4arch9wavefront6targetE0EEEvSP_
	.p2align	8
	.type	_ZN7rocprim17ROCPRIM_400000_NS6detail17trampoline_kernelINS0_14default_configENS1_27upper_bound_config_selectorIyiEEZNS1_14transform_implILb0ES3_S5_N6thrust23THRUST_200600_302600_NS6detail15normal_iteratorINS8_10device_ptrIyEEEENSA_INSB_IiEEEEZNS1_13binary_searchIS3_S5_SD_SD_SF_NS1_21upper_bound_search_opENS9_16wrapped_functionINS0_4lessIvEEbEEEE10hipError_tPvRmT1_T2_T3_mmT4_T5_P12ihipStream_tbEUlRKyE_EESM_SQ_SR_mSS_SV_bEUlT_E_NS1_11comp_targetILNS1_3genE0ELNS1_11target_archE4294967295ELNS1_3gpuE0ELNS1_3repE0EEENS1_30default_config_static_selectorELNS0_4arch9wavefront6targetE0EEEvSP_,@function
_ZN7rocprim17ROCPRIM_400000_NS6detail17trampoline_kernelINS0_14default_configENS1_27upper_bound_config_selectorIyiEEZNS1_14transform_implILb0ES3_S5_N6thrust23THRUST_200600_302600_NS6detail15normal_iteratorINS8_10device_ptrIyEEEENSA_INSB_IiEEEEZNS1_13binary_searchIS3_S5_SD_SD_SF_NS1_21upper_bound_search_opENS9_16wrapped_functionINS0_4lessIvEEbEEEE10hipError_tPvRmT1_T2_T3_mmT4_T5_P12ihipStream_tbEUlRKyE_EESM_SQ_SR_mSS_SV_bEUlT_E_NS1_11comp_targetILNS1_3genE0ELNS1_11target_archE4294967295ELNS1_3gpuE0ELNS1_3repE0EEENS1_30default_config_static_selectorELNS0_4arch9wavefront6targetE0EEEvSP_: ; @_ZN7rocprim17ROCPRIM_400000_NS6detail17trampoline_kernelINS0_14default_configENS1_27upper_bound_config_selectorIyiEEZNS1_14transform_implILb0ES3_S5_N6thrust23THRUST_200600_302600_NS6detail15normal_iteratorINS8_10device_ptrIyEEEENSA_INSB_IiEEEEZNS1_13binary_searchIS3_S5_SD_SD_SF_NS1_21upper_bound_search_opENS9_16wrapped_functionINS0_4lessIvEEbEEEE10hipError_tPvRmT1_T2_T3_mmT4_T5_P12ihipStream_tbEUlRKyE_EESM_SQ_SR_mSS_SV_bEUlT_E_NS1_11comp_targetILNS1_3genE0ELNS1_11target_archE4294967295ELNS1_3gpuE0ELNS1_3repE0EEENS1_30default_config_static_selectorELNS0_4arch9wavefront6targetE0EEEvSP_
; %bb.0:
	.section	.rodata,"a",@progbits
	.p2align	6, 0x0
	.amdhsa_kernel _ZN7rocprim17ROCPRIM_400000_NS6detail17trampoline_kernelINS0_14default_configENS1_27upper_bound_config_selectorIyiEEZNS1_14transform_implILb0ES3_S5_N6thrust23THRUST_200600_302600_NS6detail15normal_iteratorINS8_10device_ptrIyEEEENSA_INSB_IiEEEEZNS1_13binary_searchIS3_S5_SD_SD_SF_NS1_21upper_bound_search_opENS9_16wrapped_functionINS0_4lessIvEEbEEEE10hipError_tPvRmT1_T2_T3_mmT4_T5_P12ihipStream_tbEUlRKyE_EESM_SQ_SR_mSS_SV_bEUlT_E_NS1_11comp_targetILNS1_3genE0ELNS1_11target_archE4294967295ELNS1_3gpuE0ELNS1_3repE0EEENS1_30default_config_static_selectorELNS0_4arch9wavefront6targetE0EEEvSP_
		.amdhsa_group_segment_fixed_size 0
		.amdhsa_private_segment_fixed_size 0
		.amdhsa_kernarg_size 56
		.amdhsa_user_sgpr_count 15
		.amdhsa_user_sgpr_dispatch_ptr 0
		.amdhsa_user_sgpr_queue_ptr 0
		.amdhsa_user_sgpr_kernarg_segment_ptr 1
		.amdhsa_user_sgpr_dispatch_id 0
		.amdhsa_user_sgpr_private_segment_size 0
		.amdhsa_wavefront_size32 1
		.amdhsa_uses_dynamic_stack 0
		.amdhsa_enable_private_segment 0
		.amdhsa_system_sgpr_workgroup_id_x 1
		.amdhsa_system_sgpr_workgroup_id_y 0
		.amdhsa_system_sgpr_workgroup_id_z 0
		.amdhsa_system_sgpr_workgroup_info 0
		.amdhsa_system_vgpr_workitem_id 0
		.amdhsa_next_free_vgpr 1
		.amdhsa_next_free_sgpr 1
		.amdhsa_reserve_vcc 0
		.amdhsa_float_round_mode_32 0
		.amdhsa_float_round_mode_16_64 0
		.amdhsa_float_denorm_mode_32 3
		.amdhsa_float_denorm_mode_16_64 3
		.amdhsa_dx10_clamp 1
		.amdhsa_ieee_mode 1
		.amdhsa_fp16_overflow 0
		.amdhsa_workgroup_processor_mode 1
		.amdhsa_memory_ordered 1
		.amdhsa_forward_progress 0
		.amdhsa_shared_vgpr_count 0
		.amdhsa_exception_fp_ieee_invalid_op 0
		.amdhsa_exception_fp_denorm_src 0
		.amdhsa_exception_fp_ieee_div_zero 0
		.amdhsa_exception_fp_ieee_overflow 0
		.amdhsa_exception_fp_ieee_underflow 0
		.amdhsa_exception_fp_ieee_inexact 0
		.amdhsa_exception_int_div_zero 0
	.end_amdhsa_kernel
	.section	.text._ZN7rocprim17ROCPRIM_400000_NS6detail17trampoline_kernelINS0_14default_configENS1_27upper_bound_config_selectorIyiEEZNS1_14transform_implILb0ES3_S5_N6thrust23THRUST_200600_302600_NS6detail15normal_iteratorINS8_10device_ptrIyEEEENSA_INSB_IiEEEEZNS1_13binary_searchIS3_S5_SD_SD_SF_NS1_21upper_bound_search_opENS9_16wrapped_functionINS0_4lessIvEEbEEEE10hipError_tPvRmT1_T2_T3_mmT4_T5_P12ihipStream_tbEUlRKyE_EESM_SQ_SR_mSS_SV_bEUlT_E_NS1_11comp_targetILNS1_3genE0ELNS1_11target_archE4294967295ELNS1_3gpuE0ELNS1_3repE0EEENS1_30default_config_static_selectorELNS0_4arch9wavefront6targetE0EEEvSP_,"axG",@progbits,_ZN7rocprim17ROCPRIM_400000_NS6detail17trampoline_kernelINS0_14default_configENS1_27upper_bound_config_selectorIyiEEZNS1_14transform_implILb0ES3_S5_N6thrust23THRUST_200600_302600_NS6detail15normal_iteratorINS8_10device_ptrIyEEEENSA_INSB_IiEEEEZNS1_13binary_searchIS3_S5_SD_SD_SF_NS1_21upper_bound_search_opENS9_16wrapped_functionINS0_4lessIvEEbEEEE10hipError_tPvRmT1_T2_T3_mmT4_T5_P12ihipStream_tbEUlRKyE_EESM_SQ_SR_mSS_SV_bEUlT_E_NS1_11comp_targetILNS1_3genE0ELNS1_11target_archE4294967295ELNS1_3gpuE0ELNS1_3repE0EEENS1_30default_config_static_selectorELNS0_4arch9wavefront6targetE0EEEvSP_,comdat
.Lfunc_end348:
	.size	_ZN7rocprim17ROCPRIM_400000_NS6detail17trampoline_kernelINS0_14default_configENS1_27upper_bound_config_selectorIyiEEZNS1_14transform_implILb0ES3_S5_N6thrust23THRUST_200600_302600_NS6detail15normal_iteratorINS8_10device_ptrIyEEEENSA_INSB_IiEEEEZNS1_13binary_searchIS3_S5_SD_SD_SF_NS1_21upper_bound_search_opENS9_16wrapped_functionINS0_4lessIvEEbEEEE10hipError_tPvRmT1_T2_T3_mmT4_T5_P12ihipStream_tbEUlRKyE_EESM_SQ_SR_mSS_SV_bEUlT_E_NS1_11comp_targetILNS1_3genE0ELNS1_11target_archE4294967295ELNS1_3gpuE0ELNS1_3repE0EEENS1_30default_config_static_selectorELNS0_4arch9wavefront6targetE0EEEvSP_, .Lfunc_end348-_ZN7rocprim17ROCPRIM_400000_NS6detail17trampoline_kernelINS0_14default_configENS1_27upper_bound_config_selectorIyiEEZNS1_14transform_implILb0ES3_S5_N6thrust23THRUST_200600_302600_NS6detail15normal_iteratorINS8_10device_ptrIyEEEENSA_INSB_IiEEEEZNS1_13binary_searchIS3_S5_SD_SD_SF_NS1_21upper_bound_search_opENS9_16wrapped_functionINS0_4lessIvEEbEEEE10hipError_tPvRmT1_T2_T3_mmT4_T5_P12ihipStream_tbEUlRKyE_EESM_SQ_SR_mSS_SV_bEUlT_E_NS1_11comp_targetILNS1_3genE0ELNS1_11target_archE4294967295ELNS1_3gpuE0ELNS1_3repE0EEENS1_30default_config_static_selectorELNS0_4arch9wavefront6targetE0EEEvSP_
                                        ; -- End function
	.section	.AMDGPU.csdata,"",@progbits
; Kernel info:
; codeLenInByte = 0
; NumSgprs: 0
; NumVgprs: 0
; ScratchSize: 0
; MemoryBound: 0
; FloatMode: 240
; IeeeMode: 1
; LDSByteSize: 0 bytes/workgroup (compile time only)
; SGPRBlocks: 0
; VGPRBlocks: 0
; NumSGPRsForWavesPerEU: 1
; NumVGPRsForWavesPerEU: 1
; Occupancy: 16
; WaveLimiterHint : 0
; COMPUTE_PGM_RSRC2:SCRATCH_EN: 0
; COMPUTE_PGM_RSRC2:USER_SGPR: 15
; COMPUTE_PGM_RSRC2:TRAP_HANDLER: 0
; COMPUTE_PGM_RSRC2:TGID_X_EN: 1
; COMPUTE_PGM_RSRC2:TGID_Y_EN: 0
; COMPUTE_PGM_RSRC2:TGID_Z_EN: 0
; COMPUTE_PGM_RSRC2:TIDIG_COMP_CNT: 0
	.section	.text._ZN7rocprim17ROCPRIM_400000_NS6detail17trampoline_kernelINS0_14default_configENS1_27upper_bound_config_selectorIyiEEZNS1_14transform_implILb0ES3_S5_N6thrust23THRUST_200600_302600_NS6detail15normal_iteratorINS8_10device_ptrIyEEEENSA_INSB_IiEEEEZNS1_13binary_searchIS3_S5_SD_SD_SF_NS1_21upper_bound_search_opENS9_16wrapped_functionINS0_4lessIvEEbEEEE10hipError_tPvRmT1_T2_T3_mmT4_T5_P12ihipStream_tbEUlRKyE_EESM_SQ_SR_mSS_SV_bEUlT_E_NS1_11comp_targetILNS1_3genE5ELNS1_11target_archE942ELNS1_3gpuE9ELNS1_3repE0EEENS1_30default_config_static_selectorELNS0_4arch9wavefront6targetE0EEEvSP_,"axG",@progbits,_ZN7rocprim17ROCPRIM_400000_NS6detail17trampoline_kernelINS0_14default_configENS1_27upper_bound_config_selectorIyiEEZNS1_14transform_implILb0ES3_S5_N6thrust23THRUST_200600_302600_NS6detail15normal_iteratorINS8_10device_ptrIyEEEENSA_INSB_IiEEEEZNS1_13binary_searchIS3_S5_SD_SD_SF_NS1_21upper_bound_search_opENS9_16wrapped_functionINS0_4lessIvEEbEEEE10hipError_tPvRmT1_T2_T3_mmT4_T5_P12ihipStream_tbEUlRKyE_EESM_SQ_SR_mSS_SV_bEUlT_E_NS1_11comp_targetILNS1_3genE5ELNS1_11target_archE942ELNS1_3gpuE9ELNS1_3repE0EEENS1_30default_config_static_selectorELNS0_4arch9wavefront6targetE0EEEvSP_,comdat
	.protected	_ZN7rocprim17ROCPRIM_400000_NS6detail17trampoline_kernelINS0_14default_configENS1_27upper_bound_config_selectorIyiEEZNS1_14transform_implILb0ES3_S5_N6thrust23THRUST_200600_302600_NS6detail15normal_iteratorINS8_10device_ptrIyEEEENSA_INSB_IiEEEEZNS1_13binary_searchIS3_S5_SD_SD_SF_NS1_21upper_bound_search_opENS9_16wrapped_functionINS0_4lessIvEEbEEEE10hipError_tPvRmT1_T2_T3_mmT4_T5_P12ihipStream_tbEUlRKyE_EESM_SQ_SR_mSS_SV_bEUlT_E_NS1_11comp_targetILNS1_3genE5ELNS1_11target_archE942ELNS1_3gpuE9ELNS1_3repE0EEENS1_30default_config_static_selectorELNS0_4arch9wavefront6targetE0EEEvSP_ ; -- Begin function _ZN7rocprim17ROCPRIM_400000_NS6detail17trampoline_kernelINS0_14default_configENS1_27upper_bound_config_selectorIyiEEZNS1_14transform_implILb0ES3_S5_N6thrust23THRUST_200600_302600_NS6detail15normal_iteratorINS8_10device_ptrIyEEEENSA_INSB_IiEEEEZNS1_13binary_searchIS3_S5_SD_SD_SF_NS1_21upper_bound_search_opENS9_16wrapped_functionINS0_4lessIvEEbEEEE10hipError_tPvRmT1_T2_T3_mmT4_T5_P12ihipStream_tbEUlRKyE_EESM_SQ_SR_mSS_SV_bEUlT_E_NS1_11comp_targetILNS1_3genE5ELNS1_11target_archE942ELNS1_3gpuE9ELNS1_3repE0EEENS1_30default_config_static_selectorELNS0_4arch9wavefront6targetE0EEEvSP_
	.globl	_ZN7rocprim17ROCPRIM_400000_NS6detail17trampoline_kernelINS0_14default_configENS1_27upper_bound_config_selectorIyiEEZNS1_14transform_implILb0ES3_S5_N6thrust23THRUST_200600_302600_NS6detail15normal_iteratorINS8_10device_ptrIyEEEENSA_INSB_IiEEEEZNS1_13binary_searchIS3_S5_SD_SD_SF_NS1_21upper_bound_search_opENS9_16wrapped_functionINS0_4lessIvEEbEEEE10hipError_tPvRmT1_T2_T3_mmT4_T5_P12ihipStream_tbEUlRKyE_EESM_SQ_SR_mSS_SV_bEUlT_E_NS1_11comp_targetILNS1_3genE5ELNS1_11target_archE942ELNS1_3gpuE9ELNS1_3repE0EEENS1_30default_config_static_selectorELNS0_4arch9wavefront6targetE0EEEvSP_
	.p2align	8
	.type	_ZN7rocprim17ROCPRIM_400000_NS6detail17trampoline_kernelINS0_14default_configENS1_27upper_bound_config_selectorIyiEEZNS1_14transform_implILb0ES3_S5_N6thrust23THRUST_200600_302600_NS6detail15normal_iteratorINS8_10device_ptrIyEEEENSA_INSB_IiEEEEZNS1_13binary_searchIS3_S5_SD_SD_SF_NS1_21upper_bound_search_opENS9_16wrapped_functionINS0_4lessIvEEbEEEE10hipError_tPvRmT1_T2_T3_mmT4_T5_P12ihipStream_tbEUlRKyE_EESM_SQ_SR_mSS_SV_bEUlT_E_NS1_11comp_targetILNS1_3genE5ELNS1_11target_archE942ELNS1_3gpuE9ELNS1_3repE0EEENS1_30default_config_static_selectorELNS0_4arch9wavefront6targetE0EEEvSP_,@function
_ZN7rocprim17ROCPRIM_400000_NS6detail17trampoline_kernelINS0_14default_configENS1_27upper_bound_config_selectorIyiEEZNS1_14transform_implILb0ES3_S5_N6thrust23THRUST_200600_302600_NS6detail15normal_iteratorINS8_10device_ptrIyEEEENSA_INSB_IiEEEEZNS1_13binary_searchIS3_S5_SD_SD_SF_NS1_21upper_bound_search_opENS9_16wrapped_functionINS0_4lessIvEEbEEEE10hipError_tPvRmT1_T2_T3_mmT4_T5_P12ihipStream_tbEUlRKyE_EESM_SQ_SR_mSS_SV_bEUlT_E_NS1_11comp_targetILNS1_3genE5ELNS1_11target_archE942ELNS1_3gpuE9ELNS1_3repE0EEENS1_30default_config_static_selectorELNS0_4arch9wavefront6targetE0EEEvSP_: ; @_ZN7rocprim17ROCPRIM_400000_NS6detail17trampoline_kernelINS0_14default_configENS1_27upper_bound_config_selectorIyiEEZNS1_14transform_implILb0ES3_S5_N6thrust23THRUST_200600_302600_NS6detail15normal_iteratorINS8_10device_ptrIyEEEENSA_INSB_IiEEEEZNS1_13binary_searchIS3_S5_SD_SD_SF_NS1_21upper_bound_search_opENS9_16wrapped_functionINS0_4lessIvEEbEEEE10hipError_tPvRmT1_T2_T3_mmT4_T5_P12ihipStream_tbEUlRKyE_EESM_SQ_SR_mSS_SV_bEUlT_E_NS1_11comp_targetILNS1_3genE5ELNS1_11target_archE942ELNS1_3gpuE9ELNS1_3repE0EEENS1_30default_config_static_selectorELNS0_4arch9wavefront6targetE0EEEvSP_
; %bb.0:
	.section	.rodata,"a",@progbits
	.p2align	6, 0x0
	.amdhsa_kernel _ZN7rocprim17ROCPRIM_400000_NS6detail17trampoline_kernelINS0_14default_configENS1_27upper_bound_config_selectorIyiEEZNS1_14transform_implILb0ES3_S5_N6thrust23THRUST_200600_302600_NS6detail15normal_iteratorINS8_10device_ptrIyEEEENSA_INSB_IiEEEEZNS1_13binary_searchIS3_S5_SD_SD_SF_NS1_21upper_bound_search_opENS9_16wrapped_functionINS0_4lessIvEEbEEEE10hipError_tPvRmT1_T2_T3_mmT4_T5_P12ihipStream_tbEUlRKyE_EESM_SQ_SR_mSS_SV_bEUlT_E_NS1_11comp_targetILNS1_3genE5ELNS1_11target_archE942ELNS1_3gpuE9ELNS1_3repE0EEENS1_30default_config_static_selectorELNS0_4arch9wavefront6targetE0EEEvSP_
		.amdhsa_group_segment_fixed_size 0
		.amdhsa_private_segment_fixed_size 0
		.amdhsa_kernarg_size 56
		.amdhsa_user_sgpr_count 15
		.amdhsa_user_sgpr_dispatch_ptr 0
		.amdhsa_user_sgpr_queue_ptr 0
		.amdhsa_user_sgpr_kernarg_segment_ptr 1
		.amdhsa_user_sgpr_dispatch_id 0
		.amdhsa_user_sgpr_private_segment_size 0
		.amdhsa_wavefront_size32 1
		.amdhsa_uses_dynamic_stack 0
		.amdhsa_enable_private_segment 0
		.amdhsa_system_sgpr_workgroup_id_x 1
		.amdhsa_system_sgpr_workgroup_id_y 0
		.amdhsa_system_sgpr_workgroup_id_z 0
		.amdhsa_system_sgpr_workgroup_info 0
		.amdhsa_system_vgpr_workitem_id 0
		.amdhsa_next_free_vgpr 1
		.amdhsa_next_free_sgpr 1
		.amdhsa_reserve_vcc 0
		.amdhsa_float_round_mode_32 0
		.amdhsa_float_round_mode_16_64 0
		.amdhsa_float_denorm_mode_32 3
		.amdhsa_float_denorm_mode_16_64 3
		.amdhsa_dx10_clamp 1
		.amdhsa_ieee_mode 1
		.amdhsa_fp16_overflow 0
		.amdhsa_workgroup_processor_mode 1
		.amdhsa_memory_ordered 1
		.amdhsa_forward_progress 0
		.amdhsa_shared_vgpr_count 0
		.amdhsa_exception_fp_ieee_invalid_op 0
		.amdhsa_exception_fp_denorm_src 0
		.amdhsa_exception_fp_ieee_div_zero 0
		.amdhsa_exception_fp_ieee_overflow 0
		.amdhsa_exception_fp_ieee_underflow 0
		.amdhsa_exception_fp_ieee_inexact 0
		.amdhsa_exception_int_div_zero 0
	.end_amdhsa_kernel
	.section	.text._ZN7rocprim17ROCPRIM_400000_NS6detail17trampoline_kernelINS0_14default_configENS1_27upper_bound_config_selectorIyiEEZNS1_14transform_implILb0ES3_S5_N6thrust23THRUST_200600_302600_NS6detail15normal_iteratorINS8_10device_ptrIyEEEENSA_INSB_IiEEEEZNS1_13binary_searchIS3_S5_SD_SD_SF_NS1_21upper_bound_search_opENS9_16wrapped_functionINS0_4lessIvEEbEEEE10hipError_tPvRmT1_T2_T3_mmT4_T5_P12ihipStream_tbEUlRKyE_EESM_SQ_SR_mSS_SV_bEUlT_E_NS1_11comp_targetILNS1_3genE5ELNS1_11target_archE942ELNS1_3gpuE9ELNS1_3repE0EEENS1_30default_config_static_selectorELNS0_4arch9wavefront6targetE0EEEvSP_,"axG",@progbits,_ZN7rocprim17ROCPRIM_400000_NS6detail17trampoline_kernelINS0_14default_configENS1_27upper_bound_config_selectorIyiEEZNS1_14transform_implILb0ES3_S5_N6thrust23THRUST_200600_302600_NS6detail15normal_iteratorINS8_10device_ptrIyEEEENSA_INSB_IiEEEEZNS1_13binary_searchIS3_S5_SD_SD_SF_NS1_21upper_bound_search_opENS9_16wrapped_functionINS0_4lessIvEEbEEEE10hipError_tPvRmT1_T2_T3_mmT4_T5_P12ihipStream_tbEUlRKyE_EESM_SQ_SR_mSS_SV_bEUlT_E_NS1_11comp_targetILNS1_3genE5ELNS1_11target_archE942ELNS1_3gpuE9ELNS1_3repE0EEENS1_30default_config_static_selectorELNS0_4arch9wavefront6targetE0EEEvSP_,comdat
.Lfunc_end349:
	.size	_ZN7rocprim17ROCPRIM_400000_NS6detail17trampoline_kernelINS0_14default_configENS1_27upper_bound_config_selectorIyiEEZNS1_14transform_implILb0ES3_S5_N6thrust23THRUST_200600_302600_NS6detail15normal_iteratorINS8_10device_ptrIyEEEENSA_INSB_IiEEEEZNS1_13binary_searchIS3_S5_SD_SD_SF_NS1_21upper_bound_search_opENS9_16wrapped_functionINS0_4lessIvEEbEEEE10hipError_tPvRmT1_T2_T3_mmT4_T5_P12ihipStream_tbEUlRKyE_EESM_SQ_SR_mSS_SV_bEUlT_E_NS1_11comp_targetILNS1_3genE5ELNS1_11target_archE942ELNS1_3gpuE9ELNS1_3repE0EEENS1_30default_config_static_selectorELNS0_4arch9wavefront6targetE0EEEvSP_, .Lfunc_end349-_ZN7rocprim17ROCPRIM_400000_NS6detail17trampoline_kernelINS0_14default_configENS1_27upper_bound_config_selectorIyiEEZNS1_14transform_implILb0ES3_S5_N6thrust23THRUST_200600_302600_NS6detail15normal_iteratorINS8_10device_ptrIyEEEENSA_INSB_IiEEEEZNS1_13binary_searchIS3_S5_SD_SD_SF_NS1_21upper_bound_search_opENS9_16wrapped_functionINS0_4lessIvEEbEEEE10hipError_tPvRmT1_T2_T3_mmT4_T5_P12ihipStream_tbEUlRKyE_EESM_SQ_SR_mSS_SV_bEUlT_E_NS1_11comp_targetILNS1_3genE5ELNS1_11target_archE942ELNS1_3gpuE9ELNS1_3repE0EEENS1_30default_config_static_selectorELNS0_4arch9wavefront6targetE0EEEvSP_
                                        ; -- End function
	.section	.AMDGPU.csdata,"",@progbits
; Kernel info:
; codeLenInByte = 0
; NumSgprs: 0
; NumVgprs: 0
; ScratchSize: 0
; MemoryBound: 0
; FloatMode: 240
; IeeeMode: 1
; LDSByteSize: 0 bytes/workgroup (compile time only)
; SGPRBlocks: 0
; VGPRBlocks: 0
; NumSGPRsForWavesPerEU: 1
; NumVGPRsForWavesPerEU: 1
; Occupancy: 16
; WaveLimiterHint : 0
; COMPUTE_PGM_RSRC2:SCRATCH_EN: 0
; COMPUTE_PGM_RSRC2:USER_SGPR: 15
; COMPUTE_PGM_RSRC2:TRAP_HANDLER: 0
; COMPUTE_PGM_RSRC2:TGID_X_EN: 1
; COMPUTE_PGM_RSRC2:TGID_Y_EN: 0
; COMPUTE_PGM_RSRC2:TGID_Z_EN: 0
; COMPUTE_PGM_RSRC2:TIDIG_COMP_CNT: 0
	.section	.text._ZN7rocprim17ROCPRIM_400000_NS6detail17trampoline_kernelINS0_14default_configENS1_27upper_bound_config_selectorIyiEEZNS1_14transform_implILb0ES3_S5_N6thrust23THRUST_200600_302600_NS6detail15normal_iteratorINS8_10device_ptrIyEEEENSA_INSB_IiEEEEZNS1_13binary_searchIS3_S5_SD_SD_SF_NS1_21upper_bound_search_opENS9_16wrapped_functionINS0_4lessIvEEbEEEE10hipError_tPvRmT1_T2_T3_mmT4_T5_P12ihipStream_tbEUlRKyE_EESM_SQ_SR_mSS_SV_bEUlT_E_NS1_11comp_targetILNS1_3genE4ELNS1_11target_archE910ELNS1_3gpuE8ELNS1_3repE0EEENS1_30default_config_static_selectorELNS0_4arch9wavefront6targetE0EEEvSP_,"axG",@progbits,_ZN7rocprim17ROCPRIM_400000_NS6detail17trampoline_kernelINS0_14default_configENS1_27upper_bound_config_selectorIyiEEZNS1_14transform_implILb0ES3_S5_N6thrust23THRUST_200600_302600_NS6detail15normal_iteratorINS8_10device_ptrIyEEEENSA_INSB_IiEEEEZNS1_13binary_searchIS3_S5_SD_SD_SF_NS1_21upper_bound_search_opENS9_16wrapped_functionINS0_4lessIvEEbEEEE10hipError_tPvRmT1_T2_T3_mmT4_T5_P12ihipStream_tbEUlRKyE_EESM_SQ_SR_mSS_SV_bEUlT_E_NS1_11comp_targetILNS1_3genE4ELNS1_11target_archE910ELNS1_3gpuE8ELNS1_3repE0EEENS1_30default_config_static_selectorELNS0_4arch9wavefront6targetE0EEEvSP_,comdat
	.protected	_ZN7rocprim17ROCPRIM_400000_NS6detail17trampoline_kernelINS0_14default_configENS1_27upper_bound_config_selectorIyiEEZNS1_14transform_implILb0ES3_S5_N6thrust23THRUST_200600_302600_NS6detail15normal_iteratorINS8_10device_ptrIyEEEENSA_INSB_IiEEEEZNS1_13binary_searchIS3_S5_SD_SD_SF_NS1_21upper_bound_search_opENS9_16wrapped_functionINS0_4lessIvEEbEEEE10hipError_tPvRmT1_T2_T3_mmT4_T5_P12ihipStream_tbEUlRKyE_EESM_SQ_SR_mSS_SV_bEUlT_E_NS1_11comp_targetILNS1_3genE4ELNS1_11target_archE910ELNS1_3gpuE8ELNS1_3repE0EEENS1_30default_config_static_selectorELNS0_4arch9wavefront6targetE0EEEvSP_ ; -- Begin function _ZN7rocprim17ROCPRIM_400000_NS6detail17trampoline_kernelINS0_14default_configENS1_27upper_bound_config_selectorIyiEEZNS1_14transform_implILb0ES3_S5_N6thrust23THRUST_200600_302600_NS6detail15normal_iteratorINS8_10device_ptrIyEEEENSA_INSB_IiEEEEZNS1_13binary_searchIS3_S5_SD_SD_SF_NS1_21upper_bound_search_opENS9_16wrapped_functionINS0_4lessIvEEbEEEE10hipError_tPvRmT1_T2_T3_mmT4_T5_P12ihipStream_tbEUlRKyE_EESM_SQ_SR_mSS_SV_bEUlT_E_NS1_11comp_targetILNS1_3genE4ELNS1_11target_archE910ELNS1_3gpuE8ELNS1_3repE0EEENS1_30default_config_static_selectorELNS0_4arch9wavefront6targetE0EEEvSP_
	.globl	_ZN7rocprim17ROCPRIM_400000_NS6detail17trampoline_kernelINS0_14default_configENS1_27upper_bound_config_selectorIyiEEZNS1_14transform_implILb0ES3_S5_N6thrust23THRUST_200600_302600_NS6detail15normal_iteratorINS8_10device_ptrIyEEEENSA_INSB_IiEEEEZNS1_13binary_searchIS3_S5_SD_SD_SF_NS1_21upper_bound_search_opENS9_16wrapped_functionINS0_4lessIvEEbEEEE10hipError_tPvRmT1_T2_T3_mmT4_T5_P12ihipStream_tbEUlRKyE_EESM_SQ_SR_mSS_SV_bEUlT_E_NS1_11comp_targetILNS1_3genE4ELNS1_11target_archE910ELNS1_3gpuE8ELNS1_3repE0EEENS1_30default_config_static_selectorELNS0_4arch9wavefront6targetE0EEEvSP_
	.p2align	8
	.type	_ZN7rocprim17ROCPRIM_400000_NS6detail17trampoline_kernelINS0_14default_configENS1_27upper_bound_config_selectorIyiEEZNS1_14transform_implILb0ES3_S5_N6thrust23THRUST_200600_302600_NS6detail15normal_iteratorINS8_10device_ptrIyEEEENSA_INSB_IiEEEEZNS1_13binary_searchIS3_S5_SD_SD_SF_NS1_21upper_bound_search_opENS9_16wrapped_functionINS0_4lessIvEEbEEEE10hipError_tPvRmT1_T2_T3_mmT4_T5_P12ihipStream_tbEUlRKyE_EESM_SQ_SR_mSS_SV_bEUlT_E_NS1_11comp_targetILNS1_3genE4ELNS1_11target_archE910ELNS1_3gpuE8ELNS1_3repE0EEENS1_30default_config_static_selectorELNS0_4arch9wavefront6targetE0EEEvSP_,@function
_ZN7rocprim17ROCPRIM_400000_NS6detail17trampoline_kernelINS0_14default_configENS1_27upper_bound_config_selectorIyiEEZNS1_14transform_implILb0ES3_S5_N6thrust23THRUST_200600_302600_NS6detail15normal_iteratorINS8_10device_ptrIyEEEENSA_INSB_IiEEEEZNS1_13binary_searchIS3_S5_SD_SD_SF_NS1_21upper_bound_search_opENS9_16wrapped_functionINS0_4lessIvEEbEEEE10hipError_tPvRmT1_T2_T3_mmT4_T5_P12ihipStream_tbEUlRKyE_EESM_SQ_SR_mSS_SV_bEUlT_E_NS1_11comp_targetILNS1_3genE4ELNS1_11target_archE910ELNS1_3gpuE8ELNS1_3repE0EEENS1_30default_config_static_selectorELNS0_4arch9wavefront6targetE0EEEvSP_: ; @_ZN7rocprim17ROCPRIM_400000_NS6detail17trampoline_kernelINS0_14default_configENS1_27upper_bound_config_selectorIyiEEZNS1_14transform_implILb0ES3_S5_N6thrust23THRUST_200600_302600_NS6detail15normal_iteratorINS8_10device_ptrIyEEEENSA_INSB_IiEEEEZNS1_13binary_searchIS3_S5_SD_SD_SF_NS1_21upper_bound_search_opENS9_16wrapped_functionINS0_4lessIvEEbEEEE10hipError_tPvRmT1_T2_T3_mmT4_T5_P12ihipStream_tbEUlRKyE_EESM_SQ_SR_mSS_SV_bEUlT_E_NS1_11comp_targetILNS1_3genE4ELNS1_11target_archE910ELNS1_3gpuE8ELNS1_3repE0EEENS1_30default_config_static_selectorELNS0_4arch9wavefront6targetE0EEEvSP_
; %bb.0:
	.section	.rodata,"a",@progbits
	.p2align	6, 0x0
	.amdhsa_kernel _ZN7rocprim17ROCPRIM_400000_NS6detail17trampoline_kernelINS0_14default_configENS1_27upper_bound_config_selectorIyiEEZNS1_14transform_implILb0ES3_S5_N6thrust23THRUST_200600_302600_NS6detail15normal_iteratorINS8_10device_ptrIyEEEENSA_INSB_IiEEEEZNS1_13binary_searchIS3_S5_SD_SD_SF_NS1_21upper_bound_search_opENS9_16wrapped_functionINS0_4lessIvEEbEEEE10hipError_tPvRmT1_T2_T3_mmT4_T5_P12ihipStream_tbEUlRKyE_EESM_SQ_SR_mSS_SV_bEUlT_E_NS1_11comp_targetILNS1_3genE4ELNS1_11target_archE910ELNS1_3gpuE8ELNS1_3repE0EEENS1_30default_config_static_selectorELNS0_4arch9wavefront6targetE0EEEvSP_
		.amdhsa_group_segment_fixed_size 0
		.amdhsa_private_segment_fixed_size 0
		.amdhsa_kernarg_size 56
		.amdhsa_user_sgpr_count 15
		.amdhsa_user_sgpr_dispatch_ptr 0
		.amdhsa_user_sgpr_queue_ptr 0
		.amdhsa_user_sgpr_kernarg_segment_ptr 1
		.amdhsa_user_sgpr_dispatch_id 0
		.amdhsa_user_sgpr_private_segment_size 0
		.amdhsa_wavefront_size32 1
		.amdhsa_uses_dynamic_stack 0
		.amdhsa_enable_private_segment 0
		.amdhsa_system_sgpr_workgroup_id_x 1
		.amdhsa_system_sgpr_workgroup_id_y 0
		.amdhsa_system_sgpr_workgroup_id_z 0
		.amdhsa_system_sgpr_workgroup_info 0
		.amdhsa_system_vgpr_workitem_id 0
		.amdhsa_next_free_vgpr 1
		.amdhsa_next_free_sgpr 1
		.amdhsa_reserve_vcc 0
		.amdhsa_float_round_mode_32 0
		.amdhsa_float_round_mode_16_64 0
		.amdhsa_float_denorm_mode_32 3
		.amdhsa_float_denorm_mode_16_64 3
		.amdhsa_dx10_clamp 1
		.amdhsa_ieee_mode 1
		.amdhsa_fp16_overflow 0
		.amdhsa_workgroup_processor_mode 1
		.amdhsa_memory_ordered 1
		.amdhsa_forward_progress 0
		.amdhsa_shared_vgpr_count 0
		.amdhsa_exception_fp_ieee_invalid_op 0
		.amdhsa_exception_fp_denorm_src 0
		.amdhsa_exception_fp_ieee_div_zero 0
		.amdhsa_exception_fp_ieee_overflow 0
		.amdhsa_exception_fp_ieee_underflow 0
		.amdhsa_exception_fp_ieee_inexact 0
		.amdhsa_exception_int_div_zero 0
	.end_amdhsa_kernel
	.section	.text._ZN7rocprim17ROCPRIM_400000_NS6detail17trampoline_kernelINS0_14default_configENS1_27upper_bound_config_selectorIyiEEZNS1_14transform_implILb0ES3_S5_N6thrust23THRUST_200600_302600_NS6detail15normal_iteratorINS8_10device_ptrIyEEEENSA_INSB_IiEEEEZNS1_13binary_searchIS3_S5_SD_SD_SF_NS1_21upper_bound_search_opENS9_16wrapped_functionINS0_4lessIvEEbEEEE10hipError_tPvRmT1_T2_T3_mmT4_T5_P12ihipStream_tbEUlRKyE_EESM_SQ_SR_mSS_SV_bEUlT_E_NS1_11comp_targetILNS1_3genE4ELNS1_11target_archE910ELNS1_3gpuE8ELNS1_3repE0EEENS1_30default_config_static_selectorELNS0_4arch9wavefront6targetE0EEEvSP_,"axG",@progbits,_ZN7rocprim17ROCPRIM_400000_NS6detail17trampoline_kernelINS0_14default_configENS1_27upper_bound_config_selectorIyiEEZNS1_14transform_implILb0ES3_S5_N6thrust23THRUST_200600_302600_NS6detail15normal_iteratorINS8_10device_ptrIyEEEENSA_INSB_IiEEEEZNS1_13binary_searchIS3_S5_SD_SD_SF_NS1_21upper_bound_search_opENS9_16wrapped_functionINS0_4lessIvEEbEEEE10hipError_tPvRmT1_T2_T3_mmT4_T5_P12ihipStream_tbEUlRKyE_EESM_SQ_SR_mSS_SV_bEUlT_E_NS1_11comp_targetILNS1_3genE4ELNS1_11target_archE910ELNS1_3gpuE8ELNS1_3repE0EEENS1_30default_config_static_selectorELNS0_4arch9wavefront6targetE0EEEvSP_,comdat
.Lfunc_end350:
	.size	_ZN7rocprim17ROCPRIM_400000_NS6detail17trampoline_kernelINS0_14default_configENS1_27upper_bound_config_selectorIyiEEZNS1_14transform_implILb0ES3_S5_N6thrust23THRUST_200600_302600_NS6detail15normal_iteratorINS8_10device_ptrIyEEEENSA_INSB_IiEEEEZNS1_13binary_searchIS3_S5_SD_SD_SF_NS1_21upper_bound_search_opENS9_16wrapped_functionINS0_4lessIvEEbEEEE10hipError_tPvRmT1_T2_T3_mmT4_T5_P12ihipStream_tbEUlRKyE_EESM_SQ_SR_mSS_SV_bEUlT_E_NS1_11comp_targetILNS1_3genE4ELNS1_11target_archE910ELNS1_3gpuE8ELNS1_3repE0EEENS1_30default_config_static_selectorELNS0_4arch9wavefront6targetE0EEEvSP_, .Lfunc_end350-_ZN7rocprim17ROCPRIM_400000_NS6detail17trampoline_kernelINS0_14default_configENS1_27upper_bound_config_selectorIyiEEZNS1_14transform_implILb0ES3_S5_N6thrust23THRUST_200600_302600_NS6detail15normal_iteratorINS8_10device_ptrIyEEEENSA_INSB_IiEEEEZNS1_13binary_searchIS3_S5_SD_SD_SF_NS1_21upper_bound_search_opENS9_16wrapped_functionINS0_4lessIvEEbEEEE10hipError_tPvRmT1_T2_T3_mmT4_T5_P12ihipStream_tbEUlRKyE_EESM_SQ_SR_mSS_SV_bEUlT_E_NS1_11comp_targetILNS1_3genE4ELNS1_11target_archE910ELNS1_3gpuE8ELNS1_3repE0EEENS1_30default_config_static_selectorELNS0_4arch9wavefront6targetE0EEEvSP_
                                        ; -- End function
	.section	.AMDGPU.csdata,"",@progbits
; Kernel info:
; codeLenInByte = 0
; NumSgprs: 0
; NumVgprs: 0
; ScratchSize: 0
; MemoryBound: 0
; FloatMode: 240
; IeeeMode: 1
; LDSByteSize: 0 bytes/workgroup (compile time only)
; SGPRBlocks: 0
; VGPRBlocks: 0
; NumSGPRsForWavesPerEU: 1
; NumVGPRsForWavesPerEU: 1
; Occupancy: 16
; WaveLimiterHint : 0
; COMPUTE_PGM_RSRC2:SCRATCH_EN: 0
; COMPUTE_PGM_RSRC2:USER_SGPR: 15
; COMPUTE_PGM_RSRC2:TRAP_HANDLER: 0
; COMPUTE_PGM_RSRC2:TGID_X_EN: 1
; COMPUTE_PGM_RSRC2:TGID_Y_EN: 0
; COMPUTE_PGM_RSRC2:TGID_Z_EN: 0
; COMPUTE_PGM_RSRC2:TIDIG_COMP_CNT: 0
	.section	.text._ZN7rocprim17ROCPRIM_400000_NS6detail17trampoline_kernelINS0_14default_configENS1_27upper_bound_config_selectorIyiEEZNS1_14transform_implILb0ES3_S5_N6thrust23THRUST_200600_302600_NS6detail15normal_iteratorINS8_10device_ptrIyEEEENSA_INSB_IiEEEEZNS1_13binary_searchIS3_S5_SD_SD_SF_NS1_21upper_bound_search_opENS9_16wrapped_functionINS0_4lessIvEEbEEEE10hipError_tPvRmT1_T2_T3_mmT4_T5_P12ihipStream_tbEUlRKyE_EESM_SQ_SR_mSS_SV_bEUlT_E_NS1_11comp_targetILNS1_3genE3ELNS1_11target_archE908ELNS1_3gpuE7ELNS1_3repE0EEENS1_30default_config_static_selectorELNS0_4arch9wavefront6targetE0EEEvSP_,"axG",@progbits,_ZN7rocprim17ROCPRIM_400000_NS6detail17trampoline_kernelINS0_14default_configENS1_27upper_bound_config_selectorIyiEEZNS1_14transform_implILb0ES3_S5_N6thrust23THRUST_200600_302600_NS6detail15normal_iteratorINS8_10device_ptrIyEEEENSA_INSB_IiEEEEZNS1_13binary_searchIS3_S5_SD_SD_SF_NS1_21upper_bound_search_opENS9_16wrapped_functionINS0_4lessIvEEbEEEE10hipError_tPvRmT1_T2_T3_mmT4_T5_P12ihipStream_tbEUlRKyE_EESM_SQ_SR_mSS_SV_bEUlT_E_NS1_11comp_targetILNS1_3genE3ELNS1_11target_archE908ELNS1_3gpuE7ELNS1_3repE0EEENS1_30default_config_static_selectorELNS0_4arch9wavefront6targetE0EEEvSP_,comdat
	.protected	_ZN7rocprim17ROCPRIM_400000_NS6detail17trampoline_kernelINS0_14default_configENS1_27upper_bound_config_selectorIyiEEZNS1_14transform_implILb0ES3_S5_N6thrust23THRUST_200600_302600_NS6detail15normal_iteratorINS8_10device_ptrIyEEEENSA_INSB_IiEEEEZNS1_13binary_searchIS3_S5_SD_SD_SF_NS1_21upper_bound_search_opENS9_16wrapped_functionINS0_4lessIvEEbEEEE10hipError_tPvRmT1_T2_T3_mmT4_T5_P12ihipStream_tbEUlRKyE_EESM_SQ_SR_mSS_SV_bEUlT_E_NS1_11comp_targetILNS1_3genE3ELNS1_11target_archE908ELNS1_3gpuE7ELNS1_3repE0EEENS1_30default_config_static_selectorELNS0_4arch9wavefront6targetE0EEEvSP_ ; -- Begin function _ZN7rocprim17ROCPRIM_400000_NS6detail17trampoline_kernelINS0_14default_configENS1_27upper_bound_config_selectorIyiEEZNS1_14transform_implILb0ES3_S5_N6thrust23THRUST_200600_302600_NS6detail15normal_iteratorINS8_10device_ptrIyEEEENSA_INSB_IiEEEEZNS1_13binary_searchIS3_S5_SD_SD_SF_NS1_21upper_bound_search_opENS9_16wrapped_functionINS0_4lessIvEEbEEEE10hipError_tPvRmT1_T2_T3_mmT4_T5_P12ihipStream_tbEUlRKyE_EESM_SQ_SR_mSS_SV_bEUlT_E_NS1_11comp_targetILNS1_3genE3ELNS1_11target_archE908ELNS1_3gpuE7ELNS1_3repE0EEENS1_30default_config_static_selectorELNS0_4arch9wavefront6targetE0EEEvSP_
	.globl	_ZN7rocprim17ROCPRIM_400000_NS6detail17trampoline_kernelINS0_14default_configENS1_27upper_bound_config_selectorIyiEEZNS1_14transform_implILb0ES3_S5_N6thrust23THRUST_200600_302600_NS6detail15normal_iteratorINS8_10device_ptrIyEEEENSA_INSB_IiEEEEZNS1_13binary_searchIS3_S5_SD_SD_SF_NS1_21upper_bound_search_opENS9_16wrapped_functionINS0_4lessIvEEbEEEE10hipError_tPvRmT1_T2_T3_mmT4_T5_P12ihipStream_tbEUlRKyE_EESM_SQ_SR_mSS_SV_bEUlT_E_NS1_11comp_targetILNS1_3genE3ELNS1_11target_archE908ELNS1_3gpuE7ELNS1_3repE0EEENS1_30default_config_static_selectorELNS0_4arch9wavefront6targetE0EEEvSP_
	.p2align	8
	.type	_ZN7rocprim17ROCPRIM_400000_NS6detail17trampoline_kernelINS0_14default_configENS1_27upper_bound_config_selectorIyiEEZNS1_14transform_implILb0ES3_S5_N6thrust23THRUST_200600_302600_NS6detail15normal_iteratorINS8_10device_ptrIyEEEENSA_INSB_IiEEEEZNS1_13binary_searchIS3_S5_SD_SD_SF_NS1_21upper_bound_search_opENS9_16wrapped_functionINS0_4lessIvEEbEEEE10hipError_tPvRmT1_T2_T3_mmT4_T5_P12ihipStream_tbEUlRKyE_EESM_SQ_SR_mSS_SV_bEUlT_E_NS1_11comp_targetILNS1_3genE3ELNS1_11target_archE908ELNS1_3gpuE7ELNS1_3repE0EEENS1_30default_config_static_selectorELNS0_4arch9wavefront6targetE0EEEvSP_,@function
_ZN7rocprim17ROCPRIM_400000_NS6detail17trampoline_kernelINS0_14default_configENS1_27upper_bound_config_selectorIyiEEZNS1_14transform_implILb0ES3_S5_N6thrust23THRUST_200600_302600_NS6detail15normal_iteratorINS8_10device_ptrIyEEEENSA_INSB_IiEEEEZNS1_13binary_searchIS3_S5_SD_SD_SF_NS1_21upper_bound_search_opENS9_16wrapped_functionINS0_4lessIvEEbEEEE10hipError_tPvRmT1_T2_T3_mmT4_T5_P12ihipStream_tbEUlRKyE_EESM_SQ_SR_mSS_SV_bEUlT_E_NS1_11comp_targetILNS1_3genE3ELNS1_11target_archE908ELNS1_3gpuE7ELNS1_3repE0EEENS1_30default_config_static_selectorELNS0_4arch9wavefront6targetE0EEEvSP_: ; @_ZN7rocprim17ROCPRIM_400000_NS6detail17trampoline_kernelINS0_14default_configENS1_27upper_bound_config_selectorIyiEEZNS1_14transform_implILb0ES3_S5_N6thrust23THRUST_200600_302600_NS6detail15normal_iteratorINS8_10device_ptrIyEEEENSA_INSB_IiEEEEZNS1_13binary_searchIS3_S5_SD_SD_SF_NS1_21upper_bound_search_opENS9_16wrapped_functionINS0_4lessIvEEbEEEE10hipError_tPvRmT1_T2_T3_mmT4_T5_P12ihipStream_tbEUlRKyE_EESM_SQ_SR_mSS_SV_bEUlT_E_NS1_11comp_targetILNS1_3genE3ELNS1_11target_archE908ELNS1_3gpuE7ELNS1_3repE0EEENS1_30default_config_static_selectorELNS0_4arch9wavefront6targetE0EEEvSP_
; %bb.0:
	.section	.rodata,"a",@progbits
	.p2align	6, 0x0
	.amdhsa_kernel _ZN7rocprim17ROCPRIM_400000_NS6detail17trampoline_kernelINS0_14default_configENS1_27upper_bound_config_selectorIyiEEZNS1_14transform_implILb0ES3_S5_N6thrust23THRUST_200600_302600_NS6detail15normal_iteratorINS8_10device_ptrIyEEEENSA_INSB_IiEEEEZNS1_13binary_searchIS3_S5_SD_SD_SF_NS1_21upper_bound_search_opENS9_16wrapped_functionINS0_4lessIvEEbEEEE10hipError_tPvRmT1_T2_T3_mmT4_T5_P12ihipStream_tbEUlRKyE_EESM_SQ_SR_mSS_SV_bEUlT_E_NS1_11comp_targetILNS1_3genE3ELNS1_11target_archE908ELNS1_3gpuE7ELNS1_3repE0EEENS1_30default_config_static_selectorELNS0_4arch9wavefront6targetE0EEEvSP_
		.amdhsa_group_segment_fixed_size 0
		.amdhsa_private_segment_fixed_size 0
		.amdhsa_kernarg_size 56
		.amdhsa_user_sgpr_count 15
		.amdhsa_user_sgpr_dispatch_ptr 0
		.amdhsa_user_sgpr_queue_ptr 0
		.amdhsa_user_sgpr_kernarg_segment_ptr 1
		.amdhsa_user_sgpr_dispatch_id 0
		.amdhsa_user_sgpr_private_segment_size 0
		.amdhsa_wavefront_size32 1
		.amdhsa_uses_dynamic_stack 0
		.amdhsa_enable_private_segment 0
		.amdhsa_system_sgpr_workgroup_id_x 1
		.amdhsa_system_sgpr_workgroup_id_y 0
		.amdhsa_system_sgpr_workgroup_id_z 0
		.amdhsa_system_sgpr_workgroup_info 0
		.amdhsa_system_vgpr_workitem_id 0
		.amdhsa_next_free_vgpr 1
		.amdhsa_next_free_sgpr 1
		.amdhsa_reserve_vcc 0
		.amdhsa_float_round_mode_32 0
		.amdhsa_float_round_mode_16_64 0
		.amdhsa_float_denorm_mode_32 3
		.amdhsa_float_denorm_mode_16_64 3
		.amdhsa_dx10_clamp 1
		.amdhsa_ieee_mode 1
		.amdhsa_fp16_overflow 0
		.amdhsa_workgroup_processor_mode 1
		.amdhsa_memory_ordered 1
		.amdhsa_forward_progress 0
		.amdhsa_shared_vgpr_count 0
		.amdhsa_exception_fp_ieee_invalid_op 0
		.amdhsa_exception_fp_denorm_src 0
		.amdhsa_exception_fp_ieee_div_zero 0
		.amdhsa_exception_fp_ieee_overflow 0
		.amdhsa_exception_fp_ieee_underflow 0
		.amdhsa_exception_fp_ieee_inexact 0
		.amdhsa_exception_int_div_zero 0
	.end_amdhsa_kernel
	.section	.text._ZN7rocprim17ROCPRIM_400000_NS6detail17trampoline_kernelINS0_14default_configENS1_27upper_bound_config_selectorIyiEEZNS1_14transform_implILb0ES3_S5_N6thrust23THRUST_200600_302600_NS6detail15normal_iteratorINS8_10device_ptrIyEEEENSA_INSB_IiEEEEZNS1_13binary_searchIS3_S5_SD_SD_SF_NS1_21upper_bound_search_opENS9_16wrapped_functionINS0_4lessIvEEbEEEE10hipError_tPvRmT1_T2_T3_mmT4_T5_P12ihipStream_tbEUlRKyE_EESM_SQ_SR_mSS_SV_bEUlT_E_NS1_11comp_targetILNS1_3genE3ELNS1_11target_archE908ELNS1_3gpuE7ELNS1_3repE0EEENS1_30default_config_static_selectorELNS0_4arch9wavefront6targetE0EEEvSP_,"axG",@progbits,_ZN7rocprim17ROCPRIM_400000_NS6detail17trampoline_kernelINS0_14default_configENS1_27upper_bound_config_selectorIyiEEZNS1_14transform_implILb0ES3_S5_N6thrust23THRUST_200600_302600_NS6detail15normal_iteratorINS8_10device_ptrIyEEEENSA_INSB_IiEEEEZNS1_13binary_searchIS3_S5_SD_SD_SF_NS1_21upper_bound_search_opENS9_16wrapped_functionINS0_4lessIvEEbEEEE10hipError_tPvRmT1_T2_T3_mmT4_T5_P12ihipStream_tbEUlRKyE_EESM_SQ_SR_mSS_SV_bEUlT_E_NS1_11comp_targetILNS1_3genE3ELNS1_11target_archE908ELNS1_3gpuE7ELNS1_3repE0EEENS1_30default_config_static_selectorELNS0_4arch9wavefront6targetE0EEEvSP_,comdat
.Lfunc_end351:
	.size	_ZN7rocprim17ROCPRIM_400000_NS6detail17trampoline_kernelINS0_14default_configENS1_27upper_bound_config_selectorIyiEEZNS1_14transform_implILb0ES3_S5_N6thrust23THRUST_200600_302600_NS6detail15normal_iteratorINS8_10device_ptrIyEEEENSA_INSB_IiEEEEZNS1_13binary_searchIS3_S5_SD_SD_SF_NS1_21upper_bound_search_opENS9_16wrapped_functionINS0_4lessIvEEbEEEE10hipError_tPvRmT1_T2_T3_mmT4_T5_P12ihipStream_tbEUlRKyE_EESM_SQ_SR_mSS_SV_bEUlT_E_NS1_11comp_targetILNS1_3genE3ELNS1_11target_archE908ELNS1_3gpuE7ELNS1_3repE0EEENS1_30default_config_static_selectorELNS0_4arch9wavefront6targetE0EEEvSP_, .Lfunc_end351-_ZN7rocprim17ROCPRIM_400000_NS6detail17trampoline_kernelINS0_14default_configENS1_27upper_bound_config_selectorIyiEEZNS1_14transform_implILb0ES3_S5_N6thrust23THRUST_200600_302600_NS6detail15normal_iteratorINS8_10device_ptrIyEEEENSA_INSB_IiEEEEZNS1_13binary_searchIS3_S5_SD_SD_SF_NS1_21upper_bound_search_opENS9_16wrapped_functionINS0_4lessIvEEbEEEE10hipError_tPvRmT1_T2_T3_mmT4_T5_P12ihipStream_tbEUlRKyE_EESM_SQ_SR_mSS_SV_bEUlT_E_NS1_11comp_targetILNS1_3genE3ELNS1_11target_archE908ELNS1_3gpuE7ELNS1_3repE0EEENS1_30default_config_static_selectorELNS0_4arch9wavefront6targetE0EEEvSP_
                                        ; -- End function
	.section	.AMDGPU.csdata,"",@progbits
; Kernel info:
; codeLenInByte = 0
; NumSgprs: 0
; NumVgprs: 0
; ScratchSize: 0
; MemoryBound: 0
; FloatMode: 240
; IeeeMode: 1
; LDSByteSize: 0 bytes/workgroup (compile time only)
; SGPRBlocks: 0
; VGPRBlocks: 0
; NumSGPRsForWavesPerEU: 1
; NumVGPRsForWavesPerEU: 1
; Occupancy: 16
; WaveLimiterHint : 0
; COMPUTE_PGM_RSRC2:SCRATCH_EN: 0
; COMPUTE_PGM_RSRC2:USER_SGPR: 15
; COMPUTE_PGM_RSRC2:TRAP_HANDLER: 0
; COMPUTE_PGM_RSRC2:TGID_X_EN: 1
; COMPUTE_PGM_RSRC2:TGID_Y_EN: 0
; COMPUTE_PGM_RSRC2:TGID_Z_EN: 0
; COMPUTE_PGM_RSRC2:TIDIG_COMP_CNT: 0
	.section	.text._ZN7rocprim17ROCPRIM_400000_NS6detail17trampoline_kernelINS0_14default_configENS1_27upper_bound_config_selectorIyiEEZNS1_14transform_implILb0ES3_S5_N6thrust23THRUST_200600_302600_NS6detail15normal_iteratorINS8_10device_ptrIyEEEENSA_INSB_IiEEEEZNS1_13binary_searchIS3_S5_SD_SD_SF_NS1_21upper_bound_search_opENS9_16wrapped_functionINS0_4lessIvEEbEEEE10hipError_tPvRmT1_T2_T3_mmT4_T5_P12ihipStream_tbEUlRKyE_EESM_SQ_SR_mSS_SV_bEUlT_E_NS1_11comp_targetILNS1_3genE2ELNS1_11target_archE906ELNS1_3gpuE6ELNS1_3repE0EEENS1_30default_config_static_selectorELNS0_4arch9wavefront6targetE0EEEvSP_,"axG",@progbits,_ZN7rocprim17ROCPRIM_400000_NS6detail17trampoline_kernelINS0_14default_configENS1_27upper_bound_config_selectorIyiEEZNS1_14transform_implILb0ES3_S5_N6thrust23THRUST_200600_302600_NS6detail15normal_iteratorINS8_10device_ptrIyEEEENSA_INSB_IiEEEEZNS1_13binary_searchIS3_S5_SD_SD_SF_NS1_21upper_bound_search_opENS9_16wrapped_functionINS0_4lessIvEEbEEEE10hipError_tPvRmT1_T2_T3_mmT4_T5_P12ihipStream_tbEUlRKyE_EESM_SQ_SR_mSS_SV_bEUlT_E_NS1_11comp_targetILNS1_3genE2ELNS1_11target_archE906ELNS1_3gpuE6ELNS1_3repE0EEENS1_30default_config_static_selectorELNS0_4arch9wavefront6targetE0EEEvSP_,comdat
	.protected	_ZN7rocprim17ROCPRIM_400000_NS6detail17trampoline_kernelINS0_14default_configENS1_27upper_bound_config_selectorIyiEEZNS1_14transform_implILb0ES3_S5_N6thrust23THRUST_200600_302600_NS6detail15normal_iteratorINS8_10device_ptrIyEEEENSA_INSB_IiEEEEZNS1_13binary_searchIS3_S5_SD_SD_SF_NS1_21upper_bound_search_opENS9_16wrapped_functionINS0_4lessIvEEbEEEE10hipError_tPvRmT1_T2_T3_mmT4_T5_P12ihipStream_tbEUlRKyE_EESM_SQ_SR_mSS_SV_bEUlT_E_NS1_11comp_targetILNS1_3genE2ELNS1_11target_archE906ELNS1_3gpuE6ELNS1_3repE0EEENS1_30default_config_static_selectorELNS0_4arch9wavefront6targetE0EEEvSP_ ; -- Begin function _ZN7rocprim17ROCPRIM_400000_NS6detail17trampoline_kernelINS0_14default_configENS1_27upper_bound_config_selectorIyiEEZNS1_14transform_implILb0ES3_S5_N6thrust23THRUST_200600_302600_NS6detail15normal_iteratorINS8_10device_ptrIyEEEENSA_INSB_IiEEEEZNS1_13binary_searchIS3_S5_SD_SD_SF_NS1_21upper_bound_search_opENS9_16wrapped_functionINS0_4lessIvEEbEEEE10hipError_tPvRmT1_T2_T3_mmT4_T5_P12ihipStream_tbEUlRKyE_EESM_SQ_SR_mSS_SV_bEUlT_E_NS1_11comp_targetILNS1_3genE2ELNS1_11target_archE906ELNS1_3gpuE6ELNS1_3repE0EEENS1_30default_config_static_selectorELNS0_4arch9wavefront6targetE0EEEvSP_
	.globl	_ZN7rocprim17ROCPRIM_400000_NS6detail17trampoline_kernelINS0_14default_configENS1_27upper_bound_config_selectorIyiEEZNS1_14transform_implILb0ES3_S5_N6thrust23THRUST_200600_302600_NS6detail15normal_iteratorINS8_10device_ptrIyEEEENSA_INSB_IiEEEEZNS1_13binary_searchIS3_S5_SD_SD_SF_NS1_21upper_bound_search_opENS9_16wrapped_functionINS0_4lessIvEEbEEEE10hipError_tPvRmT1_T2_T3_mmT4_T5_P12ihipStream_tbEUlRKyE_EESM_SQ_SR_mSS_SV_bEUlT_E_NS1_11comp_targetILNS1_3genE2ELNS1_11target_archE906ELNS1_3gpuE6ELNS1_3repE0EEENS1_30default_config_static_selectorELNS0_4arch9wavefront6targetE0EEEvSP_
	.p2align	8
	.type	_ZN7rocprim17ROCPRIM_400000_NS6detail17trampoline_kernelINS0_14default_configENS1_27upper_bound_config_selectorIyiEEZNS1_14transform_implILb0ES3_S5_N6thrust23THRUST_200600_302600_NS6detail15normal_iteratorINS8_10device_ptrIyEEEENSA_INSB_IiEEEEZNS1_13binary_searchIS3_S5_SD_SD_SF_NS1_21upper_bound_search_opENS9_16wrapped_functionINS0_4lessIvEEbEEEE10hipError_tPvRmT1_T2_T3_mmT4_T5_P12ihipStream_tbEUlRKyE_EESM_SQ_SR_mSS_SV_bEUlT_E_NS1_11comp_targetILNS1_3genE2ELNS1_11target_archE906ELNS1_3gpuE6ELNS1_3repE0EEENS1_30default_config_static_selectorELNS0_4arch9wavefront6targetE0EEEvSP_,@function
_ZN7rocprim17ROCPRIM_400000_NS6detail17trampoline_kernelINS0_14default_configENS1_27upper_bound_config_selectorIyiEEZNS1_14transform_implILb0ES3_S5_N6thrust23THRUST_200600_302600_NS6detail15normal_iteratorINS8_10device_ptrIyEEEENSA_INSB_IiEEEEZNS1_13binary_searchIS3_S5_SD_SD_SF_NS1_21upper_bound_search_opENS9_16wrapped_functionINS0_4lessIvEEbEEEE10hipError_tPvRmT1_T2_T3_mmT4_T5_P12ihipStream_tbEUlRKyE_EESM_SQ_SR_mSS_SV_bEUlT_E_NS1_11comp_targetILNS1_3genE2ELNS1_11target_archE906ELNS1_3gpuE6ELNS1_3repE0EEENS1_30default_config_static_selectorELNS0_4arch9wavefront6targetE0EEEvSP_: ; @_ZN7rocprim17ROCPRIM_400000_NS6detail17trampoline_kernelINS0_14default_configENS1_27upper_bound_config_selectorIyiEEZNS1_14transform_implILb0ES3_S5_N6thrust23THRUST_200600_302600_NS6detail15normal_iteratorINS8_10device_ptrIyEEEENSA_INSB_IiEEEEZNS1_13binary_searchIS3_S5_SD_SD_SF_NS1_21upper_bound_search_opENS9_16wrapped_functionINS0_4lessIvEEbEEEE10hipError_tPvRmT1_T2_T3_mmT4_T5_P12ihipStream_tbEUlRKyE_EESM_SQ_SR_mSS_SV_bEUlT_E_NS1_11comp_targetILNS1_3genE2ELNS1_11target_archE906ELNS1_3gpuE6ELNS1_3repE0EEENS1_30default_config_static_selectorELNS0_4arch9wavefront6targetE0EEEvSP_
; %bb.0:
	.section	.rodata,"a",@progbits
	.p2align	6, 0x0
	.amdhsa_kernel _ZN7rocprim17ROCPRIM_400000_NS6detail17trampoline_kernelINS0_14default_configENS1_27upper_bound_config_selectorIyiEEZNS1_14transform_implILb0ES3_S5_N6thrust23THRUST_200600_302600_NS6detail15normal_iteratorINS8_10device_ptrIyEEEENSA_INSB_IiEEEEZNS1_13binary_searchIS3_S5_SD_SD_SF_NS1_21upper_bound_search_opENS9_16wrapped_functionINS0_4lessIvEEbEEEE10hipError_tPvRmT1_T2_T3_mmT4_T5_P12ihipStream_tbEUlRKyE_EESM_SQ_SR_mSS_SV_bEUlT_E_NS1_11comp_targetILNS1_3genE2ELNS1_11target_archE906ELNS1_3gpuE6ELNS1_3repE0EEENS1_30default_config_static_selectorELNS0_4arch9wavefront6targetE0EEEvSP_
		.amdhsa_group_segment_fixed_size 0
		.amdhsa_private_segment_fixed_size 0
		.amdhsa_kernarg_size 56
		.amdhsa_user_sgpr_count 15
		.amdhsa_user_sgpr_dispatch_ptr 0
		.amdhsa_user_sgpr_queue_ptr 0
		.amdhsa_user_sgpr_kernarg_segment_ptr 1
		.amdhsa_user_sgpr_dispatch_id 0
		.amdhsa_user_sgpr_private_segment_size 0
		.amdhsa_wavefront_size32 1
		.amdhsa_uses_dynamic_stack 0
		.amdhsa_enable_private_segment 0
		.amdhsa_system_sgpr_workgroup_id_x 1
		.amdhsa_system_sgpr_workgroup_id_y 0
		.amdhsa_system_sgpr_workgroup_id_z 0
		.amdhsa_system_sgpr_workgroup_info 0
		.amdhsa_system_vgpr_workitem_id 0
		.amdhsa_next_free_vgpr 1
		.amdhsa_next_free_sgpr 1
		.amdhsa_reserve_vcc 0
		.amdhsa_float_round_mode_32 0
		.amdhsa_float_round_mode_16_64 0
		.amdhsa_float_denorm_mode_32 3
		.amdhsa_float_denorm_mode_16_64 3
		.amdhsa_dx10_clamp 1
		.amdhsa_ieee_mode 1
		.amdhsa_fp16_overflow 0
		.amdhsa_workgroup_processor_mode 1
		.amdhsa_memory_ordered 1
		.amdhsa_forward_progress 0
		.amdhsa_shared_vgpr_count 0
		.amdhsa_exception_fp_ieee_invalid_op 0
		.amdhsa_exception_fp_denorm_src 0
		.amdhsa_exception_fp_ieee_div_zero 0
		.amdhsa_exception_fp_ieee_overflow 0
		.amdhsa_exception_fp_ieee_underflow 0
		.amdhsa_exception_fp_ieee_inexact 0
		.amdhsa_exception_int_div_zero 0
	.end_amdhsa_kernel
	.section	.text._ZN7rocprim17ROCPRIM_400000_NS6detail17trampoline_kernelINS0_14default_configENS1_27upper_bound_config_selectorIyiEEZNS1_14transform_implILb0ES3_S5_N6thrust23THRUST_200600_302600_NS6detail15normal_iteratorINS8_10device_ptrIyEEEENSA_INSB_IiEEEEZNS1_13binary_searchIS3_S5_SD_SD_SF_NS1_21upper_bound_search_opENS9_16wrapped_functionINS0_4lessIvEEbEEEE10hipError_tPvRmT1_T2_T3_mmT4_T5_P12ihipStream_tbEUlRKyE_EESM_SQ_SR_mSS_SV_bEUlT_E_NS1_11comp_targetILNS1_3genE2ELNS1_11target_archE906ELNS1_3gpuE6ELNS1_3repE0EEENS1_30default_config_static_selectorELNS0_4arch9wavefront6targetE0EEEvSP_,"axG",@progbits,_ZN7rocprim17ROCPRIM_400000_NS6detail17trampoline_kernelINS0_14default_configENS1_27upper_bound_config_selectorIyiEEZNS1_14transform_implILb0ES3_S5_N6thrust23THRUST_200600_302600_NS6detail15normal_iteratorINS8_10device_ptrIyEEEENSA_INSB_IiEEEEZNS1_13binary_searchIS3_S5_SD_SD_SF_NS1_21upper_bound_search_opENS9_16wrapped_functionINS0_4lessIvEEbEEEE10hipError_tPvRmT1_T2_T3_mmT4_T5_P12ihipStream_tbEUlRKyE_EESM_SQ_SR_mSS_SV_bEUlT_E_NS1_11comp_targetILNS1_3genE2ELNS1_11target_archE906ELNS1_3gpuE6ELNS1_3repE0EEENS1_30default_config_static_selectorELNS0_4arch9wavefront6targetE0EEEvSP_,comdat
.Lfunc_end352:
	.size	_ZN7rocprim17ROCPRIM_400000_NS6detail17trampoline_kernelINS0_14default_configENS1_27upper_bound_config_selectorIyiEEZNS1_14transform_implILb0ES3_S5_N6thrust23THRUST_200600_302600_NS6detail15normal_iteratorINS8_10device_ptrIyEEEENSA_INSB_IiEEEEZNS1_13binary_searchIS3_S5_SD_SD_SF_NS1_21upper_bound_search_opENS9_16wrapped_functionINS0_4lessIvEEbEEEE10hipError_tPvRmT1_T2_T3_mmT4_T5_P12ihipStream_tbEUlRKyE_EESM_SQ_SR_mSS_SV_bEUlT_E_NS1_11comp_targetILNS1_3genE2ELNS1_11target_archE906ELNS1_3gpuE6ELNS1_3repE0EEENS1_30default_config_static_selectorELNS0_4arch9wavefront6targetE0EEEvSP_, .Lfunc_end352-_ZN7rocprim17ROCPRIM_400000_NS6detail17trampoline_kernelINS0_14default_configENS1_27upper_bound_config_selectorIyiEEZNS1_14transform_implILb0ES3_S5_N6thrust23THRUST_200600_302600_NS6detail15normal_iteratorINS8_10device_ptrIyEEEENSA_INSB_IiEEEEZNS1_13binary_searchIS3_S5_SD_SD_SF_NS1_21upper_bound_search_opENS9_16wrapped_functionINS0_4lessIvEEbEEEE10hipError_tPvRmT1_T2_T3_mmT4_T5_P12ihipStream_tbEUlRKyE_EESM_SQ_SR_mSS_SV_bEUlT_E_NS1_11comp_targetILNS1_3genE2ELNS1_11target_archE906ELNS1_3gpuE6ELNS1_3repE0EEENS1_30default_config_static_selectorELNS0_4arch9wavefront6targetE0EEEvSP_
                                        ; -- End function
	.section	.AMDGPU.csdata,"",@progbits
; Kernel info:
; codeLenInByte = 0
; NumSgprs: 0
; NumVgprs: 0
; ScratchSize: 0
; MemoryBound: 0
; FloatMode: 240
; IeeeMode: 1
; LDSByteSize: 0 bytes/workgroup (compile time only)
; SGPRBlocks: 0
; VGPRBlocks: 0
; NumSGPRsForWavesPerEU: 1
; NumVGPRsForWavesPerEU: 1
; Occupancy: 16
; WaveLimiterHint : 0
; COMPUTE_PGM_RSRC2:SCRATCH_EN: 0
; COMPUTE_PGM_RSRC2:USER_SGPR: 15
; COMPUTE_PGM_RSRC2:TRAP_HANDLER: 0
; COMPUTE_PGM_RSRC2:TGID_X_EN: 1
; COMPUTE_PGM_RSRC2:TGID_Y_EN: 0
; COMPUTE_PGM_RSRC2:TGID_Z_EN: 0
; COMPUTE_PGM_RSRC2:TIDIG_COMP_CNT: 0
	.section	.text._ZN7rocprim17ROCPRIM_400000_NS6detail17trampoline_kernelINS0_14default_configENS1_27upper_bound_config_selectorIyiEEZNS1_14transform_implILb0ES3_S5_N6thrust23THRUST_200600_302600_NS6detail15normal_iteratorINS8_10device_ptrIyEEEENSA_INSB_IiEEEEZNS1_13binary_searchIS3_S5_SD_SD_SF_NS1_21upper_bound_search_opENS9_16wrapped_functionINS0_4lessIvEEbEEEE10hipError_tPvRmT1_T2_T3_mmT4_T5_P12ihipStream_tbEUlRKyE_EESM_SQ_SR_mSS_SV_bEUlT_E_NS1_11comp_targetILNS1_3genE10ELNS1_11target_archE1201ELNS1_3gpuE5ELNS1_3repE0EEENS1_30default_config_static_selectorELNS0_4arch9wavefront6targetE0EEEvSP_,"axG",@progbits,_ZN7rocprim17ROCPRIM_400000_NS6detail17trampoline_kernelINS0_14default_configENS1_27upper_bound_config_selectorIyiEEZNS1_14transform_implILb0ES3_S5_N6thrust23THRUST_200600_302600_NS6detail15normal_iteratorINS8_10device_ptrIyEEEENSA_INSB_IiEEEEZNS1_13binary_searchIS3_S5_SD_SD_SF_NS1_21upper_bound_search_opENS9_16wrapped_functionINS0_4lessIvEEbEEEE10hipError_tPvRmT1_T2_T3_mmT4_T5_P12ihipStream_tbEUlRKyE_EESM_SQ_SR_mSS_SV_bEUlT_E_NS1_11comp_targetILNS1_3genE10ELNS1_11target_archE1201ELNS1_3gpuE5ELNS1_3repE0EEENS1_30default_config_static_selectorELNS0_4arch9wavefront6targetE0EEEvSP_,comdat
	.protected	_ZN7rocprim17ROCPRIM_400000_NS6detail17trampoline_kernelINS0_14default_configENS1_27upper_bound_config_selectorIyiEEZNS1_14transform_implILb0ES3_S5_N6thrust23THRUST_200600_302600_NS6detail15normal_iteratorINS8_10device_ptrIyEEEENSA_INSB_IiEEEEZNS1_13binary_searchIS3_S5_SD_SD_SF_NS1_21upper_bound_search_opENS9_16wrapped_functionINS0_4lessIvEEbEEEE10hipError_tPvRmT1_T2_T3_mmT4_T5_P12ihipStream_tbEUlRKyE_EESM_SQ_SR_mSS_SV_bEUlT_E_NS1_11comp_targetILNS1_3genE10ELNS1_11target_archE1201ELNS1_3gpuE5ELNS1_3repE0EEENS1_30default_config_static_selectorELNS0_4arch9wavefront6targetE0EEEvSP_ ; -- Begin function _ZN7rocprim17ROCPRIM_400000_NS6detail17trampoline_kernelINS0_14default_configENS1_27upper_bound_config_selectorIyiEEZNS1_14transform_implILb0ES3_S5_N6thrust23THRUST_200600_302600_NS6detail15normal_iteratorINS8_10device_ptrIyEEEENSA_INSB_IiEEEEZNS1_13binary_searchIS3_S5_SD_SD_SF_NS1_21upper_bound_search_opENS9_16wrapped_functionINS0_4lessIvEEbEEEE10hipError_tPvRmT1_T2_T3_mmT4_T5_P12ihipStream_tbEUlRKyE_EESM_SQ_SR_mSS_SV_bEUlT_E_NS1_11comp_targetILNS1_3genE10ELNS1_11target_archE1201ELNS1_3gpuE5ELNS1_3repE0EEENS1_30default_config_static_selectorELNS0_4arch9wavefront6targetE0EEEvSP_
	.globl	_ZN7rocprim17ROCPRIM_400000_NS6detail17trampoline_kernelINS0_14default_configENS1_27upper_bound_config_selectorIyiEEZNS1_14transform_implILb0ES3_S5_N6thrust23THRUST_200600_302600_NS6detail15normal_iteratorINS8_10device_ptrIyEEEENSA_INSB_IiEEEEZNS1_13binary_searchIS3_S5_SD_SD_SF_NS1_21upper_bound_search_opENS9_16wrapped_functionINS0_4lessIvEEbEEEE10hipError_tPvRmT1_T2_T3_mmT4_T5_P12ihipStream_tbEUlRKyE_EESM_SQ_SR_mSS_SV_bEUlT_E_NS1_11comp_targetILNS1_3genE10ELNS1_11target_archE1201ELNS1_3gpuE5ELNS1_3repE0EEENS1_30default_config_static_selectorELNS0_4arch9wavefront6targetE0EEEvSP_
	.p2align	8
	.type	_ZN7rocprim17ROCPRIM_400000_NS6detail17trampoline_kernelINS0_14default_configENS1_27upper_bound_config_selectorIyiEEZNS1_14transform_implILb0ES3_S5_N6thrust23THRUST_200600_302600_NS6detail15normal_iteratorINS8_10device_ptrIyEEEENSA_INSB_IiEEEEZNS1_13binary_searchIS3_S5_SD_SD_SF_NS1_21upper_bound_search_opENS9_16wrapped_functionINS0_4lessIvEEbEEEE10hipError_tPvRmT1_T2_T3_mmT4_T5_P12ihipStream_tbEUlRKyE_EESM_SQ_SR_mSS_SV_bEUlT_E_NS1_11comp_targetILNS1_3genE10ELNS1_11target_archE1201ELNS1_3gpuE5ELNS1_3repE0EEENS1_30default_config_static_selectorELNS0_4arch9wavefront6targetE0EEEvSP_,@function
_ZN7rocprim17ROCPRIM_400000_NS6detail17trampoline_kernelINS0_14default_configENS1_27upper_bound_config_selectorIyiEEZNS1_14transform_implILb0ES3_S5_N6thrust23THRUST_200600_302600_NS6detail15normal_iteratorINS8_10device_ptrIyEEEENSA_INSB_IiEEEEZNS1_13binary_searchIS3_S5_SD_SD_SF_NS1_21upper_bound_search_opENS9_16wrapped_functionINS0_4lessIvEEbEEEE10hipError_tPvRmT1_T2_T3_mmT4_T5_P12ihipStream_tbEUlRKyE_EESM_SQ_SR_mSS_SV_bEUlT_E_NS1_11comp_targetILNS1_3genE10ELNS1_11target_archE1201ELNS1_3gpuE5ELNS1_3repE0EEENS1_30default_config_static_selectorELNS0_4arch9wavefront6targetE0EEEvSP_: ; @_ZN7rocprim17ROCPRIM_400000_NS6detail17trampoline_kernelINS0_14default_configENS1_27upper_bound_config_selectorIyiEEZNS1_14transform_implILb0ES3_S5_N6thrust23THRUST_200600_302600_NS6detail15normal_iteratorINS8_10device_ptrIyEEEENSA_INSB_IiEEEEZNS1_13binary_searchIS3_S5_SD_SD_SF_NS1_21upper_bound_search_opENS9_16wrapped_functionINS0_4lessIvEEbEEEE10hipError_tPvRmT1_T2_T3_mmT4_T5_P12ihipStream_tbEUlRKyE_EESM_SQ_SR_mSS_SV_bEUlT_E_NS1_11comp_targetILNS1_3genE10ELNS1_11target_archE1201ELNS1_3gpuE5ELNS1_3repE0EEENS1_30default_config_static_selectorELNS0_4arch9wavefront6targetE0EEEvSP_
; %bb.0:
	.section	.rodata,"a",@progbits
	.p2align	6, 0x0
	.amdhsa_kernel _ZN7rocprim17ROCPRIM_400000_NS6detail17trampoline_kernelINS0_14default_configENS1_27upper_bound_config_selectorIyiEEZNS1_14transform_implILb0ES3_S5_N6thrust23THRUST_200600_302600_NS6detail15normal_iteratorINS8_10device_ptrIyEEEENSA_INSB_IiEEEEZNS1_13binary_searchIS3_S5_SD_SD_SF_NS1_21upper_bound_search_opENS9_16wrapped_functionINS0_4lessIvEEbEEEE10hipError_tPvRmT1_T2_T3_mmT4_T5_P12ihipStream_tbEUlRKyE_EESM_SQ_SR_mSS_SV_bEUlT_E_NS1_11comp_targetILNS1_3genE10ELNS1_11target_archE1201ELNS1_3gpuE5ELNS1_3repE0EEENS1_30default_config_static_selectorELNS0_4arch9wavefront6targetE0EEEvSP_
		.amdhsa_group_segment_fixed_size 0
		.amdhsa_private_segment_fixed_size 0
		.amdhsa_kernarg_size 56
		.amdhsa_user_sgpr_count 15
		.amdhsa_user_sgpr_dispatch_ptr 0
		.amdhsa_user_sgpr_queue_ptr 0
		.amdhsa_user_sgpr_kernarg_segment_ptr 1
		.amdhsa_user_sgpr_dispatch_id 0
		.amdhsa_user_sgpr_private_segment_size 0
		.amdhsa_wavefront_size32 1
		.amdhsa_uses_dynamic_stack 0
		.amdhsa_enable_private_segment 0
		.amdhsa_system_sgpr_workgroup_id_x 1
		.amdhsa_system_sgpr_workgroup_id_y 0
		.amdhsa_system_sgpr_workgroup_id_z 0
		.amdhsa_system_sgpr_workgroup_info 0
		.amdhsa_system_vgpr_workitem_id 0
		.amdhsa_next_free_vgpr 1
		.amdhsa_next_free_sgpr 1
		.amdhsa_reserve_vcc 0
		.amdhsa_float_round_mode_32 0
		.amdhsa_float_round_mode_16_64 0
		.amdhsa_float_denorm_mode_32 3
		.amdhsa_float_denorm_mode_16_64 3
		.amdhsa_dx10_clamp 1
		.amdhsa_ieee_mode 1
		.amdhsa_fp16_overflow 0
		.amdhsa_workgroup_processor_mode 1
		.amdhsa_memory_ordered 1
		.amdhsa_forward_progress 0
		.amdhsa_shared_vgpr_count 0
		.amdhsa_exception_fp_ieee_invalid_op 0
		.amdhsa_exception_fp_denorm_src 0
		.amdhsa_exception_fp_ieee_div_zero 0
		.amdhsa_exception_fp_ieee_overflow 0
		.amdhsa_exception_fp_ieee_underflow 0
		.amdhsa_exception_fp_ieee_inexact 0
		.amdhsa_exception_int_div_zero 0
	.end_amdhsa_kernel
	.section	.text._ZN7rocprim17ROCPRIM_400000_NS6detail17trampoline_kernelINS0_14default_configENS1_27upper_bound_config_selectorIyiEEZNS1_14transform_implILb0ES3_S5_N6thrust23THRUST_200600_302600_NS6detail15normal_iteratorINS8_10device_ptrIyEEEENSA_INSB_IiEEEEZNS1_13binary_searchIS3_S5_SD_SD_SF_NS1_21upper_bound_search_opENS9_16wrapped_functionINS0_4lessIvEEbEEEE10hipError_tPvRmT1_T2_T3_mmT4_T5_P12ihipStream_tbEUlRKyE_EESM_SQ_SR_mSS_SV_bEUlT_E_NS1_11comp_targetILNS1_3genE10ELNS1_11target_archE1201ELNS1_3gpuE5ELNS1_3repE0EEENS1_30default_config_static_selectorELNS0_4arch9wavefront6targetE0EEEvSP_,"axG",@progbits,_ZN7rocprim17ROCPRIM_400000_NS6detail17trampoline_kernelINS0_14default_configENS1_27upper_bound_config_selectorIyiEEZNS1_14transform_implILb0ES3_S5_N6thrust23THRUST_200600_302600_NS6detail15normal_iteratorINS8_10device_ptrIyEEEENSA_INSB_IiEEEEZNS1_13binary_searchIS3_S5_SD_SD_SF_NS1_21upper_bound_search_opENS9_16wrapped_functionINS0_4lessIvEEbEEEE10hipError_tPvRmT1_T2_T3_mmT4_T5_P12ihipStream_tbEUlRKyE_EESM_SQ_SR_mSS_SV_bEUlT_E_NS1_11comp_targetILNS1_3genE10ELNS1_11target_archE1201ELNS1_3gpuE5ELNS1_3repE0EEENS1_30default_config_static_selectorELNS0_4arch9wavefront6targetE0EEEvSP_,comdat
.Lfunc_end353:
	.size	_ZN7rocprim17ROCPRIM_400000_NS6detail17trampoline_kernelINS0_14default_configENS1_27upper_bound_config_selectorIyiEEZNS1_14transform_implILb0ES3_S5_N6thrust23THRUST_200600_302600_NS6detail15normal_iteratorINS8_10device_ptrIyEEEENSA_INSB_IiEEEEZNS1_13binary_searchIS3_S5_SD_SD_SF_NS1_21upper_bound_search_opENS9_16wrapped_functionINS0_4lessIvEEbEEEE10hipError_tPvRmT1_T2_T3_mmT4_T5_P12ihipStream_tbEUlRKyE_EESM_SQ_SR_mSS_SV_bEUlT_E_NS1_11comp_targetILNS1_3genE10ELNS1_11target_archE1201ELNS1_3gpuE5ELNS1_3repE0EEENS1_30default_config_static_selectorELNS0_4arch9wavefront6targetE0EEEvSP_, .Lfunc_end353-_ZN7rocprim17ROCPRIM_400000_NS6detail17trampoline_kernelINS0_14default_configENS1_27upper_bound_config_selectorIyiEEZNS1_14transform_implILb0ES3_S5_N6thrust23THRUST_200600_302600_NS6detail15normal_iteratorINS8_10device_ptrIyEEEENSA_INSB_IiEEEEZNS1_13binary_searchIS3_S5_SD_SD_SF_NS1_21upper_bound_search_opENS9_16wrapped_functionINS0_4lessIvEEbEEEE10hipError_tPvRmT1_T2_T3_mmT4_T5_P12ihipStream_tbEUlRKyE_EESM_SQ_SR_mSS_SV_bEUlT_E_NS1_11comp_targetILNS1_3genE10ELNS1_11target_archE1201ELNS1_3gpuE5ELNS1_3repE0EEENS1_30default_config_static_selectorELNS0_4arch9wavefront6targetE0EEEvSP_
                                        ; -- End function
	.section	.AMDGPU.csdata,"",@progbits
; Kernel info:
; codeLenInByte = 0
; NumSgprs: 0
; NumVgprs: 0
; ScratchSize: 0
; MemoryBound: 0
; FloatMode: 240
; IeeeMode: 1
; LDSByteSize: 0 bytes/workgroup (compile time only)
; SGPRBlocks: 0
; VGPRBlocks: 0
; NumSGPRsForWavesPerEU: 1
; NumVGPRsForWavesPerEU: 1
; Occupancy: 16
; WaveLimiterHint : 0
; COMPUTE_PGM_RSRC2:SCRATCH_EN: 0
; COMPUTE_PGM_RSRC2:USER_SGPR: 15
; COMPUTE_PGM_RSRC2:TRAP_HANDLER: 0
; COMPUTE_PGM_RSRC2:TGID_X_EN: 1
; COMPUTE_PGM_RSRC2:TGID_Y_EN: 0
; COMPUTE_PGM_RSRC2:TGID_Z_EN: 0
; COMPUTE_PGM_RSRC2:TIDIG_COMP_CNT: 0
	.section	.text._ZN7rocprim17ROCPRIM_400000_NS6detail17trampoline_kernelINS0_14default_configENS1_27upper_bound_config_selectorIyiEEZNS1_14transform_implILb0ES3_S5_N6thrust23THRUST_200600_302600_NS6detail15normal_iteratorINS8_10device_ptrIyEEEENSA_INSB_IiEEEEZNS1_13binary_searchIS3_S5_SD_SD_SF_NS1_21upper_bound_search_opENS9_16wrapped_functionINS0_4lessIvEEbEEEE10hipError_tPvRmT1_T2_T3_mmT4_T5_P12ihipStream_tbEUlRKyE_EESM_SQ_SR_mSS_SV_bEUlT_E_NS1_11comp_targetILNS1_3genE10ELNS1_11target_archE1200ELNS1_3gpuE4ELNS1_3repE0EEENS1_30default_config_static_selectorELNS0_4arch9wavefront6targetE0EEEvSP_,"axG",@progbits,_ZN7rocprim17ROCPRIM_400000_NS6detail17trampoline_kernelINS0_14default_configENS1_27upper_bound_config_selectorIyiEEZNS1_14transform_implILb0ES3_S5_N6thrust23THRUST_200600_302600_NS6detail15normal_iteratorINS8_10device_ptrIyEEEENSA_INSB_IiEEEEZNS1_13binary_searchIS3_S5_SD_SD_SF_NS1_21upper_bound_search_opENS9_16wrapped_functionINS0_4lessIvEEbEEEE10hipError_tPvRmT1_T2_T3_mmT4_T5_P12ihipStream_tbEUlRKyE_EESM_SQ_SR_mSS_SV_bEUlT_E_NS1_11comp_targetILNS1_3genE10ELNS1_11target_archE1200ELNS1_3gpuE4ELNS1_3repE0EEENS1_30default_config_static_selectorELNS0_4arch9wavefront6targetE0EEEvSP_,comdat
	.protected	_ZN7rocprim17ROCPRIM_400000_NS6detail17trampoline_kernelINS0_14default_configENS1_27upper_bound_config_selectorIyiEEZNS1_14transform_implILb0ES3_S5_N6thrust23THRUST_200600_302600_NS6detail15normal_iteratorINS8_10device_ptrIyEEEENSA_INSB_IiEEEEZNS1_13binary_searchIS3_S5_SD_SD_SF_NS1_21upper_bound_search_opENS9_16wrapped_functionINS0_4lessIvEEbEEEE10hipError_tPvRmT1_T2_T3_mmT4_T5_P12ihipStream_tbEUlRKyE_EESM_SQ_SR_mSS_SV_bEUlT_E_NS1_11comp_targetILNS1_3genE10ELNS1_11target_archE1200ELNS1_3gpuE4ELNS1_3repE0EEENS1_30default_config_static_selectorELNS0_4arch9wavefront6targetE0EEEvSP_ ; -- Begin function _ZN7rocprim17ROCPRIM_400000_NS6detail17trampoline_kernelINS0_14default_configENS1_27upper_bound_config_selectorIyiEEZNS1_14transform_implILb0ES3_S5_N6thrust23THRUST_200600_302600_NS6detail15normal_iteratorINS8_10device_ptrIyEEEENSA_INSB_IiEEEEZNS1_13binary_searchIS3_S5_SD_SD_SF_NS1_21upper_bound_search_opENS9_16wrapped_functionINS0_4lessIvEEbEEEE10hipError_tPvRmT1_T2_T3_mmT4_T5_P12ihipStream_tbEUlRKyE_EESM_SQ_SR_mSS_SV_bEUlT_E_NS1_11comp_targetILNS1_3genE10ELNS1_11target_archE1200ELNS1_3gpuE4ELNS1_3repE0EEENS1_30default_config_static_selectorELNS0_4arch9wavefront6targetE0EEEvSP_
	.globl	_ZN7rocprim17ROCPRIM_400000_NS6detail17trampoline_kernelINS0_14default_configENS1_27upper_bound_config_selectorIyiEEZNS1_14transform_implILb0ES3_S5_N6thrust23THRUST_200600_302600_NS6detail15normal_iteratorINS8_10device_ptrIyEEEENSA_INSB_IiEEEEZNS1_13binary_searchIS3_S5_SD_SD_SF_NS1_21upper_bound_search_opENS9_16wrapped_functionINS0_4lessIvEEbEEEE10hipError_tPvRmT1_T2_T3_mmT4_T5_P12ihipStream_tbEUlRKyE_EESM_SQ_SR_mSS_SV_bEUlT_E_NS1_11comp_targetILNS1_3genE10ELNS1_11target_archE1200ELNS1_3gpuE4ELNS1_3repE0EEENS1_30default_config_static_selectorELNS0_4arch9wavefront6targetE0EEEvSP_
	.p2align	8
	.type	_ZN7rocprim17ROCPRIM_400000_NS6detail17trampoline_kernelINS0_14default_configENS1_27upper_bound_config_selectorIyiEEZNS1_14transform_implILb0ES3_S5_N6thrust23THRUST_200600_302600_NS6detail15normal_iteratorINS8_10device_ptrIyEEEENSA_INSB_IiEEEEZNS1_13binary_searchIS3_S5_SD_SD_SF_NS1_21upper_bound_search_opENS9_16wrapped_functionINS0_4lessIvEEbEEEE10hipError_tPvRmT1_T2_T3_mmT4_T5_P12ihipStream_tbEUlRKyE_EESM_SQ_SR_mSS_SV_bEUlT_E_NS1_11comp_targetILNS1_3genE10ELNS1_11target_archE1200ELNS1_3gpuE4ELNS1_3repE0EEENS1_30default_config_static_selectorELNS0_4arch9wavefront6targetE0EEEvSP_,@function
_ZN7rocprim17ROCPRIM_400000_NS6detail17trampoline_kernelINS0_14default_configENS1_27upper_bound_config_selectorIyiEEZNS1_14transform_implILb0ES3_S5_N6thrust23THRUST_200600_302600_NS6detail15normal_iteratorINS8_10device_ptrIyEEEENSA_INSB_IiEEEEZNS1_13binary_searchIS3_S5_SD_SD_SF_NS1_21upper_bound_search_opENS9_16wrapped_functionINS0_4lessIvEEbEEEE10hipError_tPvRmT1_T2_T3_mmT4_T5_P12ihipStream_tbEUlRKyE_EESM_SQ_SR_mSS_SV_bEUlT_E_NS1_11comp_targetILNS1_3genE10ELNS1_11target_archE1200ELNS1_3gpuE4ELNS1_3repE0EEENS1_30default_config_static_selectorELNS0_4arch9wavefront6targetE0EEEvSP_: ; @_ZN7rocprim17ROCPRIM_400000_NS6detail17trampoline_kernelINS0_14default_configENS1_27upper_bound_config_selectorIyiEEZNS1_14transform_implILb0ES3_S5_N6thrust23THRUST_200600_302600_NS6detail15normal_iteratorINS8_10device_ptrIyEEEENSA_INSB_IiEEEEZNS1_13binary_searchIS3_S5_SD_SD_SF_NS1_21upper_bound_search_opENS9_16wrapped_functionINS0_4lessIvEEbEEEE10hipError_tPvRmT1_T2_T3_mmT4_T5_P12ihipStream_tbEUlRKyE_EESM_SQ_SR_mSS_SV_bEUlT_E_NS1_11comp_targetILNS1_3genE10ELNS1_11target_archE1200ELNS1_3gpuE4ELNS1_3repE0EEENS1_30default_config_static_selectorELNS0_4arch9wavefront6targetE0EEEvSP_
; %bb.0:
	.section	.rodata,"a",@progbits
	.p2align	6, 0x0
	.amdhsa_kernel _ZN7rocprim17ROCPRIM_400000_NS6detail17trampoline_kernelINS0_14default_configENS1_27upper_bound_config_selectorIyiEEZNS1_14transform_implILb0ES3_S5_N6thrust23THRUST_200600_302600_NS6detail15normal_iteratorINS8_10device_ptrIyEEEENSA_INSB_IiEEEEZNS1_13binary_searchIS3_S5_SD_SD_SF_NS1_21upper_bound_search_opENS9_16wrapped_functionINS0_4lessIvEEbEEEE10hipError_tPvRmT1_T2_T3_mmT4_T5_P12ihipStream_tbEUlRKyE_EESM_SQ_SR_mSS_SV_bEUlT_E_NS1_11comp_targetILNS1_3genE10ELNS1_11target_archE1200ELNS1_3gpuE4ELNS1_3repE0EEENS1_30default_config_static_selectorELNS0_4arch9wavefront6targetE0EEEvSP_
		.amdhsa_group_segment_fixed_size 0
		.amdhsa_private_segment_fixed_size 0
		.amdhsa_kernarg_size 56
		.amdhsa_user_sgpr_count 15
		.amdhsa_user_sgpr_dispatch_ptr 0
		.amdhsa_user_sgpr_queue_ptr 0
		.amdhsa_user_sgpr_kernarg_segment_ptr 1
		.amdhsa_user_sgpr_dispatch_id 0
		.amdhsa_user_sgpr_private_segment_size 0
		.amdhsa_wavefront_size32 1
		.amdhsa_uses_dynamic_stack 0
		.amdhsa_enable_private_segment 0
		.amdhsa_system_sgpr_workgroup_id_x 1
		.amdhsa_system_sgpr_workgroup_id_y 0
		.amdhsa_system_sgpr_workgroup_id_z 0
		.amdhsa_system_sgpr_workgroup_info 0
		.amdhsa_system_vgpr_workitem_id 0
		.amdhsa_next_free_vgpr 1
		.amdhsa_next_free_sgpr 1
		.amdhsa_reserve_vcc 0
		.amdhsa_float_round_mode_32 0
		.amdhsa_float_round_mode_16_64 0
		.amdhsa_float_denorm_mode_32 3
		.amdhsa_float_denorm_mode_16_64 3
		.amdhsa_dx10_clamp 1
		.amdhsa_ieee_mode 1
		.amdhsa_fp16_overflow 0
		.amdhsa_workgroup_processor_mode 1
		.amdhsa_memory_ordered 1
		.amdhsa_forward_progress 0
		.amdhsa_shared_vgpr_count 0
		.amdhsa_exception_fp_ieee_invalid_op 0
		.amdhsa_exception_fp_denorm_src 0
		.amdhsa_exception_fp_ieee_div_zero 0
		.amdhsa_exception_fp_ieee_overflow 0
		.amdhsa_exception_fp_ieee_underflow 0
		.amdhsa_exception_fp_ieee_inexact 0
		.amdhsa_exception_int_div_zero 0
	.end_amdhsa_kernel
	.section	.text._ZN7rocprim17ROCPRIM_400000_NS6detail17trampoline_kernelINS0_14default_configENS1_27upper_bound_config_selectorIyiEEZNS1_14transform_implILb0ES3_S5_N6thrust23THRUST_200600_302600_NS6detail15normal_iteratorINS8_10device_ptrIyEEEENSA_INSB_IiEEEEZNS1_13binary_searchIS3_S5_SD_SD_SF_NS1_21upper_bound_search_opENS9_16wrapped_functionINS0_4lessIvEEbEEEE10hipError_tPvRmT1_T2_T3_mmT4_T5_P12ihipStream_tbEUlRKyE_EESM_SQ_SR_mSS_SV_bEUlT_E_NS1_11comp_targetILNS1_3genE10ELNS1_11target_archE1200ELNS1_3gpuE4ELNS1_3repE0EEENS1_30default_config_static_selectorELNS0_4arch9wavefront6targetE0EEEvSP_,"axG",@progbits,_ZN7rocprim17ROCPRIM_400000_NS6detail17trampoline_kernelINS0_14default_configENS1_27upper_bound_config_selectorIyiEEZNS1_14transform_implILb0ES3_S5_N6thrust23THRUST_200600_302600_NS6detail15normal_iteratorINS8_10device_ptrIyEEEENSA_INSB_IiEEEEZNS1_13binary_searchIS3_S5_SD_SD_SF_NS1_21upper_bound_search_opENS9_16wrapped_functionINS0_4lessIvEEbEEEE10hipError_tPvRmT1_T2_T3_mmT4_T5_P12ihipStream_tbEUlRKyE_EESM_SQ_SR_mSS_SV_bEUlT_E_NS1_11comp_targetILNS1_3genE10ELNS1_11target_archE1200ELNS1_3gpuE4ELNS1_3repE0EEENS1_30default_config_static_selectorELNS0_4arch9wavefront6targetE0EEEvSP_,comdat
.Lfunc_end354:
	.size	_ZN7rocprim17ROCPRIM_400000_NS6detail17trampoline_kernelINS0_14default_configENS1_27upper_bound_config_selectorIyiEEZNS1_14transform_implILb0ES3_S5_N6thrust23THRUST_200600_302600_NS6detail15normal_iteratorINS8_10device_ptrIyEEEENSA_INSB_IiEEEEZNS1_13binary_searchIS3_S5_SD_SD_SF_NS1_21upper_bound_search_opENS9_16wrapped_functionINS0_4lessIvEEbEEEE10hipError_tPvRmT1_T2_T3_mmT4_T5_P12ihipStream_tbEUlRKyE_EESM_SQ_SR_mSS_SV_bEUlT_E_NS1_11comp_targetILNS1_3genE10ELNS1_11target_archE1200ELNS1_3gpuE4ELNS1_3repE0EEENS1_30default_config_static_selectorELNS0_4arch9wavefront6targetE0EEEvSP_, .Lfunc_end354-_ZN7rocprim17ROCPRIM_400000_NS6detail17trampoline_kernelINS0_14default_configENS1_27upper_bound_config_selectorIyiEEZNS1_14transform_implILb0ES3_S5_N6thrust23THRUST_200600_302600_NS6detail15normal_iteratorINS8_10device_ptrIyEEEENSA_INSB_IiEEEEZNS1_13binary_searchIS3_S5_SD_SD_SF_NS1_21upper_bound_search_opENS9_16wrapped_functionINS0_4lessIvEEbEEEE10hipError_tPvRmT1_T2_T3_mmT4_T5_P12ihipStream_tbEUlRKyE_EESM_SQ_SR_mSS_SV_bEUlT_E_NS1_11comp_targetILNS1_3genE10ELNS1_11target_archE1200ELNS1_3gpuE4ELNS1_3repE0EEENS1_30default_config_static_selectorELNS0_4arch9wavefront6targetE0EEEvSP_
                                        ; -- End function
	.section	.AMDGPU.csdata,"",@progbits
; Kernel info:
; codeLenInByte = 0
; NumSgprs: 0
; NumVgprs: 0
; ScratchSize: 0
; MemoryBound: 0
; FloatMode: 240
; IeeeMode: 1
; LDSByteSize: 0 bytes/workgroup (compile time only)
; SGPRBlocks: 0
; VGPRBlocks: 0
; NumSGPRsForWavesPerEU: 1
; NumVGPRsForWavesPerEU: 1
; Occupancy: 16
; WaveLimiterHint : 0
; COMPUTE_PGM_RSRC2:SCRATCH_EN: 0
; COMPUTE_PGM_RSRC2:USER_SGPR: 15
; COMPUTE_PGM_RSRC2:TRAP_HANDLER: 0
; COMPUTE_PGM_RSRC2:TGID_X_EN: 1
; COMPUTE_PGM_RSRC2:TGID_Y_EN: 0
; COMPUTE_PGM_RSRC2:TGID_Z_EN: 0
; COMPUTE_PGM_RSRC2:TIDIG_COMP_CNT: 0
	.section	.text._ZN7rocprim17ROCPRIM_400000_NS6detail17trampoline_kernelINS0_14default_configENS1_27upper_bound_config_selectorIyiEEZNS1_14transform_implILb0ES3_S5_N6thrust23THRUST_200600_302600_NS6detail15normal_iteratorINS8_10device_ptrIyEEEENSA_INSB_IiEEEEZNS1_13binary_searchIS3_S5_SD_SD_SF_NS1_21upper_bound_search_opENS9_16wrapped_functionINS0_4lessIvEEbEEEE10hipError_tPvRmT1_T2_T3_mmT4_T5_P12ihipStream_tbEUlRKyE_EESM_SQ_SR_mSS_SV_bEUlT_E_NS1_11comp_targetILNS1_3genE9ELNS1_11target_archE1100ELNS1_3gpuE3ELNS1_3repE0EEENS1_30default_config_static_selectorELNS0_4arch9wavefront6targetE0EEEvSP_,"axG",@progbits,_ZN7rocprim17ROCPRIM_400000_NS6detail17trampoline_kernelINS0_14default_configENS1_27upper_bound_config_selectorIyiEEZNS1_14transform_implILb0ES3_S5_N6thrust23THRUST_200600_302600_NS6detail15normal_iteratorINS8_10device_ptrIyEEEENSA_INSB_IiEEEEZNS1_13binary_searchIS3_S5_SD_SD_SF_NS1_21upper_bound_search_opENS9_16wrapped_functionINS0_4lessIvEEbEEEE10hipError_tPvRmT1_T2_T3_mmT4_T5_P12ihipStream_tbEUlRKyE_EESM_SQ_SR_mSS_SV_bEUlT_E_NS1_11comp_targetILNS1_3genE9ELNS1_11target_archE1100ELNS1_3gpuE3ELNS1_3repE0EEENS1_30default_config_static_selectorELNS0_4arch9wavefront6targetE0EEEvSP_,comdat
	.protected	_ZN7rocprim17ROCPRIM_400000_NS6detail17trampoline_kernelINS0_14default_configENS1_27upper_bound_config_selectorIyiEEZNS1_14transform_implILb0ES3_S5_N6thrust23THRUST_200600_302600_NS6detail15normal_iteratorINS8_10device_ptrIyEEEENSA_INSB_IiEEEEZNS1_13binary_searchIS3_S5_SD_SD_SF_NS1_21upper_bound_search_opENS9_16wrapped_functionINS0_4lessIvEEbEEEE10hipError_tPvRmT1_T2_T3_mmT4_T5_P12ihipStream_tbEUlRKyE_EESM_SQ_SR_mSS_SV_bEUlT_E_NS1_11comp_targetILNS1_3genE9ELNS1_11target_archE1100ELNS1_3gpuE3ELNS1_3repE0EEENS1_30default_config_static_selectorELNS0_4arch9wavefront6targetE0EEEvSP_ ; -- Begin function _ZN7rocprim17ROCPRIM_400000_NS6detail17trampoline_kernelINS0_14default_configENS1_27upper_bound_config_selectorIyiEEZNS1_14transform_implILb0ES3_S5_N6thrust23THRUST_200600_302600_NS6detail15normal_iteratorINS8_10device_ptrIyEEEENSA_INSB_IiEEEEZNS1_13binary_searchIS3_S5_SD_SD_SF_NS1_21upper_bound_search_opENS9_16wrapped_functionINS0_4lessIvEEbEEEE10hipError_tPvRmT1_T2_T3_mmT4_T5_P12ihipStream_tbEUlRKyE_EESM_SQ_SR_mSS_SV_bEUlT_E_NS1_11comp_targetILNS1_3genE9ELNS1_11target_archE1100ELNS1_3gpuE3ELNS1_3repE0EEENS1_30default_config_static_selectorELNS0_4arch9wavefront6targetE0EEEvSP_
	.globl	_ZN7rocprim17ROCPRIM_400000_NS6detail17trampoline_kernelINS0_14default_configENS1_27upper_bound_config_selectorIyiEEZNS1_14transform_implILb0ES3_S5_N6thrust23THRUST_200600_302600_NS6detail15normal_iteratorINS8_10device_ptrIyEEEENSA_INSB_IiEEEEZNS1_13binary_searchIS3_S5_SD_SD_SF_NS1_21upper_bound_search_opENS9_16wrapped_functionINS0_4lessIvEEbEEEE10hipError_tPvRmT1_T2_T3_mmT4_T5_P12ihipStream_tbEUlRKyE_EESM_SQ_SR_mSS_SV_bEUlT_E_NS1_11comp_targetILNS1_3genE9ELNS1_11target_archE1100ELNS1_3gpuE3ELNS1_3repE0EEENS1_30default_config_static_selectorELNS0_4arch9wavefront6targetE0EEEvSP_
	.p2align	8
	.type	_ZN7rocprim17ROCPRIM_400000_NS6detail17trampoline_kernelINS0_14default_configENS1_27upper_bound_config_selectorIyiEEZNS1_14transform_implILb0ES3_S5_N6thrust23THRUST_200600_302600_NS6detail15normal_iteratorINS8_10device_ptrIyEEEENSA_INSB_IiEEEEZNS1_13binary_searchIS3_S5_SD_SD_SF_NS1_21upper_bound_search_opENS9_16wrapped_functionINS0_4lessIvEEbEEEE10hipError_tPvRmT1_T2_T3_mmT4_T5_P12ihipStream_tbEUlRKyE_EESM_SQ_SR_mSS_SV_bEUlT_E_NS1_11comp_targetILNS1_3genE9ELNS1_11target_archE1100ELNS1_3gpuE3ELNS1_3repE0EEENS1_30default_config_static_selectorELNS0_4arch9wavefront6targetE0EEEvSP_,@function
_ZN7rocprim17ROCPRIM_400000_NS6detail17trampoline_kernelINS0_14default_configENS1_27upper_bound_config_selectorIyiEEZNS1_14transform_implILb0ES3_S5_N6thrust23THRUST_200600_302600_NS6detail15normal_iteratorINS8_10device_ptrIyEEEENSA_INSB_IiEEEEZNS1_13binary_searchIS3_S5_SD_SD_SF_NS1_21upper_bound_search_opENS9_16wrapped_functionINS0_4lessIvEEbEEEE10hipError_tPvRmT1_T2_T3_mmT4_T5_P12ihipStream_tbEUlRKyE_EESM_SQ_SR_mSS_SV_bEUlT_E_NS1_11comp_targetILNS1_3genE9ELNS1_11target_archE1100ELNS1_3gpuE3ELNS1_3repE0EEENS1_30default_config_static_selectorELNS0_4arch9wavefront6targetE0EEEvSP_: ; @_ZN7rocprim17ROCPRIM_400000_NS6detail17trampoline_kernelINS0_14default_configENS1_27upper_bound_config_selectorIyiEEZNS1_14transform_implILb0ES3_S5_N6thrust23THRUST_200600_302600_NS6detail15normal_iteratorINS8_10device_ptrIyEEEENSA_INSB_IiEEEEZNS1_13binary_searchIS3_S5_SD_SD_SF_NS1_21upper_bound_search_opENS9_16wrapped_functionINS0_4lessIvEEbEEEE10hipError_tPvRmT1_T2_T3_mmT4_T5_P12ihipStream_tbEUlRKyE_EESM_SQ_SR_mSS_SV_bEUlT_E_NS1_11comp_targetILNS1_3genE9ELNS1_11target_archE1100ELNS1_3gpuE3ELNS1_3repE0EEENS1_30default_config_static_selectorELNS0_4arch9wavefront6targetE0EEEvSP_
; %bb.0:
	s_clause 0x2
	s_load_b256 s[4:11], s[0:1], 0x0
	s_load_b32 s2, s[0:1], 0x38
	s_load_b128 s[16:19], s[0:1], 0x20
	s_mov_b32 s21, 0
	s_waitcnt lgkmcnt(0)
	s_lshl_b64 s[0:1], s[6:7], 3
	s_delay_alu instid0(SALU_CYCLE_1) | instskip(SKIP_2) | instid1(SALU_CYCLE_1)
	s_add_u32 s3, s4, s0
	s_addc_u32 s4, s5, s1
	s_lshl_b64 s[0:1], s[6:7], 2
	s_add_u32 s22, s10, s0
	s_addc_u32 s23, s11, s1
	s_lshl_b32 s20, s15, 10
	s_add_i32 s2, s2, -1
	s_lshl_b64 s[0:1], s[20:21], 3
	s_delay_alu instid0(SALU_CYCLE_1)
	s_add_u32 s25, s3, s0
	s_addc_u32 s26, s4, s1
	s_cmp_lg_u32 s15, s2
	s_mov_b32 s0, -1
	s_cbranch_scc0 .LBB355_58
; %bb.1:
	v_lshlrev_b32_e32 v1, 3, v0
	s_cmp_lg_u64 s[18:19], 0
	s_mov_b32 s2, 0
	s_cselect_b32 s1, -1, 0
	s_cmp_eq_u64 s[18:19], 0
	v_add_co_u32 v5, s0, s25, v1
	s_delay_alu instid0(VALU_DEP_1) | instskip(NEXT) | instid1(VALU_DEP_2)
	v_add_co_ci_u32_e64 v6, null, s26, 0, s0
	v_add_co_u32 v1, vcc_lo, 0x1000, v5
	s_delay_alu instid0(VALU_DEP_2)
	v_add_co_ci_u32_e32 v2, vcc_lo, 0, v6, vcc_lo
	s_clause 0xe
	flat_load_b64 v[9:10], v[5:6] offset:512
	flat_load_b64 v[13:14], v[5:6] offset:1024
	;; [unrolled: 1-line block ×7, first 2 shown]
	flat_load_b64 v[31:32], v[1:2]
	flat_load_b64 v[27:28], v[1:2] offset:512
	flat_load_b64 v[23:24], v[1:2] offset:1024
	;; [unrolled: 1-line block ×7, first 2 shown]
	v_mov_b32_e32 v1, 0
	v_mov_b32_e32 v2, 0
	s_cbranch_scc1 .LBB355_5
; %bb.2:
	flat_load_b64 v[5:6], v[5:6]
	v_dual_mov_b32 v1, 0 :: v_dual_mov_b32 v36, s19
	v_dual_mov_b32 v2, 0 :: v_dual_mov_b32 v35, s18
	s_set_inst_prefetch_distance 0x1
	.p2align	6
.LBB355_3:                              ; =>This Inner Loop Header: Depth=1
	s_delay_alu instid0(VALU_DEP_1) | instskip(NEXT) | instid1(VALU_DEP_2)
	v_sub_co_u32 v37, vcc_lo, v35, v1
	v_sub_co_ci_u32_e32 v38, vcc_lo, v36, v2, vcc_lo
	s_delay_alu instid0(VALU_DEP_1) | instskip(SKIP_1) | instid1(VALU_DEP_2)
	v_lshrrev_b64 v[39:40], 1, v[37:38]
	v_lshrrev_b64 v[37:38], 6, v[37:38]
	v_add_co_u32 v39, vcc_lo, v39, v1
	s_delay_alu instid0(VALU_DEP_3) | instskip(NEXT) | instid1(VALU_DEP_2)
	v_add_co_ci_u32_e32 v40, vcc_lo, v40, v2, vcc_lo
	v_add_co_u32 v37, vcc_lo, v39, v37
	s_delay_alu instid0(VALU_DEP_2) | instskip(NEXT) | instid1(VALU_DEP_1)
	v_add_co_ci_u32_e32 v38, vcc_lo, v40, v38, vcc_lo
	v_lshlrev_b64 v[39:40], 3, v[37:38]
	s_delay_alu instid0(VALU_DEP_1) | instskip(NEXT) | instid1(VALU_DEP_2)
	v_add_co_u32 v39, vcc_lo, s16, v39
	v_add_co_ci_u32_e32 v40, vcc_lo, s17, v40, vcc_lo
	v_add_co_u32 v41, vcc_lo, v37, 1
	global_load_b64 v[39:40], v[39:40], off
	s_waitcnt vmcnt(0) lgkmcnt(0)
	v_cmp_gt_u64_e64 s0, v[39:40], v[5:6]
	v_add_co_ci_u32_e32 v39, vcc_lo, 0, v38, vcc_lo
	s_delay_alu instid0(VALU_DEP_2) | instskip(SKIP_1) | instid1(VALU_DEP_3)
	v_cndmask_b32_e64 v36, v36, v38, s0
	v_cndmask_b32_e64 v35, v35, v37, s0
	;; [unrolled: 1-line block ×4, first 2 shown]
	s_delay_alu instid0(VALU_DEP_1) | instskip(SKIP_1) | instid1(SALU_CYCLE_1)
	v_cmp_ge_u64_e32 vcc_lo, v[1:2], v[35:36]
	s_or_b32 s2, vcc_lo, s2
	s_and_not1_b32 exec_lo, exec_lo, s2
	s_cbranch_execnz .LBB355_3
; %bb.4:
	s_set_inst_prefetch_distance 0x2
	s_or_b32 exec_lo, exec_lo, s2
.LBB355_5:
	v_mov_b32_e32 v5, 0
	v_cndmask_b32_e64 v2, 0, 1, s1
	v_mov_b32_e32 v6, 0
	s_and_not1_b32 vcc_lo, exec_lo, s1
	s_cbranch_vccnz .LBB355_9
; %bb.6:
	v_dual_mov_b32 v36, s19 :: v_dual_mov_b32 v35, s18
	s_mov_b32 s1, 0
	s_set_inst_prefetch_distance 0x1
	.p2align	6
.LBB355_7:                              ; =>This Inner Loop Header: Depth=1
	s_delay_alu instid0(VALU_DEP_1) | instskip(NEXT) | instid1(VALU_DEP_2)
	v_sub_co_u32 v37, vcc_lo, v35, v5
	v_sub_co_ci_u32_e32 v38, vcc_lo, v36, v6, vcc_lo
	s_delay_alu instid0(VALU_DEP_1) | instskip(SKIP_1) | instid1(VALU_DEP_2)
	v_lshrrev_b64 v[39:40], 1, v[37:38]
	v_lshrrev_b64 v[37:38], 6, v[37:38]
	v_add_co_u32 v39, vcc_lo, v39, v5
	s_delay_alu instid0(VALU_DEP_3) | instskip(NEXT) | instid1(VALU_DEP_2)
	v_add_co_ci_u32_e32 v40, vcc_lo, v40, v6, vcc_lo
	v_add_co_u32 v37, vcc_lo, v39, v37
	s_delay_alu instid0(VALU_DEP_2) | instskip(NEXT) | instid1(VALU_DEP_1)
	v_add_co_ci_u32_e32 v38, vcc_lo, v40, v38, vcc_lo
	v_lshlrev_b64 v[39:40], 3, v[37:38]
	s_delay_alu instid0(VALU_DEP_1) | instskip(NEXT) | instid1(VALU_DEP_2)
	v_add_co_u32 v39, vcc_lo, s16, v39
	v_add_co_ci_u32_e32 v40, vcc_lo, s17, v40, vcc_lo
	v_add_co_u32 v41, vcc_lo, v37, 1
	global_load_b64 v[39:40], v[39:40], off
	s_waitcnt vmcnt(0) lgkmcnt(14)
	v_cmp_gt_u64_e64 s0, v[39:40], v[9:10]
	v_add_co_ci_u32_e32 v39, vcc_lo, 0, v38, vcc_lo
	s_delay_alu instid0(VALU_DEP_2) | instskip(SKIP_1) | instid1(VALU_DEP_3)
	v_cndmask_b32_e64 v36, v36, v38, s0
	v_cndmask_b32_e64 v35, v35, v37, s0
	v_cndmask_b32_e64 v6, v39, v6, s0
	v_cndmask_b32_e64 v5, v41, v5, s0
	s_delay_alu instid0(VALU_DEP_1) | instskip(SKIP_1) | instid1(SALU_CYCLE_1)
	v_cmp_ge_u64_e32 vcc_lo, v[5:6], v[35:36]
	s_or_b32 s1, vcc_lo, s1
	s_and_not1_b32 exec_lo, exec_lo, s1
	s_cbranch_execnz .LBB355_7
; %bb.8:
	s_set_inst_prefetch_distance 0x2
	s_or_b32 exec_lo, exec_lo, s1
.LBB355_9:
	s_delay_alu instid0(VALU_DEP_2)
	v_cmp_ne_u32_e32 vcc_lo, 1, v2
	s_waitcnt vmcnt(14) lgkmcnt(14)
	v_mov_b32_e32 v9, 0
	v_mov_b32_e32 v10, 0
	s_cbranch_vccnz .LBB355_13
; %bb.10:
	v_dual_mov_b32 v36, s19 :: v_dual_mov_b32 v35, s18
	s_mov_b32 s1, 0
	s_set_inst_prefetch_distance 0x1
	.p2align	6
.LBB355_11:                             ; =>This Inner Loop Header: Depth=1
	s_delay_alu instid0(VALU_DEP_1) | instskip(NEXT) | instid1(VALU_DEP_2)
	v_sub_co_u32 v37, vcc_lo, v35, v9
	v_sub_co_ci_u32_e32 v38, vcc_lo, v36, v10, vcc_lo
	s_delay_alu instid0(VALU_DEP_1) | instskip(SKIP_1) | instid1(VALU_DEP_2)
	v_lshrrev_b64 v[39:40], 1, v[37:38]
	v_lshrrev_b64 v[37:38], 6, v[37:38]
	v_add_co_u32 v6, vcc_lo, v39, v9
	s_delay_alu instid0(VALU_DEP_3) | instskip(NEXT) | instid1(VALU_DEP_2)
	v_add_co_ci_u32_e32 v39, vcc_lo, v40, v10, vcc_lo
	v_add_co_u32 v37, vcc_lo, v6, v37
	s_delay_alu instid0(VALU_DEP_2) | instskip(NEXT) | instid1(VALU_DEP_1)
	v_add_co_ci_u32_e32 v38, vcc_lo, v39, v38, vcc_lo
	v_lshlrev_b64 v[39:40], 3, v[37:38]
	s_delay_alu instid0(VALU_DEP_1) | instskip(NEXT) | instid1(VALU_DEP_2)
	v_add_co_u32 v39, vcc_lo, s16, v39
	v_add_co_ci_u32_e32 v40, vcc_lo, s17, v40, vcc_lo
	v_add_co_u32 v6, vcc_lo, v37, 1
	global_load_b64 v[39:40], v[39:40], off
	s_waitcnt vmcnt(0) lgkmcnt(13)
	v_cmp_gt_u64_e64 s0, v[39:40], v[13:14]
	v_add_co_ci_u32_e32 v39, vcc_lo, 0, v38, vcc_lo
	s_delay_alu instid0(VALU_DEP_2) | instskip(SKIP_1) | instid1(VALU_DEP_3)
	v_cndmask_b32_e64 v36, v36, v38, s0
	v_cndmask_b32_e64 v35, v35, v37, s0
	;; [unrolled: 1-line block ×4, first 2 shown]
	s_delay_alu instid0(VALU_DEP_1) | instskip(SKIP_1) | instid1(SALU_CYCLE_1)
	v_cmp_ge_u64_e32 vcc_lo, v[9:10], v[35:36]
	s_or_b32 s1, vcc_lo, s1
	s_and_not1_b32 exec_lo, exec_lo, s1
	s_cbranch_execnz .LBB355_11
; %bb.12:
	s_set_inst_prefetch_distance 0x2
	s_or_b32 exec_lo, exec_lo, s1
.LBB355_13:
	v_cmp_ne_u32_e32 vcc_lo, 1, v2
	s_waitcnt vmcnt(13) lgkmcnt(13)
	v_mov_b32_e32 v13, 0
	v_mov_b32_e32 v14, 0
	s_cbranch_vccnz .LBB355_17
; %bb.14:
	v_dual_mov_b32 v36, s19 :: v_dual_mov_b32 v35, s18
	s_mov_b32 s1, 0
	s_set_inst_prefetch_distance 0x1
	.p2align	6
.LBB355_15:                             ; =>This Inner Loop Header: Depth=1
	s_delay_alu instid0(VALU_DEP_1) | instskip(NEXT) | instid1(VALU_DEP_2)
	v_sub_co_u32 v37, vcc_lo, v35, v13
	v_sub_co_ci_u32_e32 v38, vcc_lo, v36, v14, vcc_lo
	s_delay_alu instid0(VALU_DEP_1) | instskip(SKIP_1) | instid1(VALU_DEP_2)
	v_lshrrev_b64 v[39:40], 1, v[37:38]
	v_lshrrev_b64 v[37:38], 6, v[37:38]
	v_add_co_u32 v6, vcc_lo, v39, v13
	s_delay_alu instid0(VALU_DEP_3) | instskip(NEXT) | instid1(VALU_DEP_2)
	v_add_co_ci_u32_e32 v10, vcc_lo, v40, v14, vcc_lo
	v_add_co_u32 v37, vcc_lo, v6, v37
	s_delay_alu instid0(VALU_DEP_2) | instskip(NEXT) | instid1(VALU_DEP_1)
	v_add_co_ci_u32_e32 v38, vcc_lo, v10, v38, vcc_lo
	v_lshlrev_b64 v[39:40], 3, v[37:38]
	s_delay_alu instid0(VALU_DEP_1) | instskip(NEXT) | instid1(VALU_DEP_2)
	v_add_co_u32 v39, vcc_lo, s16, v39
	v_add_co_ci_u32_e32 v40, vcc_lo, s17, v40, vcc_lo
	v_add_co_u32 v6, vcc_lo, v37, 1
	v_add_co_ci_u32_e32 v10, vcc_lo, 0, v38, vcc_lo
	global_load_b64 v[39:40], v[39:40], off
	s_waitcnt vmcnt(0) lgkmcnt(12)
	v_cmp_gt_u64_e64 s0, v[39:40], v[17:18]
	s_delay_alu instid0(VALU_DEP_1) | instskip(SKIP_3) | instid1(VALU_DEP_1)
	v_cndmask_b32_e64 v36, v36, v38, s0
	v_cndmask_b32_e64 v35, v35, v37, s0
	;; [unrolled: 1-line block ×4, first 2 shown]
	v_cmp_ge_u64_e32 vcc_lo, v[13:14], v[35:36]
	s_or_b32 s1, vcc_lo, s1
	s_delay_alu instid0(SALU_CYCLE_1)
	s_and_not1_b32 exec_lo, exec_lo, s1
	s_cbranch_execnz .LBB355_15
; %bb.16:
	s_set_inst_prefetch_distance 0x2
	s_or_b32 exec_lo, exec_lo, s1
.LBB355_17:
	v_cmp_ne_u32_e32 vcc_lo, 1, v2
	s_waitcnt vmcnt(12) lgkmcnt(12)
	v_mov_b32_e32 v17, 0
	v_mov_b32_e32 v18, 0
	s_cbranch_vccnz .LBB355_21
; %bb.18:
	v_dual_mov_b32 v36, s19 :: v_dual_mov_b32 v35, s18
	s_mov_b32 s1, 0
	s_set_inst_prefetch_distance 0x1
	.p2align	6
.LBB355_19:                             ; =>This Inner Loop Header: Depth=1
	s_delay_alu instid0(VALU_DEP_1) | instskip(NEXT) | instid1(VALU_DEP_2)
	v_sub_co_u32 v37, vcc_lo, v35, v17
	v_sub_co_ci_u32_e32 v38, vcc_lo, v36, v18, vcc_lo
	s_delay_alu instid0(VALU_DEP_1) | instskip(SKIP_1) | instid1(VALU_DEP_2)
	v_lshrrev_b64 v[39:40], 1, v[37:38]
	v_lshrrev_b64 v[37:38], 6, v[37:38]
	v_add_co_u32 v6, vcc_lo, v39, v17
	s_delay_alu instid0(VALU_DEP_3) | instskip(NEXT) | instid1(VALU_DEP_2)
	v_add_co_ci_u32_e32 v10, vcc_lo, v40, v18, vcc_lo
	v_add_co_u32 v37, vcc_lo, v6, v37
	s_delay_alu instid0(VALU_DEP_2) | instskip(NEXT) | instid1(VALU_DEP_1)
	v_add_co_ci_u32_e32 v38, vcc_lo, v10, v38, vcc_lo
	v_lshlrev_b64 v[39:40], 3, v[37:38]
	s_delay_alu instid0(VALU_DEP_1) | instskip(NEXT) | instid1(VALU_DEP_2)
	v_add_co_u32 v39, vcc_lo, s16, v39
	v_add_co_ci_u32_e32 v40, vcc_lo, s17, v40, vcc_lo
	v_add_co_u32 v6, vcc_lo, v37, 1
	v_add_co_ci_u32_e32 v10, vcc_lo, 0, v38, vcc_lo
	global_load_b64 v[39:40], v[39:40], off
	s_waitcnt vmcnt(0) lgkmcnt(11)
	v_cmp_gt_u64_e64 s0, v[39:40], v[21:22]
	s_delay_alu instid0(VALU_DEP_1) | instskip(SKIP_3) | instid1(VALU_DEP_1)
	v_cndmask_b32_e64 v36, v36, v38, s0
	v_cndmask_b32_e64 v35, v35, v37, s0
	;; [unrolled: 1-line block ×4, first 2 shown]
	v_cmp_ge_u64_e32 vcc_lo, v[17:18], v[35:36]
	s_or_b32 s1, vcc_lo, s1
	s_delay_alu instid0(SALU_CYCLE_1)
	s_and_not1_b32 exec_lo, exec_lo, s1
	s_cbranch_execnz .LBB355_19
; %bb.20:
	s_set_inst_prefetch_distance 0x2
	s_or_b32 exec_lo, exec_lo, s1
.LBB355_21:
	v_cmp_ne_u32_e32 vcc_lo, 1, v2
	s_waitcnt vmcnt(11) lgkmcnt(11)
	v_mov_b32_e32 v21, 0
	v_mov_b32_e32 v22, 0
	s_cbranch_vccnz .LBB355_25
; %bb.22:
	v_dual_mov_b32 v36, s19 :: v_dual_mov_b32 v35, s18
	s_mov_b32 s1, 0
	s_set_inst_prefetch_distance 0x1
	.p2align	6
.LBB355_23:                             ; =>This Inner Loop Header: Depth=1
	s_delay_alu instid0(VALU_DEP_1) | instskip(NEXT) | instid1(VALU_DEP_2)
	v_sub_co_u32 v37, vcc_lo, v35, v21
	v_sub_co_ci_u32_e32 v38, vcc_lo, v36, v22, vcc_lo
	s_delay_alu instid0(VALU_DEP_1) | instskip(SKIP_1) | instid1(VALU_DEP_2)
	v_lshrrev_b64 v[39:40], 1, v[37:38]
	v_lshrrev_b64 v[37:38], 6, v[37:38]
	v_add_co_u32 v6, vcc_lo, v39, v21
	s_delay_alu instid0(VALU_DEP_3) | instskip(NEXT) | instid1(VALU_DEP_2)
	v_add_co_ci_u32_e32 v10, vcc_lo, v40, v22, vcc_lo
	v_add_co_u32 v37, vcc_lo, v6, v37
	s_delay_alu instid0(VALU_DEP_2) | instskip(NEXT) | instid1(VALU_DEP_1)
	v_add_co_ci_u32_e32 v38, vcc_lo, v10, v38, vcc_lo
	v_lshlrev_b64 v[39:40], 3, v[37:38]
	s_delay_alu instid0(VALU_DEP_1) | instskip(NEXT) | instid1(VALU_DEP_2)
	v_add_co_u32 v39, vcc_lo, s16, v39
	v_add_co_ci_u32_e32 v40, vcc_lo, s17, v40, vcc_lo
	v_add_co_u32 v6, vcc_lo, v37, 1
	v_add_co_ci_u32_e32 v10, vcc_lo, 0, v38, vcc_lo
	global_load_b64 v[39:40], v[39:40], off
	s_waitcnt vmcnt(0) lgkmcnt(10)
	v_cmp_gt_u64_e64 s0, v[39:40], v[25:26]
	s_delay_alu instid0(VALU_DEP_1) | instskip(SKIP_3) | instid1(VALU_DEP_1)
	v_cndmask_b32_e64 v36, v36, v38, s0
	v_cndmask_b32_e64 v35, v35, v37, s0
	;; [unrolled: 1-line block ×4, first 2 shown]
	v_cmp_ge_u64_e32 vcc_lo, v[21:22], v[35:36]
	s_or_b32 s1, vcc_lo, s1
	s_delay_alu instid0(SALU_CYCLE_1)
	s_and_not1_b32 exec_lo, exec_lo, s1
	s_cbranch_execnz .LBB355_23
; %bb.24:
	s_set_inst_prefetch_distance 0x2
	s_or_b32 exec_lo, exec_lo, s1
.LBB355_25:
	v_cmp_ne_u32_e32 vcc_lo, 1, v2
	s_waitcnt vmcnt(10) lgkmcnt(10)
	v_mov_b32_e32 v25, 0
	v_mov_b32_e32 v26, 0
	s_cbranch_vccnz .LBB355_29
; %bb.26:
	v_dual_mov_b32 v36, s19 :: v_dual_mov_b32 v35, s18
	s_mov_b32 s1, 0
	s_set_inst_prefetch_distance 0x1
	.p2align	6
.LBB355_27:                             ; =>This Inner Loop Header: Depth=1
	s_delay_alu instid0(VALU_DEP_1) | instskip(NEXT) | instid1(VALU_DEP_2)
	v_sub_co_u32 v37, vcc_lo, v35, v25
	v_sub_co_ci_u32_e32 v38, vcc_lo, v36, v26, vcc_lo
	s_delay_alu instid0(VALU_DEP_1) | instskip(SKIP_1) | instid1(VALU_DEP_2)
	v_lshrrev_b64 v[39:40], 1, v[37:38]
	v_lshrrev_b64 v[37:38], 6, v[37:38]
	v_add_co_u32 v6, vcc_lo, v39, v25
	s_delay_alu instid0(VALU_DEP_3) | instskip(NEXT) | instid1(VALU_DEP_2)
	v_add_co_ci_u32_e32 v10, vcc_lo, v40, v26, vcc_lo
	v_add_co_u32 v37, vcc_lo, v6, v37
	s_delay_alu instid0(VALU_DEP_2) | instskip(NEXT) | instid1(VALU_DEP_1)
	v_add_co_ci_u32_e32 v38, vcc_lo, v10, v38, vcc_lo
	v_lshlrev_b64 v[39:40], 3, v[37:38]
	s_delay_alu instid0(VALU_DEP_1) | instskip(NEXT) | instid1(VALU_DEP_2)
	v_add_co_u32 v39, vcc_lo, s16, v39
	v_add_co_ci_u32_e32 v40, vcc_lo, s17, v40, vcc_lo
	v_add_co_u32 v6, vcc_lo, v37, 1
	v_add_co_ci_u32_e32 v10, vcc_lo, 0, v38, vcc_lo
	global_load_b64 v[39:40], v[39:40], off
	s_waitcnt vmcnt(0) lgkmcnt(9)
	v_cmp_gt_u64_e64 s0, v[39:40], v[29:30]
	s_delay_alu instid0(VALU_DEP_1) | instskip(SKIP_3) | instid1(VALU_DEP_1)
	v_cndmask_b32_e64 v36, v36, v38, s0
	v_cndmask_b32_e64 v35, v35, v37, s0
	;; [unrolled: 1-line block ×4, first 2 shown]
	v_cmp_ge_u64_e32 vcc_lo, v[25:26], v[35:36]
	s_or_b32 s1, vcc_lo, s1
	s_delay_alu instid0(SALU_CYCLE_1)
	s_and_not1_b32 exec_lo, exec_lo, s1
	s_cbranch_execnz .LBB355_27
; %bb.28:
	s_set_inst_prefetch_distance 0x2
	s_or_b32 exec_lo, exec_lo, s1
.LBB355_29:
	v_cmp_ne_u32_e32 vcc_lo, 1, v2
	s_waitcnt vmcnt(9) lgkmcnt(9)
	v_mov_b32_e32 v29, 0
	v_mov_b32_e32 v30, 0
	s_cbranch_vccnz .LBB355_33
; %bb.30:
	v_dual_mov_b32 v36, s19 :: v_dual_mov_b32 v35, s18
	s_mov_b32 s1, 0
	s_set_inst_prefetch_distance 0x1
	.p2align	6
.LBB355_31:                             ; =>This Inner Loop Header: Depth=1
	s_delay_alu instid0(VALU_DEP_1) | instskip(NEXT) | instid1(VALU_DEP_2)
	v_sub_co_u32 v37, vcc_lo, v35, v29
	v_sub_co_ci_u32_e32 v38, vcc_lo, v36, v30, vcc_lo
	s_delay_alu instid0(VALU_DEP_1) | instskip(SKIP_1) | instid1(VALU_DEP_2)
	v_lshrrev_b64 v[39:40], 1, v[37:38]
	v_lshrrev_b64 v[37:38], 6, v[37:38]
	v_add_co_u32 v6, vcc_lo, v39, v29
	s_delay_alu instid0(VALU_DEP_3) | instskip(NEXT) | instid1(VALU_DEP_2)
	v_add_co_ci_u32_e32 v10, vcc_lo, v40, v30, vcc_lo
	v_add_co_u32 v37, vcc_lo, v6, v37
	s_delay_alu instid0(VALU_DEP_2) | instskip(NEXT) | instid1(VALU_DEP_1)
	v_add_co_ci_u32_e32 v38, vcc_lo, v10, v38, vcc_lo
	v_lshlrev_b64 v[39:40], 3, v[37:38]
	s_delay_alu instid0(VALU_DEP_1) | instskip(NEXT) | instid1(VALU_DEP_2)
	v_add_co_u32 v39, vcc_lo, s16, v39
	v_add_co_ci_u32_e32 v40, vcc_lo, s17, v40, vcc_lo
	v_add_co_u32 v6, vcc_lo, v37, 1
	v_add_co_ci_u32_e32 v10, vcc_lo, 0, v38, vcc_lo
	global_load_b64 v[39:40], v[39:40], off
	s_waitcnt vmcnt(0) lgkmcnt(8)
	v_cmp_gt_u64_e64 s0, v[39:40], v[33:34]
	s_delay_alu instid0(VALU_DEP_1) | instskip(SKIP_3) | instid1(VALU_DEP_1)
	v_cndmask_b32_e64 v36, v36, v38, s0
	v_cndmask_b32_e64 v35, v35, v37, s0
	;; [unrolled: 1-line block ×4, first 2 shown]
	v_cmp_ge_u64_e32 vcc_lo, v[29:30], v[35:36]
	s_or_b32 s1, vcc_lo, s1
	s_delay_alu instid0(SALU_CYCLE_1)
	s_and_not1_b32 exec_lo, exec_lo, s1
	s_cbranch_execnz .LBB355_31
; %bb.32:
	s_set_inst_prefetch_distance 0x2
	s_or_b32 exec_lo, exec_lo, s1
.LBB355_33:
	v_cmp_ne_u32_e32 vcc_lo, 1, v2
	s_cbranch_vccnz .LBB355_59
; %bb.34:
	s_waitcnt vmcnt(8) lgkmcnt(8)
	v_dual_mov_b32 v33, 0 :: v_dual_mov_b32 v36, s19
	v_dual_mov_b32 v34, 0 :: v_dual_mov_b32 v35, s18
	s_mov_b32 s1, 0
	s_set_inst_prefetch_distance 0x1
	.p2align	6
.LBB355_35:                             ; =>This Inner Loop Header: Depth=1
	s_delay_alu instid0(VALU_DEP_1) | instskip(NEXT) | instid1(VALU_DEP_2)
	v_sub_co_u32 v37, vcc_lo, v35, v33
	v_sub_co_ci_u32_e32 v38, vcc_lo, v36, v34, vcc_lo
	s_delay_alu instid0(VALU_DEP_1) | instskip(SKIP_1) | instid1(VALU_DEP_2)
	v_lshrrev_b64 v[39:40], 1, v[37:38]
	v_lshrrev_b64 v[37:38], 6, v[37:38]
	v_add_co_u32 v6, vcc_lo, v39, v33
	s_delay_alu instid0(VALU_DEP_3) | instskip(NEXT) | instid1(VALU_DEP_2)
	v_add_co_ci_u32_e32 v10, vcc_lo, v40, v34, vcc_lo
	v_add_co_u32 v37, vcc_lo, v6, v37
	s_delay_alu instid0(VALU_DEP_2) | instskip(NEXT) | instid1(VALU_DEP_1)
	v_add_co_ci_u32_e32 v38, vcc_lo, v10, v38, vcc_lo
	v_lshlrev_b64 v[39:40], 3, v[37:38]
	s_delay_alu instid0(VALU_DEP_1) | instskip(NEXT) | instid1(VALU_DEP_2)
	v_add_co_u32 v39, vcc_lo, s16, v39
	v_add_co_ci_u32_e32 v40, vcc_lo, s17, v40, vcc_lo
	v_add_co_u32 v6, vcc_lo, v37, 1
	v_add_co_ci_u32_e32 v10, vcc_lo, 0, v38, vcc_lo
	global_load_b64 v[39:40], v[39:40], off
	s_waitcnt vmcnt(0) lgkmcnt(7)
	v_cmp_gt_u64_e64 s0, v[39:40], v[31:32]
	s_delay_alu instid0(VALU_DEP_1) | instskip(SKIP_3) | instid1(VALU_DEP_1)
	v_cndmask_b32_e64 v36, v36, v38, s0
	v_cndmask_b32_e64 v35, v35, v37, s0
	;; [unrolled: 1-line block ×4, first 2 shown]
	v_cmp_ge_u64_e32 vcc_lo, v[33:34], v[35:36]
	s_or_b32 s1, vcc_lo, s1
	s_delay_alu instid0(SALU_CYCLE_1)
	s_and_not1_b32 exec_lo, exec_lo, s1
	s_cbranch_execnz .LBB355_35
; %bb.36:
	s_set_inst_prefetch_distance 0x2
	s_or_b32 exec_lo, exec_lo, s1
	v_cmp_ne_u32_e32 vcc_lo, 1, v2
	s_cbranch_vccnz .LBB355_60
.LBB355_37:
	s_waitcnt vmcnt(7) lgkmcnt(7)
	v_dual_mov_b32 v30, 0 :: v_dual_mov_b32 v35, s19
	v_dual_mov_b32 v31, 0 :: v_dual_mov_b32 v34, s18
	s_mov_b32 s1, 0
	s_set_inst_prefetch_distance 0x1
	.p2align	6
.LBB355_38:                             ; =>This Inner Loop Header: Depth=1
	s_delay_alu instid0(VALU_DEP_1) | instskip(NEXT) | instid1(VALU_DEP_2)
	v_sub_co_u32 v36, vcc_lo, v34, v30
	v_sub_co_ci_u32_e32 v37, vcc_lo, v35, v31, vcc_lo
	s_delay_alu instid0(VALU_DEP_1) | instskip(SKIP_1) | instid1(VALU_DEP_2)
	v_lshrrev_b64 v[38:39], 1, v[36:37]
	v_lshrrev_b64 v[36:37], 6, v[36:37]
	v_add_co_u32 v6, vcc_lo, v38, v30
	s_delay_alu instid0(VALU_DEP_3) | instskip(NEXT) | instid1(VALU_DEP_2)
	v_add_co_ci_u32_e32 v10, vcc_lo, v39, v31, vcc_lo
	v_add_co_u32 v36, vcc_lo, v6, v36
	s_delay_alu instid0(VALU_DEP_2) | instskip(NEXT) | instid1(VALU_DEP_1)
	v_add_co_ci_u32_e32 v37, vcc_lo, v10, v37, vcc_lo
	v_lshlrev_b64 v[38:39], 3, v[36:37]
	s_delay_alu instid0(VALU_DEP_1) | instskip(NEXT) | instid1(VALU_DEP_2)
	v_add_co_u32 v38, vcc_lo, s16, v38
	v_add_co_ci_u32_e32 v39, vcc_lo, s17, v39, vcc_lo
	v_add_co_u32 v6, vcc_lo, v36, 1
	v_add_co_ci_u32_e32 v10, vcc_lo, 0, v37, vcc_lo
	global_load_b64 v[38:39], v[38:39], off
	s_waitcnt vmcnt(0) lgkmcnt(6)
	v_cmp_gt_u64_e64 s0, v[38:39], v[27:28]
	s_delay_alu instid0(VALU_DEP_1) | instskip(SKIP_3) | instid1(VALU_DEP_1)
	v_cndmask_b32_e64 v35, v35, v37, s0
	v_cndmask_b32_e64 v34, v34, v36, s0
	;; [unrolled: 1-line block ×4, first 2 shown]
	v_cmp_ge_u64_e32 vcc_lo, v[30:31], v[34:35]
	s_or_b32 s1, vcc_lo, s1
	s_delay_alu instid0(SALU_CYCLE_1)
	s_and_not1_b32 exec_lo, exec_lo, s1
	s_cbranch_execnz .LBB355_38
; %bb.39:
	s_set_inst_prefetch_distance 0x2
	s_or_b32 exec_lo, exec_lo, s1
	v_cmp_ne_u32_e32 vcc_lo, 1, v2
	s_cbranch_vccnz .LBB355_61
.LBB355_40:
	s_waitcnt vmcnt(6) lgkmcnt(6)
	v_mov_b32_e32 v26, 0
	v_dual_mov_b32 v27, 0 :: v_dual_mov_b32 v32, s19
	v_mov_b32_e32 v31, s18
	s_mov_b32 s1, 0
	s_set_inst_prefetch_distance 0x1
	.p2align	6
.LBB355_41:                             ; =>This Inner Loop Header: Depth=1
	s_delay_alu instid0(VALU_DEP_1) | instskip(SKIP_1) | instid1(VALU_DEP_1)
	v_sub_co_u32 v34, vcc_lo, v31, v26
	v_sub_co_ci_u32_e32 v35, vcc_lo, v32, v27, vcc_lo
	v_lshrrev_b64 v[36:37], 1, v[34:35]
	v_lshrrev_b64 v[34:35], 6, v[34:35]
	s_delay_alu instid0(VALU_DEP_2) | instskip(NEXT) | instid1(VALU_DEP_3)
	v_add_co_u32 v6, vcc_lo, v36, v26
	v_add_co_ci_u32_e32 v10, vcc_lo, v37, v27, vcc_lo
	s_delay_alu instid0(VALU_DEP_2) | instskip(NEXT) | instid1(VALU_DEP_2)
	v_add_co_u32 v34, vcc_lo, v6, v34
	v_add_co_ci_u32_e32 v35, vcc_lo, v10, v35, vcc_lo
	s_delay_alu instid0(VALU_DEP_1) | instskip(NEXT) | instid1(VALU_DEP_1)
	v_lshlrev_b64 v[36:37], 3, v[34:35]
	v_add_co_u32 v36, vcc_lo, s16, v36
	s_delay_alu instid0(VALU_DEP_2)
	v_add_co_ci_u32_e32 v37, vcc_lo, s17, v37, vcc_lo
	v_add_co_u32 v6, vcc_lo, v34, 1
	v_add_co_ci_u32_e32 v10, vcc_lo, 0, v35, vcc_lo
	global_load_b64 v[36:37], v[36:37], off
	s_waitcnt vmcnt(0) lgkmcnt(5)
	v_cmp_gt_u64_e64 s0, v[36:37], v[23:24]
	s_delay_alu instid0(VALU_DEP_1) | instskip(SKIP_3) | instid1(VALU_DEP_1)
	v_cndmask_b32_e64 v32, v32, v35, s0
	v_cndmask_b32_e64 v31, v31, v34, s0
	;; [unrolled: 1-line block ×4, first 2 shown]
	v_cmp_ge_u64_e32 vcc_lo, v[26:27], v[31:32]
	s_or_b32 s1, vcc_lo, s1
	s_delay_alu instid0(SALU_CYCLE_1)
	s_and_not1_b32 exec_lo, exec_lo, s1
	s_cbranch_execnz .LBB355_41
; %bb.42:
	s_set_inst_prefetch_distance 0x2
	s_or_b32 exec_lo, exec_lo, s1
	v_cmp_ne_u32_e32 vcc_lo, 1, v2
	s_cbranch_vccnz .LBB355_62
.LBB355_43:
	s_waitcnt vmcnt(5) lgkmcnt(5)
	v_mov_b32_e32 v22, 0
	v_dual_mov_b32 v23, 0 :: v_dual_mov_b32 v28, s19
	v_mov_b32_e32 v27, s18
	s_mov_b32 s1, 0
	s_set_inst_prefetch_distance 0x1
	.p2align	6
.LBB355_44:                             ; =>This Inner Loop Header: Depth=1
	s_delay_alu instid0(VALU_DEP_1) | instskip(SKIP_1) | instid1(VALU_DEP_1)
	v_sub_co_u32 v31, vcc_lo, v27, v22
	v_sub_co_ci_u32_e32 v32, vcc_lo, v28, v23, vcc_lo
	v_lshrrev_b64 v[34:35], 1, v[31:32]
	v_lshrrev_b64 v[31:32], 6, v[31:32]
	s_delay_alu instid0(VALU_DEP_2) | instskip(NEXT) | instid1(VALU_DEP_3)
	v_add_co_u32 v6, vcc_lo, v34, v22
	v_add_co_ci_u32_e32 v10, vcc_lo, v35, v23, vcc_lo
	s_delay_alu instid0(VALU_DEP_2) | instskip(NEXT) | instid1(VALU_DEP_2)
	v_add_co_u32 v31, vcc_lo, v6, v31
	v_add_co_ci_u32_e32 v32, vcc_lo, v10, v32, vcc_lo
	s_delay_alu instid0(VALU_DEP_1) | instskip(NEXT) | instid1(VALU_DEP_1)
	v_lshlrev_b64 v[34:35], 3, v[31:32]
	v_add_co_u32 v34, vcc_lo, s16, v34
	s_delay_alu instid0(VALU_DEP_2)
	v_add_co_ci_u32_e32 v35, vcc_lo, s17, v35, vcc_lo
	v_add_co_u32 v6, vcc_lo, v31, 1
	v_add_co_ci_u32_e32 v10, vcc_lo, 0, v32, vcc_lo
	global_load_b64 v[34:35], v[34:35], off
	s_waitcnt vmcnt(0) lgkmcnt(4)
	v_cmp_gt_u64_e64 s0, v[34:35], v[19:20]
	s_delay_alu instid0(VALU_DEP_1) | instskip(SKIP_3) | instid1(VALU_DEP_1)
	v_cndmask_b32_e64 v28, v28, v32, s0
	v_cndmask_b32_e64 v27, v27, v31, s0
	;; [unrolled: 1-line block ×4, first 2 shown]
	v_cmp_ge_u64_e32 vcc_lo, v[22:23], v[27:28]
	s_or_b32 s1, vcc_lo, s1
	s_delay_alu instid0(SALU_CYCLE_1)
	s_and_not1_b32 exec_lo, exec_lo, s1
	s_cbranch_execnz .LBB355_44
; %bb.45:
	s_set_inst_prefetch_distance 0x2
	s_or_b32 exec_lo, exec_lo, s1
	v_cmp_ne_u32_e32 vcc_lo, 1, v2
	s_cbranch_vccnz .LBB355_63
.LBB355_46:
	s_waitcnt vmcnt(4) lgkmcnt(4)
	v_mov_b32_e32 v18, 0
	v_dual_mov_b32 v19, 0 :: v_dual_mov_b32 v24, s19
	v_mov_b32_e32 v23, s18
	s_mov_b32 s1, 0
	s_set_inst_prefetch_distance 0x1
	.p2align	6
.LBB355_47:                             ; =>This Inner Loop Header: Depth=1
	s_delay_alu instid0(VALU_DEP_1) | instskip(SKIP_1) | instid1(VALU_DEP_1)
	v_sub_co_u32 v27, vcc_lo, v23, v18
	v_sub_co_ci_u32_e32 v28, vcc_lo, v24, v19, vcc_lo
	v_lshrrev_b64 v[31:32], 1, v[27:28]
	v_lshrrev_b64 v[27:28], 6, v[27:28]
	s_delay_alu instid0(VALU_DEP_2) | instskip(NEXT) | instid1(VALU_DEP_3)
	v_add_co_u32 v6, vcc_lo, v31, v18
	v_add_co_ci_u32_e32 v10, vcc_lo, v32, v19, vcc_lo
	s_delay_alu instid0(VALU_DEP_2) | instskip(NEXT) | instid1(VALU_DEP_2)
	v_add_co_u32 v27, vcc_lo, v6, v27
	v_add_co_ci_u32_e32 v28, vcc_lo, v10, v28, vcc_lo
	s_delay_alu instid0(VALU_DEP_1) | instskip(NEXT) | instid1(VALU_DEP_1)
	v_lshlrev_b64 v[31:32], 3, v[27:28]
	v_add_co_u32 v31, vcc_lo, s16, v31
	s_delay_alu instid0(VALU_DEP_2)
	v_add_co_ci_u32_e32 v32, vcc_lo, s17, v32, vcc_lo
	v_add_co_u32 v6, vcc_lo, v27, 1
	v_add_co_ci_u32_e32 v10, vcc_lo, 0, v28, vcc_lo
	global_load_b64 v[31:32], v[31:32], off
	s_waitcnt vmcnt(0) lgkmcnt(3)
	v_cmp_gt_u64_e64 s0, v[31:32], v[15:16]
	s_delay_alu instid0(VALU_DEP_1) | instskip(SKIP_3) | instid1(VALU_DEP_1)
	v_cndmask_b32_e64 v24, v24, v28, s0
	v_cndmask_b32_e64 v23, v23, v27, s0
	;; [unrolled: 1-line block ×4, first 2 shown]
	v_cmp_ge_u64_e32 vcc_lo, v[18:19], v[23:24]
	s_or_b32 s1, vcc_lo, s1
	s_delay_alu instid0(SALU_CYCLE_1)
	s_and_not1_b32 exec_lo, exec_lo, s1
	s_cbranch_execnz .LBB355_47
; %bb.48:
	s_set_inst_prefetch_distance 0x2
	s_or_b32 exec_lo, exec_lo, s1
	v_cmp_ne_u32_e32 vcc_lo, 1, v2
	s_cbranch_vccnz .LBB355_64
.LBB355_49:
	s_waitcnt vmcnt(3) lgkmcnt(3)
	v_mov_b32_e32 v14, 0
	v_dual_mov_b32 v15, 0 :: v_dual_mov_b32 v20, s19
	v_mov_b32_e32 v19, s18
	s_mov_b32 s1, 0
	s_set_inst_prefetch_distance 0x1
	.p2align	6
.LBB355_50:                             ; =>This Inner Loop Header: Depth=1
	s_delay_alu instid0(VALU_DEP_1) | instskip(SKIP_1) | instid1(VALU_DEP_1)
	v_sub_co_u32 v23, vcc_lo, v19, v14
	v_sub_co_ci_u32_e32 v24, vcc_lo, v20, v15, vcc_lo
	v_lshrrev_b64 v[27:28], 1, v[23:24]
	v_lshrrev_b64 v[23:24], 6, v[23:24]
	s_delay_alu instid0(VALU_DEP_2) | instskip(NEXT) | instid1(VALU_DEP_3)
	v_add_co_u32 v6, vcc_lo, v27, v14
	v_add_co_ci_u32_e32 v10, vcc_lo, v28, v15, vcc_lo
	s_delay_alu instid0(VALU_DEP_2) | instskip(NEXT) | instid1(VALU_DEP_2)
	v_add_co_u32 v23, vcc_lo, v6, v23
	v_add_co_ci_u32_e32 v24, vcc_lo, v10, v24, vcc_lo
	s_delay_alu instid0(VALU_DEP_1) | instskip(NEXT) | instid1(VALU_DEP_1)
	v_lshlrev_b64 v[27:28], 3, v[23:24]
	v_add_co_u32 v27, vcc_lo, s16, v27
	s_delay_alu instid0(VALU_DEP_2)
	v_add_co_ci_u32_e32 v28, vcc_lo, s17, v28, vcc_lo
	v_add_co_u32 v6, vcc_lo, v23, 1
	v_add_co_ci_u32_e32 v10, vcc_lo, 0, v24, vcc_lo
	global_load_b64 v[27:28], v[27:28], off
	s_waitcnt vmcnt(0) lgkmcnt(2)
	v_cmp_gt_u64_e64 s0, v[27:28], v[11:12]
	s_delay_alu instid0(VALU_DEP_1) | instskip(SKIP_3) | instid1(VALU_DEP_1)
	v_cndmask_b32_e64 v20, v20, v24, s0
	v_cndmask_b32_e64 v19, v19, v23, s0
	;; [unrolled: 1-line block ×4, first 2 shown]
	v_cmp_ge_u64_e32 vcc_lo, v[14:15], v[19:20]
	s_or_b32 s1, vcc_lo, s1
	s_delay_alu instid0(SALU_CYCLE_1)
	s_and_not1_b32 exec_lo, exec_lo, s1
	s_cbranch_execnz .LBB355_50
; %bb.51:
	s_set_inst_prefetch_distance 0x2
	s_or_b32 exec_lo, exec_lo, s1
	v_cmp_ne_u32_e32 vcc_lo, 1, v2
	s_cbranch_vccnz .LBB355_65
.LBB355_52:
	s_waitcnt vmcnt(2) lgkmcnt(2)
	v_dual_mov_b32 v10, 0 :: v_dual_mov_b32 v15, s18
	v_dual_mov_b32 v11, 0 :: v_dual_mov_b32 v16, s19
	s_mov_b32 s1, 0
	s_set_inst_prefetch_distance 0x1
	.p2align	6
.LBB355_53:                             ; =>This Inner Loop Header: Depth=1
	s_delay_alu instid0(VALU_DEP_2) | instskip(NEXT) | instid1(VALU_DEP_2)
	v_sub_co_u32 v19, vcc_lo, v15, v10
	v_sub_co_ci_u32_e32 v20, vcc_lo, v16, v11, vcc_lo
	s_delay_alu instid0(VALU_DEP_1) | instskip(SKIP_1) | instid1(VALU_DEP_2)
	v_lshrrev_b64 v[23:24], 1, v[19:20]
	v_lshrrev_b64 v[19:20], 6, v[19:20]
	v_add_co_u32 v6, vcc_lo, v23, v10
	s_delay_alu instid0(VALU_DEP_3) | instskip(NEXT) | instid1(VALU_DEP_2)
	v_add_co_ci_u32_e32 v12, vcc_lo, v24, v11, vcc_lo
	v_add_co_u32 v19, vcc_lo, v6, v19
	s_delay_alu instid0(VALU_DEP_2) | instskip(NEXT) | instid1(VALU_DEP_1)
	v_add_co_ci_u32_e32 v20, vcc_lo, v12, v20, vcc_lo
	v_lshlrev_b64 v[23:24], 3, v[19:20]
	s_delay_alu instid0(VALU_DEP_1) | instskip(NEXT) | instid1(VALU_DEP_2)
	v_add_co_u32 v23, vcc_lo, s16, v23
	v_add_co_ci_u32_e32 v24, vcc_lo, s17, v24, vcc_lo
	v_add_co_u32 v6, vcc_lo, v19, 1
	v_add_co_ci_u32_e32 v12, vcc_lo, 0, v20, vcc_lo
	global_load_b64 v[23:24], v[23:24], off
	s_waitcnt vmcnt(0) lgkmcnt(1)
	v_cmp_gt_u64_e64 s0, v[23:24], v[7:8]
	s_delay_alu instid0(VALU_DEP_1) | instskip(SKIP_3) | instid1(VALU_DEP_1)
	v_cndmask_b32_e64 v16, v16, v20, s0
	v_cndmask_b32_e64 v15, v15, v19, s0
	;; [unrolled: 1-line block ×4, first 2 shown]
	v_cmp_ge_u64_e32 vcc_lo, v[10:11], v[15:16]
	s_or_b32 s1, vcc_lo, s1
	s_delay_alu instid0(SALU_CYCLE_1)
	s_and_not1_b32 exec_lo, exec_lo, s1
	s_cbranch_execnz .LBB355_53
; %bb.54:
	s_set_inst_prefetch_distance 0x2
	s_or_b32 exec_lo, exec_lo, s1
	v_cmp_ne_u32_e32 vcc_lo, 1, v2
	s_cbranch_vccnz .LBB355_66
.LBB355_55:
	s_waitcnt vmcnt(1) lgkmcnt(1)
	v_dual_mov_b32 v6, 0 :: v_dual_mov_b32 v11, s18
	v_dual_mov_b32 v7, 0 :: v_dual_mov_b32 v12, s19
	s_mov_b32 s1, 0
	s_set_inst_prefetch_distance 0x1
	.p2align	6
.LBB355_56:                             ; =>This Inner Loop Header: Depth=1
	s_delay_alu instid0(VALU_DEP_2) | instskip(NEXT) | instid1(VALU_DEP_2)
	v_sub_co_u32 v15, vcc_lo, v11, v6
	v_sub_co_ci_u32_e32 v16, vcc_lo, v12, v7, vcc_lo
	s_delay_alu instid0(VALU_DEP_1) | instskip(SKIP_1) | instid1(VALU_DEP_2)
	v_lshrrev_b64 v[19:20], 1, v[15:16]
	v_lshrrev_b64 v[15:16], 6, v[15:16]
	v_add_co_u32 v2, vcc_lo, v19, v6
	s_delay_alu instid0(VALU_DEP_3) | instskip(NEXT) | instid1(VALU_DEP_2)
	v_add_co_ci_u32_e32 v8, vcc_lo, v20, v7, vcc_lo
	v_add_co_u32 v15, vcc_lo, v2, v15
	s_delay_alu instid0(VALU_DEP_2) | instskip(NEXT) | instid1(VALU_DEP_1)
	v_add_co_ci_u32_e32 v16, vcc_lo, v8, v16, vcc_lo
	v_lshlrev_b64 v[19:20], 3, v[15:16]
	s_delay_alu instid0(VALU_DEP_1) | instskip(NEXT) | instid1(VALU_DEP_2)
	v_add_co_u32 v19, vcc_lo, s16, v19
	v_add_co_ci_u32_e32 v20, vcc_lo, s17, v20, vcc_lo
	v_add_co_u32 v2, vcc_lo, v15, 1
	v_add_co_ci_u32_e32 v8, vcc_lo, 0, v16, vcc_lo
	global_load_b64 v[19:20], v[19:20], off
	s_waitcnt vmcnt(0) lgkmcnt(0)
	v_cmp_gt_u64_e64 s0, v[19:20], v[3:4]
	s_delay_alu instid0(VALU_DEP_1) | instskip(SKIP_3) | instid1(VALU_DEP_1)
	v_cndmask_b32_e64 v12, v12, v16, s0
	v_cndmask_b32_e64 v11, v11, v15, s0
	v_cndmask_b32_e64 v7, v8, v7, s0
	v_cndmask_b32_e64 v6, v2, v6, s0
	v_cmp_ge_u64_e32 vcc_lo, v[6:7], v[11:12]
	s_or_b32 s1, vcc_lo, s1
	s_delay_alu instid0(SALU_CYCLE_1)
	s_and_not1_b32 exec_lo, exec_lo, s1
	s_cbranch_execnz .LBB355_56
; %bb.57:
	s_set_inst_prefetch_distance 0x2
	s_or_b32 exec_lo, exec_lo, s1
	s_branch .LBB355_67
.LBB355_58:
	s_mov_b32 s24, s21
                                        ; implicit-def: $vgpr6
                                        ; implicit-def: $vgpr2_vgpr3
	s_and_b32 vcc_lo, exec_lo, s0
	s_cbranch_vccnz .LBB355_68
	s_branch .LBB355_197
.LBB355_59:
	s_waitcnt vmcnt(8) lgkmcnt(8)
	v_mov_b32_e32 v33, 0
	v_cmp_ne_u32_e32 vcc_lo, 1, v2
	s_cbranch_vccz .LBB355_37
.LBB355_60:
	v_mov_b32_e32 v30, 0
	v_cmp_ne_u32_e32 vcc_lo, 1, v2
	s_cbranch_vccz .LBB355_40
.LBB355_61:
	v_mov_b32_e32 v26, 0
	v_cmp_ne_u32_e32 vcc_lo, 1, v2
	s_cbranch_vccz .LBB355_43
.LBB355_62:
	v_mov_b32_e32 v22, 0
	v_cmp_ne_u32_e32 vcc_lo, 1, v2
	s_cbranch_vccz .LBB355_46
.LBB355_63:
	v_mov_b32_e32 v18, 0
	v_cmp_ne_u32_e32 vcc_lo, 1, v2
	s_cbranch_vccz .LBB355_49
.LBB355_64:
	v_mov_b32_e32 v14, 0
	v_cmp_ne_u32_e32 vcc_lo, 1, v2
	s_cbranch_vccz .LBB355_52
.LBB355_65:
	v_mov_b32_e32 v10, 0
	v_cmp_ne_u32_e32 vcc_lo, 1, v2
	s_cbranch_vccz .LBB355_55
.LBB355_66:
	v_mov_b32_e32 v6, 0
.LBB355_67:
	v_lshlrev_b32_e32 v2, 2, v0
	s_lshl_b64 s[0:1], s[20:21], 2
	s_mov_b32 s24, -1
	s_add_u32 s0, s22, s0
	s_addc_u32 s1, s23, s1
	v_add_co_u32 v2, s0, s0, v2
	s_waitcnt vmcnt(0) lgkmcnt(0)
	v_add_co_ci_u32_e64 v3, null, s1, 0, s0
	s_clause 0xe
	flat_store_b32 v[2:3], v1
	flat_store_b32 v[2:3], v5 offset:256
	flat_store_b32 v[2:3], v9 offset:512
	;; [unrolled: 1-line block ×14, first 2 shown]
	s_branch .LBB355_197
.LBB355_68:
	s_sub_i32 s15, s8, s20
                                        ; implicit-def: $vgpr5_vgpr6
	s_delay_alu instid0(SALU_CYCLE_1) | instskip(NEXT) | instid1(VALU_DEP_1)
	v_cmp_gt_u32_e64 s0, s15, v0
	s_and_saveexec_b32 s1, s0
	s_cbranch_execz .LBB355_70
; %bb.69:
	v_lshlrev_b32_e32 v1, 3, v0
	s_delay_alu instid0(VALU_DEP_1) | instskip(NEXT) | instid1(VALU_DEP_1)
	v_add_co_u32 v1, s2, s25, v1
	v_add_co_ci_u32_e64 v2, null, s26, 0, s2
	flat_load_b64 v[5:6], v[1:2]
.LBB355_70:
	s_or_b32 exec_lo, exec_lo, s1
	v_or_b32_e32 v1, 64, v0
                                        ; implicit-def: $vgpr11_vgpr12
	s_delay_alu instid0(VALU_DEP_1) | instskip(NEXT) | instid1(VALU_DEP_1)
	v_cmp_gt_u32_e64 s1, s15, v1
	s_and_saveexec_b32 s2, s1
	s_cbranch_execz .LBB355_72
; %bb.71:
	v_lshlrev_b32_e32 v1, 3, v0
	s_delay_alu instid0(VALU_DEP_1) | instskip(NEXT) | instid1(VALU_DEP_1)
	v_add_co_u32 v1, s3, s25, v1
	v_add_co_ci_u32_e64 v2, null, s26, 0, s3
	flat_load_b64 v[11:12], v[1:2] offset:512
.LBB355_72:
	s_or_b32 exec_lo, exec_lo, s2
	v_or_b32_e32 v1, 0x80, v0
                                        ; implicit-def: $vgpr15_vgpr16
	s_delay_alu instid0(VALU_DEP_1) | instskip(NEXT) | instid1(VALU_DEP_1)
	v_cmp_gt_u32_e64 s2, s15, v1
	s_and_saveexec_b32 s3, s2
	s_cbranch_execz .LBB355_74
; %bb.73:
	v_lshlrev_b32_e32 v1, 3, v0
	s_delay_alu instid0(VALU_DEP_1) | instskip(NEXT) | instid1(VALU_DEP_1)
	v_add_co_u32 v1, s4, s25, v1
	v_add_co_ci_u32_e64 v2, null, s26, 0, s4
	flat_load_b64 v[15:16], v[1:2] offset:1024
.LBB355_74:
	s_or_b32 exec_lo, exec_lo, s3
	v_or_b32_e32 v1, 0xc0, v0
                                        ; implicit-def: $vgpr19_vgpr20
	s_delay_alu instid0(VALU_DEP_1) | instskip(NEXT) | instid1(VALU_DEP_1)
	v_cmp_gt_u32_e64 s3, s15, v1
	s_and_saveexec_b32 s4, s3
	s_cbranch_execz .LBB355_76
; %bb.75:
	v_lshlrev_b32_e32 v1, 3, v0
	s_delay_alu instid0(VALU_DEP_1) | instskip(NEXT) | instid1(VALU_DEP_1)
	v_add_co_u32 v1, s5, s25, v1
	v_add_co_ci_u32_e64 v2, null, s26, 0, s5
	flat_load_b64 v[19:20], v[1:2] offset:1536
.LBB355_76:
	s_or_b32 exec_lo, exec_lo, s4
	v_or_b32_e32 v1, 0x100, v0
                                        ; implicit-def: $vgpr23_vgpr24
	s_delay_alu instid0(VALU_DEP_1) | instskip(NEXT) | instid1(VALU_DEP_1)
	v_cmp_gt_u32_e64 s4, s15, v1
	s_and_saveexec_b32 s5, s4
	s_cbranch_execz .LBB355_78
; %bb.77:
	v_lshlrev_b32_e32 v1, 3, v0
	s_delay_alu instid0(VALU_DEP_1) | instskip(NEXT) | instid1(VALU_DEP_1)
	v_add_co_u32 v1, s6, s25, v1
	v_add_co_ci_u32_e64 v2, null, s26, 0, s6
	flat_load_b64 v[23:24], v[1:2] offset:2048
.LBB355_78:
	s_or_b32 exec_lo, exec_lo, s5
	v_or_b32_e32 v1, 0x140, v0
                                        ; implicit-def: $vgpr27_vgpr28
	s_delay_alu instid0(VALU_DEP_1) | instskip(NEXT) | instid1(VALU_DEP_1)
	v_cmp_gt_u32_e64 s5, s15, v1
	s_and_saveexec_b32 s6, s5
	s_cbranch_execz .LBB355_80
; %bb.79:
	v_lshlrev_b32_e32 v1, 3, v0
	s_delay_alu instid0(VALU_DEP_1) | instskip(NEXT) | instid1(VALU_DEP_1)
	v_add_co_u32 v1, s7, s25, v1
	v_add_co_ci_u32_e64 v2, null, s26, 0, s7
	flat_load_b64 v[27:28], v[1:2] offset:2560
.LBB355_80:
	s_or_b32 exec_lo, exec_lo, s6
	v_or_b32_e32 v1, 0x180, v0
                                        ; implicit-def: $vgpr31_vgpr32
	s_delay_alu instid0(VALU_DEP_1) | instskip(NEXT) | instid1(VALU_DEP_1)
	v_cmp_gt_u32_e64 s6, s15, v1
	s_and_saveexec_b32 s7, s6
	s_cbranch_execz .LBB355_82
; %bb.81:
	v_lshlrev_b32_e32 v1, 3, v0
	s_delay_alu instid0(VALU_DEP_1) | instskip(NEXT) | instid1(VALU_DEP_1)
	v_add_co_u32 v1, s8, s25, v1
	v_add_co_ci_u32_e64 v2, null, s26, 0, s8
	flat_load_b64 v[31:32], v[1:2] offset:3072
.LBB355_82:
	s_or_b32 exec_lo, exec_lo, s7
	v_or_b32_e32 v1, 0x1c0, v0
                                        ; implicit-def: $vgpr33_vgpr34
	s_delay_alu instid0(VALU_DEP_1) | instskip(NEXT) | instid1(VALU_DEP_1)
	v_cmp_gt_u32_e64 s7, s15, v1
	s_and_saveexec_b32 s8, s7
	s_cbranch_execz .LBB355_84
; %bb.83:
	v_lshlrev_b32_e32 v1, 3, v0
	s_delay_alu instid0(VALU_DEP_1) | instskip(NEXT) | instid1(VALU_DEP_1)
	v_add_co_u32 v1, s9, s25, v1
	v_add_co_ci_u32_e64 v2, null, s26, 0, s9
	flat_load_b64 v[33:34], v[1:2] offset:3584
.LBB355_84:
	s_or_b32 exec_lo, exec_lo, s8
	v_or_b32_e32 v1, 0x200, v0
                                        ; implicit-def: $vgpr29_vgpr30
	s_delay_alu instid0(VALU_DEP_1) | instskip(NEXT) | instid1(VALU_DEP_1)
	v_cmp_gt_u32_e64 s8, s15, v1
	s_and_saveexec_b32 s9, s8
	s_cbranch_execz .LBB355_86
; %bb.85:
	v_lshlrev_b32_e32 v1, 3, v1
	s_delay_alu instid0(VALU_DEP_1) | instskip(NEXT) | instid1(VALU_DEP_1)
	v_add_co_u32 v1, s10, s25, v1
	v_add_co_ci_u32_e64 v2, null, s26, 0, s10
	flat_load_b64 v[29:30], v[1:2]
.LBB355_86:
	s_or_b32 exec_lo, exec_lo, s9
	v_or_b32_e32 v1, 0x240, v0
                                        ; implicit-def: $vgpr25_vgpr26
	s_delay_alu instid0(VALU_DEP_1) | instskip(NEXT) | instid1(VALU_DEP_1)
	v_cmp_gt_u32_e64 s9, s15, v1
	s_and_saveexec_b32 s10, s9
	s_cbranch_execz .LBB355_88
; %bb.87:
	v_lshlrev_b32_e32 v1, 3, v1
	s_delay_alu instid0(VALU_DEP_1) | instskip(NEXT) | instid1(VALU_DEP_1)
	v_add_co_u32 v1, s11, s25, v1
	v_add_co_ci_u32_e64 v2, null, s26, 0, s11
	flat_load_b64 v[25:26], v[1:2]
.LBB355_88:
	s_or_b32 exec_lo, exec_lo, s10
	v_or_b32_e32 v1, 0x280, v0
                                        ; implicit-def: $vgpr21_vgpr22
	s_delay_alu instid0(VALU_DEP_1) | instskip(NEXT) | instid1(VALU_DEP_1)
	v_cmp_gt_u32_e64 s10, s15, v1
	s_and_saveexec_b32 s11, s10
	s_cbranch_execz .LBB355_90
; %bb.89:
	v_lshlrev_b32_e32 v1, 3, v1
	s_delay_alu instid0(VALU_DEP_1) | instskip(NEXT) | instid1(VALU_DEP_1)
	v_add_co_u32 v1, s12, s25, v1
	v_add_co_ci_u32_e64 v2, null, s26, 0, s12
	flat_load_b64 v[21:22], v[1:2]
.LBB355_90:
	s_or_b32 exec_lo, exec_lo, s11
	v_or_b32_e32 v1, 0x2c0, v0
                                        ; implicit-def: $vgpr17_vgpr18
	s_delay_alu instid0(VALU_DEP_1) | instskip(NEXT) | instid1(VALU_DEP_1)
	v_cmp_gt_u32_e64 s11, s15, v1
	s_and_saveexec_b32 s12, s11
	s_cbranch_execz .LBB355_92
; %bb.91:
	v_lshlrev_b32_e32 v1, 3, v1
	s_delay_alu instid0(VALU_DEP_1) | instskip(NEXT) | instid1(VALU_DEP_1)
	v_add_co_u32 v1, s13, s25, v1
	v_add_co_ci_u32_e64 v2, null, s26, 0, s13
	flat_load_b64 v[17:18], v[1:2]
.LBB355_92:
	s_or_b32 exec_lo, exec_lo, s12
	v_or_b32_e32 v1, 0x300, v0
                                        ; implicit-def: $vgpr13_vgpr14
	s_delay_alu instid0(VALU_DEP_1) | instskip(NEXT) | instid1(VALU_DEP_1)
	v_cmp_gt_u32_e64 s12, s15, v1
	s_and_saveexec_b32 s13, s12
	s_cbranch_execz .LBB355_94
; %bb.93:
	v_lshlrev_b32_e32 v1, 3, v1
	s_delay_alu instid0(VALU_DEP_1) | instskip(NEXT) | instid1(VALU_DEP_1)
	v_add_co_u32 v1, s14, s25, v1
	v_add_co_ci_u32_e64 v2, null, s26, 0, s14
	flat_load_b64 v[13:14], v[1:2]
.LBB355_94:
	s_or_b32 exec_lo, exec_lo, s13
	v_or_b32_e32 v1, 0x340, v0
                                        ; implicit-def: $vgpr9_vgpr10
	s_delay_alu instid0(VALU_DEP_1) | instskip(NEXT) | instid1(VALU_DEP_1)
	v_cmp_gt_u32_e64 s13, s15, v1
	s_and_saveexec_b32 s14, s13
	s_cbranch_execz .LBB355_96
; %bb.95:
	v_lshlrev_b32_e32 v1, 3, v1
	s_delay_alu instid0(VALU_DEP_1) | instskip(NEXT) | instid1(VALU_DEP_1)
	v_add_co_u32 v1, s24, s25, v1
	v_add_co_ci_u32_e64 v2, null, s26, 0, s24
	flat_load_b64 v[9:10], v[1:2]
.LBB355_96:
	s_or_b32 exec_lo, exec_lo, s14
	v_or_b32_e32 v1, 0x380, v0
                                        ; implicit-def: $vgpr7_vgpr8
	s_delay_alu instid0(VALU_DEP_1) | instskip(NEXT) | instid1(VALU_DEP_1)
	v_cmp_gt_u32_e64 s14, s15, v1
	s_and_saveexec_b32 s24, s14
	s_cbranch_execz .LBB355_98
; %bb.97:
	v_lshlrev_b32_e32 v1, 3, v1
	s_delay_alu instid0(VALU_DEP_1) | instskip(NEXT) | instid1(VALU_DEP_1)
	v_add_co_u32 v1, s27, s25, v1
	v_add_co_ci_u32_e64 v2, null, s26, 0, s27
	flat_load_b64 v[7:8], v[1:2]
.LBB355_98:
	s_or_b32 exec_lo, exec_lo, s24
	v_or_b32_e32 v1, 0x3c0, v0
                                        ; implicit-def: $vgpr3_vgpr4
	s_delay_alu instid0(VALU_DEP_1) | instskip(NEXT) | instid1(VALU_DEP_1)
	v_cmp_gt_u32_e64 s24, s15, v1
	s_and_saveexec_b32 s15, s24
	s_cbranch_execz .LBB355_100
; %bb.99:
	v_lshlrev_b32_e32 v1, 3, v1
	s_delay_alu instid0(VALU_DEP_1) | instskip(NEXT) | instid1(VALU_DEP_1)
	v_add_co_u32 v1, s25, s25, v1
	v_add_co_ci_u32_e64 v2, null, s26, 0, s25
	flat_load_b64 v[3:4], v[1:2]
.LBB355_100:
	s_or_b32 exec_lo, exec_lo, s15
	s_cmp_lg_u64 s[18:19], 0
                                        ; implicit-def: $vgpr1
	s_cselect_b32 s25, -1, 0
	s_and_saveexec_b32 s26, s0
	s_cbranch_execz .LBB355_105
; %bb.101:
	v_mov_b32_e32 v1, 0
	v_mov_b32_e32 v2, 0
	s_and_not1_b32 vcc_lo, exec_lo, s25
	s_cbranch_vccnz .LBB355_105
; %bb.102:
	v_dual_mov_b32 v36, s19 :: v_dual_mov_b32 v35, s18
	s_mov_b32 s27, 0
	s_set_inst_prefetch_distance 0x1
	.p2align	6
.LBB355_103:                            ; =>This Inner Loop Header: Depth=1
	s_delay_alu instid0(VALU_DEP_1) | instskip(NEXT) | instid1(VALU_DEP_2)
	v_sub_co_u32 v37, vcc_lo, v35, v1
	v_sub_co_ci_u32_e32 v38, vcc_lo, v36, v2, vcc_lo
	s_delay_alu instid0(VALU_DEP_1) | instskip(SKIP_1) | instid1(VALU_DEP_2)
	v_lshrrev_b64 v[39:40], 1, v[37:38]
	v_lshrrev_b64 v[37:38], 6, v[37:38]
	v_add_co_u32 v39, vcc_lo, v39, v1
	s_delay_alu instid0(VALU_DEP_3) | instskip(NEXT) | instid1(VALU_DEP_2)
	v_add_co_ci_u32_e32 v40, vcc_lo, v40, v2, vcc_lo
	v_add_co_u32 v37, vcc_lo, v39, v37
	s_delay_alu instid0(VALU_DEP_2) | instskip(NEXT) | instid1(VALU_DEP_1)
	v_add_co_ci_u32_e32 v38, vcc_lo, v40, v38, vcc_lo
	v_lshlrev_b64 v[39:40], 3, v[37:38]
	s_delay_alu instid0(VALU_DEP_1) | instskip(NEXT) | instid1(VALU_DEP_2)
	v_add_co_u32 v39, vcc_lo, s16, v39
	v_add_co_ci_u32_e32 v40, vcc_lo, s17, v40, vcc_lo
	v_add_co_u32 v41, vcc_lo, v37, 1
	global_load_b64 v[39:40], v[39:40], off
	s_waitcnt vmcnt(0) lgkmcnt(0)
	v_cmp_gt_u64_e64 s15, v[39:40], v[5:6]
	v_add_co_ci_u32_e32 v39, vcc_lo, 0, v38, vcc_lo
	s_delay_alu instid0(VALU_DEP_2) | instskip(SKIP_1) | instid1(VALU_DEP_3)
	v_cndmask_b32_e64 v36, v36, v38, s15
	v_cndmask_b32_e64 v35, v35, v37, s15
	;; [unrolled: 1-line block ×4, first 2 shown]
	s_delay_alu instid0(VALU_DEP_1) | instskip(SKIP_1) | instid1(SALU_CYCLE_1)
	v_cmp_ge_u64_e32 vcc_lo, v[1:2], v[35:36]
	s_or_b32 s27, vcc_lo, s27
	s_and_not1_b32 exec_lo, exec_lo, s27
	s_cbranch_execnz .LBB355_103
; %bb.104:
	s_set_inst_prefetch_distance 0x2
	s_or_b32 exec_lo, exec_lo, s27
.LBB355_105:
	s_delay_alu instid0(SALU_CYCLE_1)
	s_or_b32 exec_lo, exec_lo, s26
                                        ; implicit-def: $vgpr5
	s_and_saveexec_b32 s26, s1
	s_cbranch_execz .LBB355_110
; %bb.106:
	s_waitcnt vmcnt(0) lgkmcnt(0)
	v_mov_b32_e32 v5, 0
	v_mov_b32_e32 v6, 0
	s_and_not1_b32 vcc_lo, exec_lo, s25
	s_cbranch_vccnz .LBB355_110
; %bb.107:
	v_dual_mov_b32 v36, s19 :: v_dual_mov_b32 v35, s18
	s_mov_b32 s27, 0
	s_set_inst_prefetch_distance 0x1
	.p2align	6
.LBB355_108:                            ; =>This Inner Loop Header: Depth=1
	s_delay_alu instid0(VALU_DEP_1) | instskip(NEXT) | instid1(VALU_DEP_2)
	v_sub_co_u32 v37, vcc_lo, v35, v5
	v_sub_co_ci_u32_e32 v38, vcc_lo, v36, v6, vcc_lo
	s_delay_alu instid0(VALU_DEP_1) | instskip(SKIP_1) | instid1(VALU_DEP_2)
	v_lshrrev_b64 v[39:40], 1, v[37:38]
	v_lshrrev_b64 v[37:38], 6, v[37:38]
	v_add_co_u32 v2, vcc_lo, v39, v5
	s_delay_alu instid0(VALU_DEP_3) | instskip(NEXT) | instid1(VALU_DEP_2)
	v_add_co_ci_u32_e32 v39, vcc_lo, v40, v6, vcc_lo
	v_add_co_u32 v37, vcc_lo, v2, v37
	s_delay_alu instid0(VALU_DEP_2) | instskip(NEXT) | instid1(VALU_DEP_1)
	v_add_co_ci_u32_e32 v38, vcc_lo, v39, v38, vcc_lo
	v_lshlrev_b64 v[39:40], 3, v[37:38]
	s_delay_alu instid0(VALU_DEP_1) | instskip(NEXT) | instid1(VALU_DEP_2)
	v_add_co_u32 v39, vcc_lo, s16, v39
	v_add_co_ci_u32_e32 v40, vcc_lo, s17, v40, vcc_lo
	v_add_co_u32 v2, vcc_lo, v37, 1
	global_load_b64 v[39:40], v[39:40], off
	s_waitcnt vmcnt(0)
	v_cmp_gt_u64_e64 s15, v[39:40], v[11:12]
	v_add_co_ci_u32_e32 v39, vcc_lo, 0, v38, vcc_lo
	s_delay_alu instid0(VALU_DEP_2) | instskip(SKIP_1) | instid1(VALU_DEP_3)
	v_cndmask_b32_e64 v36, v36, v38, s15
	v_cndmask_b32_e64 v35, v35, v37, s15
	;; [unrolled: 1-line block ×4, first 2 shown]
	s_delay_alu instid0(VALU_DEP_1) | instskip(SKIP_1) | instid1(SALU_CYCLE_1)
	v_cmp_ge_u64_e32 vcc_lo, v[5:6], v[35:36]
	s_or_b32 s27, vcc_lo, s27
	s_and_not1_b32 exec_lo, exec_lo, s27
	s_cbranch_execnz .LBB355_108
; %bb.109:
	s_set_inst_prefetch_distance 0x2
	s_or_b32 exec_lo, exec_lo, s27
.LBB355_110:
	s_delay_alu instid0(SALU_CYCLE_1)
	s_or_b32 exec_lo, exec_lo, s26
                                        ; implicit-def: $vgpr11
	s_and_saveexec_b32 s26, s2
	s_cbranch_execz .LBB355_115
; %bb.111:
	s_waitcnt vmcnt(0) lgkmcnt(0)
	v_mov_b32_e32 v11, 0
	v_mov_b32_e32 v12, 0
	s_and_not1_b32 vcc_lo, exec_lo, s25
	s_cbranch_vccnz .LBB355_115
; %bb.112:
	v_dual_mov_b32 v36, s19 :: v_dual_mov_b32 v35, s18
	s_mov_b32 s27, 0
	s_set_inst_prefetch_distance 0x1
	.p2align	6
.LBB355_113:                            ; =>This Inner Loop Header: Depth=1
	s_delay_alu instid0(VALU_DEP_1) | instskip(NEXT) | instid1(VALU_DEP_2)
	v_sub_co_u32 v37, vcc_lo, v35, v11
	v_sub_co_ci_u32_e32 v38, vcc_lo, v36, v12, vcc_lo
	s_delay_alu instid0(VALU_DEP_1) | instskip(SKIP_1) | instid1(VALU_DEP_2)
	v_lshrrev_b64 v[39:40], 1, v[37:38]
	v_lshrrev_b64 v[37:38], 6, v[37:38]
	v_add_co_u32 v2, vcc_lo, v39, v11
	s_delay_alu instid0(VALU_DEP_3) | instskip(NEXT) | instid1(VALU_DEP_2)
	v_add_co_ci_u32_e32 v6, vcc_lo, v40, v12, vcc_lo
	v_add_co_u32 v37, vcc_lo, v2, v37
	s_delay_alu instid0(VALU_DEP_2) | instskip(NEXT) | instid1(VALU_DEP_1)
	v_add_co_ci_u32_e32 v38, vcc_lo, v6, v38, vcc_lo
	v_lshlrev_b64 v[39:40], 3, v[37:38]
	s_delay_alu instid0(VALU_DEP_1) | instskip(NEXT) | instid1(VALU_DEP_2)
	v_add_co_u32 v39, vcc_lo, s16, v39
	v_add_co_ci_u32_e32 v40, vcc_lo, s17, v40, vcc_lo
	v_add_co_u32 v2, vcc_lo, v37, 1
	v_add_co_ci_u32_e32 v6, vcc_lo, 0, v38, vcc_lo
	global_load_b64 v[39:40], v[39:40], off
	s_waitcnt vmcnt(0)
	v_cmp_gt_u64_e64 s15, v[39:40], v[15:16]
	s_delay_alu instid0(VALU_DEP_1) | instskip(SKIP_3) | instid1(VALU_DEP_1)
	v_cndmask_b32_e64 v36, v36, v38, s15
	v_cndmask_b32_e64 v35, v35, v37, s15
	;; [unrolled: 1-line block ×4, first 2 shown]
	v_cmp_ge_u64_e32 vcc_lo, v[11:12], v[35:36]
	s_or_b32 s27, vcc_lo, s27
	s_delay_alu instid0(SALU_CYCLE_1)
	s_and_not1_b32 exec_lo, exec_lo, s27
	s_cbranch_execnz .LBB355_113
; %bb.114:
	s_set_inst_prefetch_distance 0x2
	s_or_b32 exec_lo, exec_lo, s27
.LBB355_115:
	s_delay_alu instid0(SALU_CYCLE_1)
	s_or_b32 exec_lo, exec_lo, s26
                                        ; implicit-def: $vgpr15
	s_and_saveexec_b32 s26, s3
	s_cbranch_execz .LBB355_120
; %bb.116:
	s_waitcnt vmcnt(0) lgkmcnt(0)
	v_mov_b32_e32 v15, 0
	v_mov_b32_e32 v16, 0
	s_and_not1_b32 vcc_lo, exec_lo, s25
	s_cbranch_vccnz .LBB355_120
; %bb.117:
	v_dual_mov_b32 v36, s19 :: v_dual_mov_b32 v35, s18
	s_mov_b32 s27, 0
	s_set_inst_prefetch_distance 0x1
	.p2align	6
.LBB355_118:                            ; =>This Inner Loop Header: Depth=1
	s_delay_alu instid0(VALU_DEP_1) | instskip(NEXT) | instid1(VALU_DEP_2)
	v_sub_co_u32 v37, vcc_lo, v35, v15
	v_sub_co_ci_u32_e32 v38, vcc_lo, v36, v16, vcc_lo
	s_delay_alu instid0(VALU_DEP_1) | instskip(SKIP_1) | instid1(VALU_DEP_2)
	v_lshrrev_b64 v[39:40], 1, v[37:38]
	v_lshrrev_b64 v[37:38], 6, v[37:38]
	v_add_co_u32 v2, vcc_lo, v39, v15
	s_delay_alu instid0(VALU_DEP_3) | instskip(NEXT) | instid1(VALU_DEP_2)
	v_add_co_ci_u32_e32 v6, vcc_lo, v40, v16, vcc_lo
	v_add_co_u32 v37, vcc_lo, v2, v37
	s_delay_alu instid0(VALU_DEP_2) | instskip(NEXT) | instid1(VALU_DEP_1)
	v_add_co_ci_u32_e32 v38, vcc_lo, v6, v38, vcc_lo
	v_lshlrev_b64 v[39:40], 3, v[37:38]
	s_delay_alu instid0(VALU_DEP_1) | instskip(NEXT) | instid1(VALU_DEP_2)
	v_add_co_u32 v39, vcc_lo, s16, v39
	v_add_co_ci_u32_e32 v40, vcc_lo, s17, v40, vcc_lo
	v_add_co_u32 v2, vcc_lo, v37, 1
	v_add_co_ci_u32_e32 v6, vcc_lo, 0, v38, vcc_lo
	global_load_b64 v[39:40], v[39:40], off
	s_waitcnt vmcnt(0)
	v_cmp_gt_u64_e64 s15, v[39:40], v[19:20]
	s_delay_alu instid0(VALU_DEP_1) | instskip(SKIP_3) | instid1(VALU_DEP_1)
	v_cndmask_b32_e64 v36, v36, v38, s15
	v_cndmask_b32_e64 v35, v35, v37, s15
	v_cndmask_b32_e64 v16, v6, v16, s15
	v_cndmask_b32_e64 v15, v2, v15, s15
	v_cmp_ge_u64_e32 vcc_lo, v[15:16], v[35:36]
	s_or_b32 s27, vcc_lo, s27
	s_delay_alu instid0(SALU_CYCLE_1)
	s_and_not1_b32 exec_lo, exec_lo, s27
	s_cbranch_execnz .LBB355_118
; %bb.119:
	s_set_inst_prefetch_distance 0x2
	s_or_b32 exec_lo, exec_lo, s27
.LBB355_120:
	s_delay_alu instid0(SALU_CYCLE_1)
	s_or_b32 exec_lo, exec_lo, s26
                                        ; implicit-def: $vgpr19
	s_and_saveexec_b32 s26, s4
	s_cbranch_execz .LBB355_125
; %bb.121:
	s_waitcnt vmcnt(0) lgkmcnt(0)
	v_mov_b32_e32 v19, 0
	v_mov_b32_e32 v20, 0
	s_and_not1_b32 vcc_lo, exec_lo, s25
	s_cbranch_vccnz .LBB355_125
; %bb.122:
	v_dual_mov_b32 v36, s19 :: v_dual_mov_b32 v35, s18
	s_mov_b32 s27, 0
	s_set_inst_prefetch_distance 0x1
	.p2align	6
.LBB355_123:                            ; =>This Inner Loop Header: Depth=1
	s_delay_alu instid0(VALU_DEP_1) | instskip(NEXT) | instid1(VALU_DEP_2)
	v_sub_co_u32 v37, vcc_lo, v35, v19
	v_sub_co_ci_u32_e32 v38, vcc_lo, v36, v20, vcc_lo
	s_delay_alu instid0(VALU_DEP_1) | instskip(SKIP_1) | instid1(VALU_DEP_2)
	v_lshrrev_b64 v[39:40], 1, v[37:38]
	v_lshrrev_b64 v[37:38], 6, v[37:38]
	v_add_co_u32 v2, vcc_lo, v39, v19
	s_delay_alu instid0(VALU_DEP_3) | instskip(NEXT) | instid1(VALU_DEP_2)
	v_add_co_ci_u32_e32 v6, vcc_lo, v40, v20, vcc_lo
	v_add_co_u32 v37, vcc_lo, v2, v37
	s_delay_alu instid0(VALU_DEP_2) | instskip(NEXT) | instid1(VALU_DEP_1)
	v_add_co_ci_u32_e32 v38, vcc_lo, v6, v38, vcc_lo
	v_lshlrev_b64 v[39:40], 3, v[37:38]
	s_delay_alu instid0(VALU_DEP_1) | instskip(NEXT) | instid1(VALU_DEP_2)
	v_add_co_u32 v39, vcc_lo, s16, v39
	v_add_co_ci_u32_e32 v40, vcc_lo, s17, v40, vcc_lo
	v_add_co_u32 v2, vcc_lo, v37, 1
	v_add_co_ci_u32_e32 v6, vcc_lo, 0, v38, vcc_lo
	global_load_b64 v[39:40], v[39:40], off
	s_waitcnt vmcnt(0)
	v_cmp_gt_u64_e64 s15, v[39:40], v[23:24]
	s_delay_alu instid0(VALU_DEP_1) | instskip(SKIP_3) | instid1(VALU_DEP_1)
	v_cndmask_b32_e64 v36, v36, v38, s15
	v_cndmask_b32_e64 v35, v35, v37, s15
	;; [unrolled: 1-line block ×4, first 2 shown]
	v_cmp_ge_u64_e32 vcc_lo, v[19:20], v[35:36]
	s_or_b32 s27, vcc_lo, s27
	s_delay_alu instid0(SALU_CYCLE_1)
	s_and_not1_b32 exec_lo, exec_lo, s27
	s_cbranch_execnz .LBB355_123
; %bb.124:
	s_set_inst_prefetch_distance 0x2
	s_or_b32 exec_lo, exec_lo, s27
.LBB355_125:
	s_delay_alu instid0(SALU_CYCLE_1)
	s_or_b32 exec_lo, exec_lo, s26
                                        ; implicit-def: $vgpr23
	s_and_saveexec_b32 s26, s5
	s_cbranch_execz .LBB355_130
; %bb.126:
	s_waitcnt vmcnt(0) lgkmcnt(0)
	v_mov_b32_e32 v23, 0
	v_mov_b32_e32 v24, 0
	s_and_not1_b32 vcc_lo, exec_lo, s25
	s_cbranch_vccnz .LBB355_130
; %bb.127:
	v_dual_mov_b32 v36, s19 :: v_dual_mov_b32 v35, s18
	s_mov_b32 s27, 0
	s_set_inst_prefetch_distance 0x1
	.p2align	6
.LBB355_128:                            ; =>This Inner Loop Header: Depth=1
	s_delay_alu instid0(VALU_DEP_1) | instskip(NEXT) | instid1(VALU_DEP_2)
	v_sub_co_u32 v37, vcc_lo, v35, v23
	v_sub_co_ci_u32_e32 v38, vcc_lo, v36, v24, vcc_lo
	s_delay_alu instid0(VALU_DEP_1) | instskip(SKIP_1) | instid1(VALU_DEP_2)
	v_lshrrev_b64 v[39:40], 1, v[37:38]
	v_lshrrev_b64 v[37:38], 6, v[37:38]
	v_add_co_u32 v2, vcc_lo, v39, v23
	s_delay_alu instid0(VALU_DEP_3) | instskip(NEXT) | instid1(VALU_DEP_2)
	v_add_co_ci_u32_e32 v6, vcc_lo, v40, v24, vcc_lo
	v_add_co_u32 v37, vcc_lo, v2, v37
	s_delay_alu instid0(VALU_DEP_2) | instskip(NEXT) | instid1(VALU_DEP_1)
	v_add_co_ci_u32_e32 v38, vcc_lo, v6, v38, vcc_lo
	v_lshlrev_b64 v[39:40], 3, v[37:38]
	s_delay_alu instid0(VALU_DEP_1) | instskip(NEXT) | instid1(VALU_DEP_2)
	v_add_co_u32 v39, vcc_lo, s16, v39
	v_add_co_ci_u32_e32 v40, vcc_lo, s17, v40, vcc_lo
	v_add_co_u32 v2, vcc_lo, v37, 1
	v_add_co_ci_u32_e32 v6, vcc_lo, 0, v38, vcc_lo
	global_load_b64 v[39:40], v[39:40], off
	s_waitcnt vmcnt(0)
	v_cmp_gt_u64_e64 s15, v[39:40], v[27:28]
	s_delay_alu instid0(VALU_DEP_1) | instskip(SKIP_3) | instid1(VALU_DEP_1)
	v_cndmask_b32_e64 v36, v36, v38, s15
	v_cndmask_b32_e64 v35, v35, v37, s15
	;; [unrolled: 1-line block ×4, first 2 shown]
	v_cmp_ge_u64_e32 vcc_lo, v[23:24], v[35:36]
	s_or_b32 s27, vcc_lo, s27
	s_delay_alu instid0(SALU_CYCLE_1)
	s_and_not1_b32 exec_lo, exec_lo, s27
	s_cbranch_execnz .LBB355_128
; %bb.129:
	s_set_inst_prefetch_distance 0x2
	s_or_b32 exec_lo, exec_lo, s27
.LBB355_130:
	s_delay_alu instid0(SALU_CYCLE_1)
	s_or_b32 exec_lo, exec_lo, s26
                                        ; implicit-def: $vgpr27
	s_and_saveexec_b32 s26, s6
	s_cbranch_execz .LBB355_135
; %bb.131:
	s_waitcnt vmcnt(0) lgkmcnt(0)
	v_mov_b32_e32 v27, 0
	v_mov_b32_e32 v28, 0
	s_and_not1_b32 vcc_lo, exec_lo, s25
	s_cbranch_vccnz .LBB355_135
; %bb.132:
	v_dual_mov_b32 v36, s19 :: v_dual_mov_b32 v35, s18
	s_mov_b32 s27, 0
	s_set_inst_prefetch_distance 0x1
	.p2align	6
.LBB355_133:                            ; =>This Inner Loop Header: Depth=1
	s_delay_alu instid0(VALU_DEP_1) | instskip(NEXT) | instid1(VALU_DEP_2)
	v_sub_co_u32 v37, vcc_lo, v35, v27
	v_sub_co_ci_u32_e32 v38, vcc_lo, v36, v28, vcc_lo
	s_delay_alu instid0(VALU_DEP_1) | instskip(SKIP_1) | instid1(VALU_DEP_2)
	v_lshrrev_b64 v[39:40], 1, v[37:38]
	v_lshrrev_b64 v[37:38], 6, v[37:38]
	v_add_co_u32 v2, vcc_lo, v39, v27
	s_delay_alu instid0(VALU_DEP_3) | instskip(NEXT) | instid1(VALU_DEP_2)
	v_add_co_ci_u32_e32 v6, vcc_lo, v40, v28, vcc_lo
	v_add_co_u32 v37, vcc_lo, v2, v37
	s_delay_alu instid0(VALU_DEP_2) | instskip(NEXT) | instid1(VALU_DEP_1)
	v_add_co_ci_u32_e32 v38, vcc_lo, v6, v38, vcc_lo
	v_lshlrev_b64 v[39:40], 3, v[37:38]
	s_delay_alu instid0(VALU_DEP_1) | instskip(NEXT) | instid1(VALU_DEP_2)
	v_add_co_u32 v39, vcc_lo, s16, v39
	v_add_co_ci_u32_e32 v40, vcc_lo, s17, v40, vcc_lo
	v_add_co_u32 v2, vcc_lo, v37, 1
	v_add_co_ci_u32_e32 v6, vcc_lo, 0, v38, vcc_lo
	global_load_b64 v[39:40], v[39:40], off
	s_waitcnt vmcnt(0)
	v_cmp_gt_u64_e64 s15, v[39:40], v[31:32]
	s_delay_alu instid0(VALU_DEP_1) | instskip(SKIP_3) | instid1(VALU_DEP_1)
	v_cndmask_b32_e64 v36, v36, v38, s15
	v_cndmask_b32_e64 v35, v35, v37, s15
	;; [unrolled: 1-line block ×4, first 2 shown]
	v_cmp_ge_u64_e32 vcc_lo, v[27:28], v[35:36]
	s_or_b32 s27, vcc_lo, s27
	s_delay_alu instid0(SALU_CYCLE_1)
	s_and_not1_b32 exec_lo, exec_lo, s27
	s_cbranch_execnz .LBB355_133
; %bb.134:
	s_set_inst_prefetch_distance 0x2
	s_or_b32 exec_lo, exec_lo, s27
.LBB355_135:
	s_delay_alu instid0(SALU_CYCLE_1)
	s_or_b32 exec_lo, exec_lo, s26
                                        ; implicit-def: $vgpr31
	s_and_saveexec_b32 s26, s7
	s_cbranch_execz .LBB355_140
; %bb.136:
	s_waitcnt vmcnt(0) lgkmcnt(0)
	v_mov_b32_e32 v31, 0
	v_mov_b32_e32 v32, 0
	s_and_not1_b32 vcc_lo, exec_lo, s25
	s_cbranch_vccnz .LBB355_140
; %bb.137:
	v_dual_mov_b32 v36, s19 :: v_dual_mov_b32 v35, s18
	s_mov_b32 s27, 0
	s_set_inst_prefetch_distance 0x1
	.p2align	6
.LBB355_138:                            ; =>This Inner Loop Header: Depth=1
	s_delay_alu instid0(VALU_DEP_1) | instskip(NEXT) | instid1(VALU_DEP_2)
	v_sub_co_u32 v37, vcc_lo, v35, v31
	v_sub_co_ci_u32_e32 v38, vcc_lo, v36, v32, vcc_lo
	s_delay_alu instid0(VALU_DEP_1) | instskip(SKIP_1) | instid1(VALU_DEP_2)
	v_lshrrev_b64 v[39:40], 1, v[37:38]
	v_lshrrev_b64 v[37:38], 6, v[37:38]
	v_add_co_u32 v2, vcc_lo, v39, v31
	s_delay_alu instid0(VALU_DEP_3) | instskip(NEXT) | instid1(VALU_DEP_2)
	v_add_co_ci_u32_e32 v6, vcc_lo, v40, v32, vcc_lo
	v_add_co_u32 v37, vcc_lo, v2, v37
	s_delay_alu instid0(VALU_DEP_2) | instskip(NEXT) | instid1(VALU_DEP_1)
	v_add_co_ci_u32_e32 v38, vcc_lo, v6, v38, vcc_lo
	v_lshlrev_b64 v[39:40], 3, v[37:38]
	s_delay_alu instid0(VALU_DEP_1) | instskip(NEXT) | instid1(VALU_DEP_2)
	v_add_co_u32 v39, vcc_lo, s16, v39
	v_add_co_ci_u32_e32 v40, vcc_lo, s17, v40, vcc_lo
	v_add_co_u32 v2, vcc_lo, v37, 1
	v_add_co_ci_u32_e32 v6, vcc_lo, 0, v38, vcc_lo
	global_load_b64 v[39:40], v[39:40], off
	s_waitcnt vmcnt(0)
	v_cmp_gt_u64_e64 s15, v[39:40], v[33:34]
	s_delay_alu instid0(VALU_DEP_1) | instskip(SKIP_3) | instid1(VALU_DEP_1)
	v_cndmask_b32_e64 v36, v36, v38, s15
	v_cndmask_b32_e64 v35, v35, v37, s15
	;; [unrolled: 1-line block ×4, first 2 shown]
	v_cmp_ge_u64_e32 vcc_lo, v[31:32], v[35:36]
	s_or_b32 s27, vcc_lo, s27
	s_delay_alu instid0(SALU_CYCLE_1)
	s_and_not1_b32 exec_lo, exec_lo, s27
	s_cbranch_execnz .LBB355_138
; %bb.139:
	s_set_inst_prefetch_distance 0x2
	s_or_b32 exec_lo, exec_lo, s27
.LBB355_140:
	s_delay_alu instid0(SALU_CYCLE_1)
	s_or_b32 exec_lo, exec_lo, s26
                                        ; implicit-def: $vgpr32
	s_and_saveexec_b32 s26, s8
	s_cbranch_execz .LBB355_145
; %bb.141:
	s_waitcnt vmcnt(0) lgkmcnt(0)
	v_mov_b32_e32 v32, 0
	v_mov_b32_e32 v33, 0
	s_and_not1_b32 vcc_lo, exec_lo, s25
	s_cbranch_vccnz .LBB355_145
; %bb.142:
	v_dual_mov_b32 v35, s19 :: v_dual_mov_b32 v34, s18
	s_mov_b32 s27, 0
	s_set_inst_prefetch_distance 0x1
	.p2align	6
.LBB355_143:                            ; =>This Inner Loop Header: Depth=1
	s_delay_alu instid0(VALU_DEP_1) | instskip(NEXT) | instid1(VALU_DEP_2)
	v_sub_co_u32 v36, vcc_lo, v34, v32
	v_sub_co_ci_u32_e32 v37, vcc_lo, v35, v33, vcc_lo
	s_delay_alu instid0(VALU_DEP_1) | instskip(SKIP_1) | instid1(VALU_DEP_2)
	v_lshrrev_b64 v[38:39], 1, v[36:37]
	v_lshrrev_b64 v[36:37], 6, v[36:37]
	v_add_co_u32 v2, vcc_lo, v38, v32
	s_delay_alu instid0(VALU_DEP_3) | instskip(NEXT) | instid1(VALU_DEP_2)
	v_add_co_ci_u32_e32 v6, vcc_lo, v39, v33, vcc_lo
	v_add_co_u32 v36, vcc_lo, v2, v36
	s_delay_alu instid0(VALU_DEP_2) | instskip(NEXT) | instid1(VALU_DEP_1)
	v_add_co_ci_u32_e32 v37, vcc_lo, v6, v37, vcc_lo
	v_lshlrev_b64 v[38:39], 3, v[36:37]
	s_delay_alu instid0(VALU_DEP_1) | instskip(NEXT) | instid1(VALU_DEP_2)
	v_add_co_u32 v38, vcc_lo, s16, v38
	v_add_co_ci_u32_e32 v39, vcc_lo, s17, v39, vcc_lo
	v_add_co_u32 v2, vcc_lo, v36, 1
	v_add_co_ci_u32_e32 v6, vcc_lo, 0, v37, vcc_lo
	global_load_b64 v[38:39], v[38:39], off
	s_waitcnt vmcnt(0)
	v_cmp_gt_u64_e64 s15, v[38:39], v[29:30]
	s_delay_alu instid0(VALU_DEP_1) | instskip(SKIP_3) | instid1(VALU_DEP_1)
	v_cndmask_b32_e64 v35, v35, v37, s15
	v_cndmask_b32_e64 v34, v34, v36, s15
	;; [unrolled: 1-line block ×4, first 2 shown]
	v_cmp_ge_u64_e32 vcc_lo, v[32:33], v[34:35]
	s_or_b32 s27, vcc_lo, s27
	s_delay_alu instid0(SALU_CYCLE_1)
	s_and_not1_b32 exec_lo, exec_lo, s27
	s_cbranch_execnz .LBB355_143
; %bb.144:
	s_set_inst_prefetch_distance 0x2
	s_or_b32 exec_lo, exec_lo, s27
.LBB355_145:
	s_delay_alu instid0(SALU_CYCLE_1)
	s_or_b32 exec_lo, exec_lo, s26
                                        ; implicit-def: $vgpr28
	s_and_saveexec_b32 s26, s9
	s_cbranch_execz .LBB355_150
; %bb.146:
	s_waitcnt vmcnt(0) lgkmcnt(0)
	v_mov_b32_e32 v28, 0
	v_mov_b32_e32 v29, 0
	s_and_not1_b32 vcc_lo, exec_lo, s25
	s_cbranch_vccnz .LBB355_150
; %bb.147:
	v_dual_mov_b32 v34, s19 :: v_dual_mov_b32 v33, s18
	s_mov_b32 s27, 0
	s_set_inst_prefetch_distance 0x1
	.p2align	6
.LBB355_148:                            ; =>This Inner Loop Header: Depth=1
	s_delay_alu instid0(VALU_DEP_1) | instskip(NEXT) | instid1(VALU_DEP_2)
	v_sub_co_u32 v35, vcc_lo, v33, v28
	v_sub_co_ci_u32_e32 v36, vcc_lo, v34, v29, vcc_lo
	s_delay_alu instid0(VALU_DEP_1) | instskip(SKIP_1) | instid1(VALU_DEP_2)
	v_lshrrev_b64 v[37:38], 1, v[35:36]
	v_lshrrev_b64 v[35:36], 6, v[35:36]
	v_add_co_u32 v2, vcc_lo, v37, v28
	s_delay_alu instid0(VALU_DEP_3) | instskip(NEXT) | instid1(VALU_DEP_2)
	v_add_co_ci_u32_e32 v6, vcc_lo, v38, v29, vcc_lo
	v_add_co_u32 v35, vcc_lo, v2, v35
	s_delay_alu instid0(VALU_DEP_2) | instskip(NEXT) | instid1(VALU_DEP_1)
	v_add_co_ci_u32_e32 v36, vcc_lo, v6, v36, vcc_lo
	v_lshlrev_b64 v[37:38], 3, v[35:36]
	s_delay_alu instid0(VALU_DEP_1) | instskip(NEXT) | instid1(VALU_DEP_2)
	v_add_co_u32 v37, vcc_lo, s16, v37
	v_add_co_ci_u32_e32 v38, vcc_lo, s17, v38, vcc_lo
	v_add_co_u32 v2, vcc_lo, v35, 1
	v_add_co_ci_u32_e32 v6, vcc_lo, 0, v36, vcc_lo
	global_load_b64 v[37:38], v[37:38], off
	s_waitcnt vmcnt(0)
	v_cmp_gt_u64_e64 s15, v[37:38], v[25:26]
	s_delay_alu instid0(VALU_DEP_1) | instskip(SKIP_3) | instid1(VALU_DEP_1)
	v_cndmask_b32_e64 v34, v34, v36, s15
	v_cndmask_b32_e64 v33, v33, v35, s15
	;; [unrolled: 1-line block ×4, first 2 shown]
	v_cmp_ge_u64_e32 vcc_lo, v[28:29], v[33:34]
	s_or_b32 s27, vcc_lo, s27
	s_delay_alu instid0(SALU_CYCLE_1)
	s_and_not1_b32 exec_lo, exec_lo, s27
	s_cbranch_execnz .LBB355_148
; %bb.149:
	s_set_inst_prefetch_distance 0x2
	s_or_b32 exec_lo, exec_lo, s27
.LBB355_150:
	s_delay_alu instid0(SALU_CYCLE_1)
	s_or_b32 exec_lo, exec_lo, s26
                                        ; implicit-def: $vgpr24
	s_and_saveexec_b32 s26, s10
	s_cbranch_execz .LBB355_155
; %bb.151:
	s_waitcnt vmcnt(0) lgkmcnt(0)
	v_mov_b32_e32 v24, 0
	v_mov_b32_e32 v25, 0
	s_and_not1_b32 vcc_lo, exec_lo, s25
	s_cbranch_vccnz .LBB355_155
; %bb.152:
	v_dual_mov_b32 v30, s19 :: v_dual_mov_b32 v29, s18
	s_mov_b32 s27, 0
	s_set_inst_prefetch_distance 0x1
	.p2align	6
.LBB355_153:                            ; =>This Inner Loop Header: Depth=1
	s_delay_alu instid0(VALU_DEP_1) | instskip(NEXT) | instid1(VALU_DEP_2)
	v_sub_co_u32 v33, vcc_lo, v29, v24
	v_sub_co_ci_u32_e32 v34, vcc_lo, v30, v25, vcc_lo
	s_delay_alu instid0(VALU_DEP_1) | instskip(SKIP_1) | instid1(VALU_DEP_2)
	v_lshrrev_b64 v[35:36], 1, v[33:34]
	v_lshrrev_b64 v[33:34], 6, v[33:34]
	v_add_co_u32 v2, vcc_lo, v35, v24
	s_delay_alu instid0(VALU_DEP_3) | instskip(NEXT) | instid1(VALU_DEP_2)
	v_add_co_ci_u32_e32 v6, vcc_lo, v36, v25, vcc_lo
	v_add_co_u32 v33, vcc_lo, v2, v33
	s_delay_alu instid0(VALU_DEP_2) | instskip(NEXT) | instid1(VALU_DEP_1)
	v_add_co_ci_u32_e32 v34, vcc_lo, v6, v34, vcc_lo
	v_lshlrev_b64 v[35:36], 3, v[33:34]
	s_delay_alu instid0(VALU_DEP_1) | instskip(NEXT) | instid1(VALU_DEP_2)
	v_add_co_u32 v35, vcc_lo, s16, v35
	v_add_co_ci_u32_e32 v36, vcc_lo, s17, v36, vcc_lo
	v_add_co_u32 v2, vcc_lo, v33, 1
	v_add_co_ci_u32_e32 v6, vcc_lo, 0, v34, vcc_lo
	global_load_b64 v[35:36], v[35:36], off
	s_waitcnt vmcnt(0)
	v_cmp_gt_u64_e64 s15, v[35:36], v[21:22]
	s_delay_alu instid0(VALU_DEP_1) | instskip(SKIP_3) | instid1(VALU_DEP_1)
	v_cndmask_b32_e64 v30, v30, v34, s15
	v_cndmask_b32_e64 v29, v29, v33, s15
	;; [unrolled: 1-line block ×4, first 2 shown]
	v_cmp_ge_u64_e32 vcc_lo, v[24:25], v[29:30]
	s_or_b32 s27, vcc_lo, s27
	s_delay_alu instid0(SALU_CYCLE_1)
	s_and_not1_b32 exec_lo, exec_lo, s27
	s_cbranch_execnz .LBB355_153
; %bb.154:
	s_set_inst_prefetch_distance 0x2
	s_or_b32 exec_lo, exec_lo, s27
.LBB355_155:
	s_delay_alu instid0(SALU_CYCLE_1)
	s_or_b32 exec_lo, exec_lo, s26
                                        ; implicit-def: $vgpr20
	s_and_saveexec_b32 s26, s11
	s_cbranch_execz .LBB355_160
; %bb.156:
	s_waitcnt vmcnt(0) lgkmcnt(0)
	v_mov_b32_e32 v20, 0
	v_mov_b32_e32 v21, 0
	s_and_not1_b32 vcc_lo, exec_lo, s25
	s_cbranch_vccnz .LBB355_160
; %bb.157:
	v_dual_mov_b32 v26, s19 :: v_dual_mov_b32 v25, s18
	s_mov_b32 s27, 0
	s_set_inst_prefetch_distance 0x1
	.p2align	6
.LBB355_158:                            ; =>This Inner Loop Header: Depth=1
	s_delay_alu instid0(VALU_DEP_1) | instskip(NEXT) | instid1(VALU_DEP_2)
	v_sub_co_u32 v29, vcc_lo, v25, v20
	v_sub_co_ci_u32_e32 v30, vcc_lo, v26, v21, vcc_lo
	s_delay_alu instid0(VALU_DEP_1) | instskip(SKIP_1) | instid1(VALU_DEP_2)
	v_lshrrev_b64 v[33:34], 1, v[29:30]
	v_lshrrev_b64 v[29:30], 6, v[29:30]
	v_add_co_u32 v2, vcc_lo, v33, v20
	s_delay_alu instid0(VALU_DEP_3) | instskip(NEXT) | instid1(VALU_DEP_2)
	v_add_co_ci_u32_e32 v6, vcc_lo, v34, v21, vcc_lo
	v_add_co_u32 v29, vcc_lo, v2, v29
	s_delay_alu instid0(VALU_DEP_2) | instskip(NEXT) | instid1(VALU_DEP_1)
	v_add_co_ci_u32_e32 v30, vcc_lo, v6, v30, vcc_lo
	v_lshlrev_b64 v[33:34], 3, v[29:30]
	s_delay_alu instid0(VALU_DEP_1) | instskip(NEXT) | instid1(VALU_DEP_2)
	v_add_co_u32 v33, vcc_lo, s16, v33
	v_add_co_ci_u32_e32 v34, vcc_lo, s17, v34, vcc_lo
	v_add_co_u32 v2, vcc_lo, v29, 1
	v_add_co_ci_u32_e32 v6, vcc_lo, 0, v30, vcc_lo
	global_load_b64 v[33:34], v[33:34], off
	s_waitcnt vmcnt(0)
	v_cmp_gt_u64_e64 s15, v[33:34], v[17:18]
	s_delay_alu instid0(VALU_DEP_1) | instskip(SKIP_3) | instid1(VALU_DEP_1)
	v_cndmask_b32_e64 v26, v26, v30, s15
	v_cndmask_b32_e64 v25, v25, v29, s15
	v_cndmask_b32_e64 v21, v6, v21, s15
	v_cndmask_b32_e64 v20, v2, v20, s15
	v_cmp_ge_u64_e32 vcc_lo, v[20:21], v[25:26]
	s_or_b32 s27, vcc_lo, s27
	s_delay_alu instid0(SALU_CYCLE_1)
	s_and_not1_b32 exec_lo, exec_lo, s27
	s_cbranch_execnz .LBB355_158
; %bb.159:
	s_set_inst_prefetch_distance 0x2
	s_or_b32 exec_lo, exec_lo, s27
.LBB355_160:
	s_delay_alu instid0(SALU_CYCLE_1)
	s_or_b32 exec_lo, exec_lo, s26
                                        ; implicit-def: $vgpr16
	s_and_saveexec_b32 s26, s12
	s_cbranch_execz .LBB355_165
; %bb.161:
	s_waitcnt vmcnt(0) lgkmcnt(0)
	v_mov_b32_e32 v16, 0
	v_mov_b32_e32 v17, 0
	s_and_not1_b32 vcc_lo, exec_lo, s25
	s_cbranch_vccnz .LBB355_165
; %bb.162:
	v_dual_mov_b32 v22, s19 :: v_dual_mov_b32 v21, s18
	s_mov_b32 s27, 0
	s_set_inst_prefetch_distance 0x1
	.p2align	6
.LBB355_163:                            ; =>This Inner Loop Header: Depth=1
	s_delay_alu instid0(VALU_DEP_1) | instskip(NEXT) | instid1(VALU_DEP_2)
	v_sub_co_u32 v25, vcc_lo, v21, v16
	v_sub_co_ci_u32_e32 v26, vcc_lo, v22, v17, vcc_lo
	s_delay_alu instid0(VALU_DEP_1) | instskip(SKIP_1) | instid1(VALU_DEP_2)
	v_lshrrev_b64 v[29:30], 1, v[25:26]
	v_lshrrev_b64 v[25:26], 6, v[25:26]
	v_add_co_u32 v2, vcc_lo, v29, v16
	s_delay_alu instid0(VALU_DEP_3) | instskip(NEXT) | instid1(VALU_DEP_2)
	v_add_co_ci_u32_e32 v6, vcc_lo, v30, v17, vcc_lo
	v_add_co_u32 v25, vcc_lo, v2, v25
	s_delay_alu instid0(VALU_DEP_2) | instskip(NEXT) | instid1(VALU_DEP_1)
	v_add_co_ci_u32_e32 v26, vcc_lo, v6, v26, vcc_lo
	v_lshlrev_b64 v[29:30], 3, v[25:26]
	s_delay_alu instid0(VALU_DEP_1) | instskip(NEXT) | instid1(VALU_DEP_2)
	v_add_co_u32 v29, vcc_lo, s16, v29
	v_add_co_ci_u32_e32 v30, vcc_lo, s17, v30, vcc_lo
	v_add_co_u32 v2, vcc_lo, v25, 1
	v_add_co_ci_u32_e32 v6, vcc_lo, 0, v26, vcc_lo
	global_load_b64 v[29:30], v[29:30], off
	s_waitcnt vmcnt(0)
	v_cmp_gt_u64_e64 s15, v[29:30], v[13:14]
	s_delay_alu instid0(VALU_DEP_1) | instskip(SKIP_3) | instid1(VALU_DEP_1)
	v_cndmask_b32_e64 v22, v22, v26, s15
	v_cndmask_b32_e64 v21, v21, v25, s15
	;; [unrolled: 1-line block ×4, first 2 shown]
	v_cmp_ge_u64_e32 vcc_lo, v[16:17], v[21:22]
	s_or_b32 s27, vcc_lo, s27
	s_delay_alu instid0(SALU_CYCLE_1)
	s_and_not1_b32 exec_lo, exec_lo, s27
	s_cbranch_execnz .LBB355_163
; %bb.164:
	s_set_inst_prefetch_distance 0x2
	s_or_b32 exec_lo, exec_lo, s27
.LBB355_165:
	s_delay_alu instid0(SALU_CYCLE_1)
	s_or_b32 exec_lo, exec_lo, s26
                                        ; implicit-def: $vgpr12
	s_and_saveexec_b32 s26, s13
	s_cbranch_execz .LBB355_170
; %bb.166:
	s_waitcnt vmcnt(0) lgkmcnt(0)
	v_mov_b32_e32 v12, 0
	v_mov_b32_e32 v13, 0
	s_and_not1_b32 vcc_lo, exec_lo, s25
	s_cbranch_vccnz .LBB355_170
; %bb.167:
	v_dual_mov_b32 v17, s18 :: v_dual_mov_b32 v18, s19
	s_mov_b32 s27, 0
	s_set_inst_prefetch_distance 0x1
	.p2align	6
.LBB355_168:                            ; =>This Inner Loop Header: Depth=1
	s_delay_alu instid0(VALU_DEP_1) | instskip(NEXT) | instid1(VALU_DEP_2)
	v_sub_co_u32 v21, vcc_lo, v17, v12
	v_sub_co_ci_u32_e32 v22, vcc_lo, v18, v13, vcc_lo
	s_delay_alu instid0(VALU_DEP_1) | instskip(SKIP_1) | instid1(VALU_DEP_2)
	v_lshrrev_b64 v[25:26], 1, v[21:22]
	v_lshrrev_b64 v[21:22], 6, v[21:22]
	v_add_co_u32 v2, vcc_lo, v25, v12
	s_delay_alu instid0(VALU_DEP_3) | instskip(NEXT) | instid1(VALU_DEP_2)
	v_add_co_ci_u32_e32 v6, vcc_lo, v26, v13, vcc_lo
	v_add_co_u32 v21, vcc_lo, v2, v21
	s_delay_alu instid0(VALU_DEP_2) | instskip(NEXT) | instid1(VALU_DEP_1)
	v_add_co_ci_u32_e32 v22, vcc_lo, v6, v22, vcc_lo
	v_lshlrev_b64 v[25:26], 3, v[21:22]
	s_delay_alu instid0(VALU_DEP_1) | instskip(NEXT) | instid1(VALU_DEP_2)
	v_add_co_u32 v25, vcc_lo, s16, v25
	v_add_co_ci_u32_e32 v26, vcc_lo, s17, v26, vcc_lo
	v_add_co_u32 v2, vcc_lo, v21, 1
	v_add_co_ci_u32_e32 v6, vcc_lo, 0, v22, vcc_lo
	global_load_b64 v[25:26], v[25:26], off
	s_waitcnt vmcnt(0)
	v_cmp_gt_u64_e64 s15, v[25:26], v[9:10]
	s_delay_alu instid0(VALU_DEP_1) | instskip(SKIP_3) | instid1(VALU_DEP_1)
	v_cndmask_b32_e64 v18, v18, v22, s15
	v_cndmask_b32_e64 v17, v17, v21, s15
	;; [unrolled: 1-line block ×4, first 2 shown]
	v_cmp_ge_u64_e32 vcc_lo, v[12:13], v[17:18]
	s_or_b32 s27, vcc_lo, s27
	s_delay_alu instid0(SALU_CYCLE_1)
	s_and_not1_b32 exec_lo, exec_lo, s27
	s_cbranch_execnz .LBB355_168
; %bb.169:
	s_set_inst_prefetch_distance 0x2
	s_or_b32 exec_lo, exec_lo, s27
.LBB355_170:
	s_delay_alu instid0(SALU_CYCLE_1)
	s_or_b32 exec_lo, exec_lo, s26
                                        ; implicit-def: $vgpr9
	s_and_saveexec_b32 s26, s14
	s_cbranch_execz .LBB355_175
; %bb.171:
	s_waitcnt vmcnt(0) lgkmcnt(0)
	v_mov_b32_e32 v9, 0
	v_mov_b32_e32 v10, 0
	s_and_not1_b32 vcc_lo, exec_lo, s25
	s_cbranch_vccnz .LBB355_175
; %bb.172:
	v_dual_mov_b32 v13, s18 :: v_dual_mov_b32 v14, s19
	s_mov_b32 s27, 0
	s_set_inst_prefetch_distance 0x1
	.p2align	6
.LBB355_173:                            ; =>This Inner Loop Header: Depth=1
	s_delay_alu instid0(VALU_DEP_1) | instskip(NEXT) | instid1(VALU_DEP_2)
	v_sub_co_u32 v17, vcc_lo, v13, v9
	v_sub_co_ci_u32_e32 v18, vcc_lo, v14, v10, vcc_lo
	s_delay_alu instid0(VALU_DEP_1) | instskip(SKIP_1) | instid1(VALU_DEP_2)
	v_lshrrev_b64 v[21:22], 1, v[17:18]
	v_lshrrev_b64 v[17:18], 6, v[17:18]
	v_add_co_u32 v2, vcc_lo, v21, v9
	s_delay_alu instid0(VALU_DEP_3) | instskip(NEXT) | instid1(VALU_DEP_2)
	v_add_co_ci_u32_e32 v6, vcc_lo, v22, v10, vcc_lo
	v_add_co_u32 v17, vcc_lo, v2, v17
	s_delay_alu instid0(VALU_DEP_2) | instskip(NEXT) | instid1(VALU_DEP_1)
	v_add_co_ci_u32_e32 v18, vcc_lo, v6, v18, vcc_lo
	v_lshlrev_b64 v[21:22], 3, v[17:18]
	s_delay_alu instid0(VALU_DEP_1) | instskip(NEXT) | instid1(VALU_DEP_2)
	v_add_co_u32 v21, vcc_lo, s16, v21
	v_add_co_ci_u32_e32 v22, vcc_lo, s17, v22, vcc_lo
	v_add_co_u32 v2, vcc_lo, v17, 1
	v_add_co_ci_u32_e32 v6, vcc_lo, 0, v18, vcc_lo
	global_load_b64 v[21:22], v[21:22], off
	s_waitcnt vmcnt(0)
	v_cmp_gt_u64_e64 s15, v[21:22], v[7:8]
	s_delay_alu instid0(VALU_DEP_1) | instskip(SKIP_3) | instid1(VALU_DEP_1)
	v_cndmask_b32_e64 v14, v14, v18, s15
	v_cndmask_b32_e64 v13, v13, v17, s15
	;; [unrolled: 1-line block ×4, first 2 shown]
	v_cmp_ge_u64_e32 vcc_lo, v[9:10], v[13:14]
	s_or_b32 s27, vcc_lo, s27
	s_delay_alu instid0(SALU_CYCLE_1)
	s_and_not1_b32 exec_lo, exec_lo, s27
	s_cbranch_execnz .LBB355_173
; %bb.174:
	s_set_inst_prefetch_distance 0x2
	s_or_b32 exec_lo, exec_lo, s27
.LBB355_175:
	s_delay_alu instid0(SALU_CYCLE_1)
	s_or_b32 exec_lo, exec_lo, s26
                                        ; implicit-def: $vgpr6
	s_and_saveexec_b32 s26, s24
	s_cbranch_execz .LBB355_180
; %bb.176:
	s_waitcnt vmcnt(0) lgkmcnt(0)
	v_mov_b32_e32 v6, 0
	v_mov_b32_e32 v7, 0
	s_and_not1_b32 vcc_lo, exec_lo, s25
	s_cbranch_vccnz .LBB355_180
; %bb.177:
	v_dual_mov_b32 v13, s18 :: v_dual_mov_b32 v14, s19
	s_mov_b32 s18, 0
	s_set_inst_prefetch_distance 0x1
	.p2align	6
.LBB355_178:                            ; =>This Inner Loop Header: Depth=1
	s_delay_alu instid0(VALU_DEP_1) | instskip(NEXT) | instid1(VALU_DEP_2)
	v_sub_co_u32 v17, vcc_lo, v13, v6
	v_sub_co_ci_u32_e32 v18, vcc_lo, v14, v7, vcc_lo
	s_delay_alu instid0(VALU_DEP_1) | instskip(SKIP_1) | instid1(VALU_DEP_2)
	v_lshrrev_b64 v[21:22], 1, v[17:18]
	v_lshrrev_b64 v[17:18], 6, v[17:18]
	v_add_co_u32 v2, vcc_lo, v21, v6
	s_delay_alu instid0(VALU_DEP_3) | instskip(NEXT) | instid1(VALU_DEP_2)
	v_add_co_ci_u32_e32 v8, vcc_lo, v22, v7, vcc_lo
	v_add_co_u32 v17, vcc_lo, v2, v17
	s_delay_alu instid0(VALU_DEP_2) | instskip(NEXT) | instid1(VALU_DEP_1)
	v_add_co_ci_u32_e32 v18, vcc_lo, v8, v18, vcc_lo
	v_lshlrev_b64 v[21:22], 3, v[17:18]
	s_delay_alu instid0(VALU_DEP_1) | instskip(NEXT) | instid1(VALU_DEP_2)
	v_add_co_u32 v21, vcc_lo, s16, v21
	v_add_co_ci_u32_e32 v22, vcc_lo, s17, v22, vcc_lo
	v_add_co_u32 v2, vcc_lo, v17, 1
	v_add_co_ci_u32_e32 v8, vcc_lo, 0, v18, vcc_lo
	global_load_b64 v[21:22], v[21:22], off
	s_waitcnt vmcnt(0)
	v_cmp_gt_u64_e64 s15, v[21:22], v[3:4]
	s_delay_alu instid0(VALU_DEP_1) | instskip(SKIP_3) | instid1(VALU_DEP_1)
	v_cndmask_b32_e64 v14, v14, v18, s15
	v_cndmask_b32_e64 v13, v13, v17, s15
	;; [unrolled: 1-line block ×4, first 2 shown]
	v_cmp_ge_u64_e32 vcc_lo, v[6:7], v[13:14]
	s_or_b32 s18, vcc_lo, s18
	s_delay_alu instid0(SALU_CYCLE_1)
	s_and_not1_b32 exec_lo, exec_lo, s18
	s_cbranch_execnz .LBB355_178
; %bb.179:
	s_set_inst_prefetch_distance 0x2
	s_or_b32 exec_lo, exec_lo, s18
.LBB355_180:
	s_delay_alu instid0(SALU_CYCLE_1) | instskip(SKIP_2) | instid1(SALU_CYCLE_1)
	s_or_b32 exec_lo, exec_lo, s26
	v_lshlrev_b32_e32 v0, 2, v0
	s_lshl_b64 s[16:17], s[20:21], 2
	s_add_u32 s15, s22, s16
	s_addc_u32 s16, s23, s17
	s_delay_alu instid0(VALU_DEP_1) | instskip(SKIP_3) | instid1(SALU_CYCLE_1)
	v_add_co_u32 v2, s15, s15, v0
	s_waitcnt vmcnt(0) lgkmcnt(0)
	v_add_co_ci_u32_e64 v3, null, s16, 0, s15
	s_and_saveexec_b32 s15, s0
	s_xor_b32 s0, exec_lo, s15
	s_cbranch_execnz .LBB355_200
; %bb.181:
	s_or_b32 exec_lo, exec_lo, s0
	s_and_saveexec_b32 s0, s1
	s_cbranch_execnz .LBB355_201
.LBB355_182:
	s_or_b32 exec_lo, exec_lo, s0
	s_and_saveexec_b32 s0, s2
	s_cbranch_execnz .LBB355_202
.LBB355_183:
	s_or_b32 exec_lo, exec_lo, s0
	s_and_saveexec_b32 s0, s3
	s_cbranch_execnz .LBB355_203
.LBB355_184:
	s_or_b32 exec_lo, exec_lo, s0
	s_and_saveexec_b32 s0, s4
	s_cbranch_execnz .LBB355_204
.LBB355_185:
	s_or_b32 exec_lo, exec_lo, s0
	s_and_saveexec_b32 s0, s5
	s_cbranch_execnz .LBB355_205
.LBB355_186:
	s_or_b32 exec_lo, exec_lo, s0
	s_and_saveexec_b32 s0, s6
	s_cbranch_execnz .LBB355_206
.LBB355_187:
	s_or_b32 exec_lo, exec_lo, s0
	s_and_saveexec_b32 s0, s7
	s_cbranch_execnz .LBB355_207
.LBB355_188:
	s_or_b32 exec_lo, exec_lo, s0
	s_and_saveexec_b32 s0, s8
	s_cbranch_execnz .LBB355_208
.LBB355_189:
	s_or_b32 exec_lo, exec_lo, s0
	s_and_saveexec_b32 s0, s9
	s_cbranch_execnz .LBB355_209
.LBB355_190:
	s_or_b32 exec_lo, exec_lo, s0
	s_and_saveexec_b32 s0, s10
	s_cbranch_execnz .LBB355_210
.LBB355_191:
	s_or_b32 exec_lo, exec_lo, s0
	s_and_saveexec_b32 s0, s11
	s_cbranch_execnz .LBB355_211
.LBB355_192:
	s_or_b32 exec_lo, exec_lo, s0
	s_and_saveexec_b32 s0, s12
	s_cbranch_execnz .LBB355_212
.LBB355_193:
	s_or_b32 exec_lo, exec_lo, s0
	s_and_saveexec_b32 s0, s13
	s_cbranch_execnz .LBB355_213
.LBB355_194:
	s_or_b32 exec_lo, exec_lo, s0
	s_and_saveexec_b32 s0, s14
	s_cbranch_execz .LBB355_196
.LBB355_195:
	flat_store_b32 v[2:3], v9 offset:3584
.LBB355_196:
	s_or_b32 exec_lo, exec_lo, s0
.LBB355_197:
	s_and_saveexec_b32 s0, s24
	s_cbranch_execnz .LBB355_199
; %bb.198:
	s_endpgm
.LBB355_199:
	flat_store_b32 v[2:3], v6 offset:3840
	s_endpgm
.LBB355_200:
	flat_store_b32 v[2:3], v1
	s_or_b32 exec_lo, exec_lo, s0
	s_and_saveexec_b32 s0, s1
	s_cbranch_execz .LBB355_182
.LBB355_201:
	flat_store_b32 v[2:3], v5 offset:256
	s_or_b32 exec_lo, exec_lo, s0
	s_and_saveexec_b32 s0, s2
	s_cbranch_execz .LBB355_183
.LBB355_202:
	flat_store_b32 v[2:3], v11 offset:512
	s_or_b32 exec_lo, exec_lo, s0
	s_and_saveexec_b32 s0, s3
	s_cbranch_execz .LBB355_184
.LBB355_203:
	flat_store_b32 v[2:3], v15 offset:768
	s_or_b32 exec_lo, exec_lo, s0
	s_and_saveexec_b32 s0, s4
	s_cbranch_execz .LBB355_185
.LBB355_204:
	flat_store_b32 v[2:3], v19 offset:1024
	s_or_b32 exec_lo, exec_lo, s0
	s_and_saveexec_b32 s0, s5
	s_cbranch_execz .LBB355_186
.LBB355_205:
	flat_store_b32 v[2:3], v23 offset:1280
	s_or_b32 exec_lo, exec_lo, s0
	s_and_saveexec_b32 s0, s6
	s_cbranch_execz .LBB355_187
.LBB355_206:
	flat_store_b32 v[2:3], v27 offset:1536
	s_or_b32 exec_lo, exec_lo, s0
	s_and_saveexec_b32 s0, s7
	s_cbranch_execz .LBB355_188
.LBB355_207:
	flat_store_b32 v[2:3], v31 offset:1792
	s_or_b32 exec_lo, exec_lo, s0
	s_and_saveexec_b32 s0, s8
	s_cbranch_execz .LBB355_189
.LBB355_208:
	flat_store_b32 v[2:3], v32 offset:2048
	s_or_b32 exec_lo, exec_lo, s0
	s_and_saveexec_b32 s0, s9
	s_cbranch_execz .LBB355_190
.LBB355_209:
	flat_store_b32 v[2:3], v28 offset:2304
	s_or_b32 exec_lo, exec_lo, s0
	s_and_saveexec_b32 s0, s10
	s_cbranch_execz .LBB355_191
.LBB355_210:
	flat_store_b32 v[2:3], v24 offset:2560
	s_or_b32 exec_lo, exec_lo, s0
	s_and_saveexec_b32 s0, s11
	s_cbranch_execz .LBB355_192
.LBB355_211:
	flat_store_b32 v[2:3], v20 offset:2816
	s_or_b32 exec_lo, exec_lo, s0
	s_and_saveexec_b32 s0, s12
	s_cbranch_execz .LBB355_193
.LBB355_212:
	flat_store_b32 v[2:3], v16 offset:3072
	s_or_b32 exec_lo, exec_lo, s0
	s_and_saveexec_b32 s0, s13
	s_cbranch_execz .LBB355_194
.LBB355_213:
	flat_store_b32 v[2:3], v12 offset:3328
	s_or_b32 exec_lo, exec_lo, s0
	s_and_saveexec_b32 s0, s14
	s_cbranch_execnz .LBB355_195
	s_branch .LBB355_196
	.section	.rodata,"a",@progbits
	.p2align	6, 0x0
	.amdhsa_kernel _ZN7rocprim17ROCPRIM_400000_NS6detail17trampoline_kernelINS0_14default_configENS1_27upper_bound_config_selectorIyiEEZNS1_14transform_implILb0ES3_S5_N6thrust23THRUST_200600_302600_NS6detail15normal_iteratorINS8_10device_ptrIyEEEENSA_INSB_IiEEEEZNS1_13binary_searchIS3_S5_SD_SD_SF_NS1_21upper_bound_search_opENS9_16wrapped_functionINS0_4lessIvEEbEEEE10hipError_tPvRmT1_T2_T3_mmT4_T5_P12ihipStream_tbEUlRKyE_EESM_SQ_SR_mSS_SV_bEUlT_E_NS1_11comp_targetILNS1_3genE9ELNS1_11target_archE1100ELNS1_3gpuE3ELNS1_3repE0EEENS1_30default_config_static_selectorELNS0_4arch9wavefront6targetE0EEEvSP_
		.amdhsa_group_segment_fixed_size 0
		.amdhsa_private_segment_fixed_size 0
		.amdhsa_kernarg_size 312
		.amdhsa_user_sgpr_count 15
		.amdhsa_user_sgpr_dispatch_ptr 0
		.amdhsa_user_sgpr_queue_ptr 0
		.amdhsa_user_sgpr_kernarg_segment_ptr 1
		.amdhsa_user_sgpr_dispatch_id 0
		.amdhsa_user_sgpr_private_segment_size 0
		.amdhsa_wavefront_size32 1
		.amdhsa_uses_dynamic_stack 0
		.amdhsa_enable_private_segment 0
		.amdhsa_system_sgpr_workgroup_id_x 1
		.amdhsa_system_sgpr_workgroup_id_y 0
		.amdhsa_system_sgpr_workgroup_id_z 0
		.amdhsa_system_sgpr_workgroup_info 0
		.amdhsa_system_vgpr_workitem_id 0
		.amdhsa_next_free_vgpr 42
		.amdhsa_next_free_sgpr 28
		.amdhsa_reserve_vcc 1
		.amdhsa_float_round_mode_32 0
		.amdhsa_float_round_mode_16_64 0
		.amdhsa_float_denorm_mode_32 3
		.amdhsa_float_denorm_mode_16_64 3
		.amdhsa_dx10_clamp 1
		.amdhsa_ieee_mode 1
		.amdhsa_fp16_overflow 0
		.amdhsa_workgroup_processor_mode 1
		.amdhsa_memory_ordered 1
		.amdhsa_forward_progress 0
		.amdhsa_shared_vgpr_count 0
		.amdhsa_exception_fp_ieee_invalid_op 0
		.amdhsa_exception_fp_denorm_src 0
		.amdhsa_exception_fp_ieee_div_zero 0
		.amdhsa_exception_fp_ieee_overflow 0
		.amdhsa_exception_fp_ieee_underflow 0
		.amdhsa_exception_fp_ieee_inexact 0
		.amdhsa_exception_int_div_zero 0
	.end_amdhsa_kernel
	.section	.text._ZN7rocprim17ROCPRIM_400000_NS6detail17trampoline_kernelINS0_14default_configENS1_27upper_bound_config_selectorIyiEEZNS1_14transform_implILb0ES3_S5_N6thrust23THRUST_200600_302600_NS6detail15normal_iteratorINS8_10device_ptrIyEEEENSA_INSB_IiEEEEZNS1_13binary_searchIS3_S5_SD_SD_SF_NS1_21upper_bound_search_opENS9_16wrapped_functionINS0_4lessIvEEbEEEE10hipError_tPvRmT1_T2_T3_mmT4_T5_P12ihipStream_tbEUlRKyE_EESM_SQ_SR_mSS_SV_bEUlT_E_NS1_11comp_targetILNS1_3genE9ELNS1_11target_archE1100ELNS1_3gpuE3ELNS1_3repE0EEENS1_30default_config_static_selectorELNS0_4arch9wavefront6targetE0EEEvSP_,"axG",@progbits,_ZN7rocprim17ROCPRIM_400000_NS6detail17trampoline_kernelINS0_14default_configENS1_27upper_bound_config_selectorIyiEEZNS1_14transform_implILb0ES3_S5_N6thrust23THRUST_200600_302600_NS6detail15normal_iteratorINS8_10device_ptrIyEEEENSA_INSB_IiEEEEZNS1_13binary_searchIS3_S5_SD_SD_SF_NS1_21upper_bound_search_opENS9_16wrapped_functionINS0_4lessIvEEbEEEE10hipError_tPvRmT1_T2_T3_mmT4_T5_P12ihipStream_tbEUlRKyE_EESM_SQ_SR_mSS_SV_bEUlT_E_NS1_11comp_targetILNS1_3genE9ELNS1_11target_archE1100ELNS1_3gpuE3ELNS1_3repE0EEENS1_30default_config_static_selectorELNS0_4arch9wavefront6targetE0EEEvSP_,comdat
.Lfunc_end355:
	.size	_ZN7rocprim17ROCPRIM_400000_NS6detail17trampoline_kernelINS0_14default_configENS1_27upper_bound_config_selectorIyiEEZNS1_14transform_implILb0ES3_S5_N6thrust23THRUST_200600_302600_NS6detail15normal_iteratorINS8_10device_ptrIyEEEENSA_INSB_IiEEEEZNS1_13binary_searchIS3_S5_SD_SD_SF_NS1_21upper_bound_search_opENS9_16wrapped_functionINS0_4lessIvEEbEEEE10hipError_tPvRmT1_T2_T3_mmT4_T5_P12ihipStream_tbEUlRKyE_EESM_SQ_SR_mSS_SV_bEUlT_E_NS1_11comp_targetILNS1_3genE9ELNS1_11target_archE1100ELNS1_3gpuE3ELNS1_3repE0EEENS1_30default_config_static_selectorELNS0_4arch9wavefront6targetE0EEEvSP_, .Lfunc_end355-_ZN7rocprim17ROCPRIM_400000_NS6detail17trampoline_kernelINS0_14default_configENS1_27upper_bound_config_selectorIyiEEZNS1_14transform_implILb0ES3_S5_N6thrust23THRUST_200600_302600_NS6detail15normal_iteratorINS8_10device_ptrIyEEEENSA_INSB_IiEEEEZNS1_13binary_searchIS3_S5_SD_SD_SF_NS1_21upper_bound_search_opENS9_16wrapped_functionINS0_4lessIvEEbEEEE10hipError_tPvRmT1_T2_T3_mmT4_T5_P12ihipStream_tbEUlRKyE_EESM_SQ_SR_mSS_SV_bEUlT_E_NS1_11comp_targetILNS1_3genE9ELNS1_11target_archE1100ELNS1_3gpuE3ELNS1_3repE0EEENS1_30default_config_static_selectorELNS0_4arch9wavefront6targetE0EEEvSP_
                                        ; -- End function
	.section	.AMDGPU.csdata,"",@progbits
; Kernel info:
; codeLenInByte = 9560
; NumSgprs: 30
; NumVgprs: 42
; ScratchSize: 0
; MemoryBound: 0
; FloatMode: 240
; IeeeMode: 1
; LDSByteSize: 0 bytes/workgroup (compile time only)
; SGPRBlocks: 3
; VGPRBlocks: 5
; NumSGPRsForWavesPerEU: 30
; NumVGPRsForWavesPerEU: 42
; Occupancy: 16
; WaveLimiterHint : 1
; COMPUTE_PGM_RSRC2:SCRATCH_EN: 0
; COMPUTE_PGM_RSRC2:USER_SGPR: 15
; COMPUTE_PGM_RSRC2:TRAP_HANDLER: 0
; COMPUTE_PGM_RSRC2:TGID_X_EN: 1
; COMPUTE_PGM_RSRC2:TGID_Y_EN: 0
; COMPUTE_PGM_RSRC2:TGID_Z_EN: 0
; COMPUTE_PGM_RSRC2:TIDIG_COMP_CNT: 0
	.section	.text._ZN7rocprim17ROCPRIM_400000_NS6detail17trampoline_kernelINS0_14default_configENS1_27upper_bound_config_selectorIyiEEZNS1_14transform_implILb0ES3_S5_N6thrust23THRUST_200600_302600_NS6detail15normal_iteratorINS8_10device_ptrIyEEEENSA_INSB_IiEEEEZNS1_13binary_searchIS3_S5_SD_SD_SF_NS1_21upper_bound_search_opENS9_16wrapped_functionINS0_4lessIvEEbEEEE10hipError_tPvRmT1_T2_T3_mmT4_T5_P12ihipStream_tbEUlRKyE_EESM_SQ_SR_mSS_SV_bEUlT_E_NS1_11comp_targetILNS1_3genE8ELNS1_11target_archE1030ELNS1_3gpuE2ELNS1_3repE0EEENS1_30default_config_static_selectorELNS0_4arch9wavefront6targetE0EEEvSP_,"axG",@progbits,_ZN7rocprim17ROCPRIM_400000_NS6detail17trampoline_kernelINS0_14default_configENS1_27upper_bound_config_selectorIyiEEZNS1_14transform_implILb0ES3_S5_N6thrust23THRUST_200600_302600_NS6detail15normal_iteratorINS8_10device_ptrIyEEEENSA_INSB_IiEEEEZNS1_13binary_searchIS3_S5_SD_SD_SF_NS1_21upper_bound_search_opENS9_16wrapped_functionINS0_4lessIvEEbEEEE10hipError_tPvRmT1_T2_T3_mmT4_T5_P12ihipStream_tbEUlRKyE_EESM_SQ_SR_mSS_SV_bEUlT_E_NS1_11comp_targetILNS1_3genE8ELNS1_11target_archE1030ELNS1_3gpuE2ELNS1_3repE0EEENS1_30default_config_static_selectorELNS0_4arch9wavefront6targetE0EEEvSP_,comdat
	.protected	_ZN7rocprim17ROCPRIM_400000_NS6detail17trampoline_kernelINS0_14default_configENS1_27upper_bound_config_selectorIyiEEZNS1_14transform_implILb0ES3_S5_N6thrust23THRUST_200600_302600_NS6detail15normal_iteratorINS8_10device_ptrIyEEEENSA_INSB_IiEEEEZNS1_13binary_searchIS3_S5_SD_SD_SF_NS1_21upper_bound_search_opENS9_16wrapped_functionINS0_4lessIvEEbEEEE10hipError_tPvRmT1_T2_T3_mmT4_T5_P12ihipStream_tbEUlRKyE_EESM_SQ_SR_mSS_SV_bEUlT_E_NS1_11comp_targetILNS1_3genE8ELNS1_11target_archE1030ELNS1_3gpuE2ELNS1_3repE0EEENS1_30default_config_static_selectorELNS0_4arch9wavefront6targetE0EEEvSP_ ; -- Begin function _ZN7rocprim17ROCPRIM_400000_NS6detail17trampoline_kernelINS0_14default_configENS1_27upper_bound_config_selectorIyiEEZNS1_14transform_implILb0ES3_S5_N6thrust23THRUST_200600_302600_NS6detail15normal_iteratorINS8_10device_ptrIyEEEENSA_INSB_IiEEEEZNS1_13binary_searchIS3_S5_SD_SD_SF_NS1_21upper_bound_search_opENS9_16wrapped_functionINS0_4lessIvEEbEEEE10hipError_tPvRmT1_T2_T3_mmT4_T5_P12ihipStream_tbEUlRKyE_EESM_SQ_SR_mSS_SV_bEUlT_E_NS1_11comp_targetILNS1_3genE8ELNS1_11target_archE1030ELNS1_3gpuE2ELNS1_3repE0EEENS1_30default_config_static_selectorELNS0_4arch9wavefront6targetE0EEEvSP_
	.globl	_ZN7rocprim17ROCPRIM_400000_NS6detail17trampoline_kernelINS0_14default_configENS1_27upper_bound_config_selectorIyiEEZNS1_14transform_implILb0ES3_S5_N6thrust23THRUST_200600_302600_NS6detail15normal_iteratorINS8_10device_ptrIyEEEENSA_INSB_IiEEEEZNS1_13binary_searchIS3_S5_SD_SD_SF_NS1_21upper_bound_search_opENS9_16wrapped_functionINS0_4lessIvEEbEEEE10hipError_tPvRmT1_T2_T3_mmT4_T5_P12ihipStream_tbEUlRKyE_EESM_SQ_SR_mSS_SV_bEUlT_E_NS1_11comp_targetILNS1_3genE8ELNS1_11target_archE1030ELNS1_3gpuE2ELNS1_3repE0EEENS1_30default_config_static_selectorELNS0_4arch9wavefront6targetE0EEEvSP_
	.p2align	8
	.type	_ZN7rocprim17ROCPRIM_400000_NS6detail17trampoline_kernelINS0_14default_configENS1_27upper_bound_config_selectorIyiEEZNS1_14transform_implILb0ES3_S5_N6thrust23THRUST_200600_302600_NS6detail15normal_iteratorINS8_10device_ptrIyEEEENSA_INSB_IiEEEEZNS1_13binary_searchIS3_S5_SD_SD_SF_NS1_21upper_bound_search_opENS9_16wrapped_functionINS0_4lessIvEEbEEEE10hipError_tPvRmT1_T2_T3_mmT4_T5_P12ihipStream_tbEUlRKyE_EESM_SQ_SR_mSS_SV_bEUlT_E_NS1_11comp_targetILNS1_3genE8ELNS1_11target_archE1030ELNS1_3gpuE2ELNS1_3repE0EEENS1_30default_config_static_selectorELNS0_4arch9wavefront6targetE0EEEvSP_,@function
_ZN7rocprim17ROCPRIM_400000_NS6detail17trampoline_kernelINS0_14default_configENS1_27upper_bound_config_selectorIyiEEZNS1_14transform_implILb0ES3_S5_N6thrust23THRUST_200600_302600_NS6detail15normal_iteratorINS8_10device_ptrIyEEEENSA_INSB_IiEEEEZNS1_13binary_searchIS3_S5_SD_SD_SF_NS1_21upper_bound_search_opENS9_16wrapped_functionINS0_4lessIvEEbEEEE10hipError_tPvRmT1_T2_T3_mmT4_T5_P12ihipStream_tbEUlRKyE_EESM_SQ_SR_mSS_SV_bEUlT_E_NS1_11comp_targetILNS1_3genE8ELNS1_11target_archE1030ELNS1_3gpuE2ELNS1_3repE0EEENS1_30default_config_static_selectorELNS0_4arch9wavefront6targetE0EEEvSP_: ; @_ZN7rocprim17ROCPRIM_400000_NS6detail17trampoline_kernelINS0_14default_configENS1_27upper_bound_config_selectorIyiEEZNS1_14transform_implILb0ES3_S5_N6thrust23THRUST_200600_302600_NS6detail15normal_iteratorINS8_10device_ptrIyEEEENSA_INSB_IiEEEEZNS1_13binary_searchIS3_S5_SD_SD_SF_NS1_21upper_bound_search_opENS9_16wrapped_functionINS0_4lessIvEEbEEEE10hipError_tPvRmT1_T2_T3_mmT4_T5_P12ihipStream_tbEUlRKyE_EESM_SQ_SR_mSS_SV_bEUlT_E_NS1_11comp_targetILNS1_3genE8ELNS1_11target_archE1030ELNS1_3gpuE2ELNS1_3repE0EEENS1_30default_config_static_selectorELNS0_4arch9wavefront6targetE0EEEvSP_
; %bb.0:
	.section	.rodata,"a",@progbits
	.p2align	6, 0x0
	.amdhsa_kernel _ZN7rocprim17ROCPRIM_400000_NS6detail17trampoline_kernelINS0_14default_configENS1_27upper_bound_config_selectorIyiEEZNS1_14transform_implILb0ES3_S5_N6thrust23THRUST_200600_302600_NS6detail15normal_iteratorINS8_10device_ptrIyEEEENSA_INSB_IiEEEEZNS1_13binary_searchIS3_S5_SD_SD_SF_NS1_21upper_bound_search_opENS9_16wrapped_functionINS0_4lessIvEEbEEEE10hipError_tPvRmT1_T2_T3_mmT4_T5_P12ihipStream_tbEUlRKyE_EESM_SQ_SR_mSS_SV_bEUlT_E_NS1_11comp_targetILNS1_3genE8ELNS1_11target_archE1030ELNS1_3gpuE2ELNS1_3repE0EEENS1_30default_config_static_selectorELNS0_4arch9wavefront6targetE0EEEvSP_
		.amdhsa_group_segment_fixed_size 0
		.amdhsa_private_segment_fixed_size 0
		.amdhsa_kernarg_size 56
		.amdhsa_user_sgpr_count 15
		.amdhsa_user_sgpr_dispatch_ptr 0
		.amdhsa_user_sgpr_queue_ptr 0
		.amdhsa_user_sgpr_kernarg_segment_ptr 1
		.amdhsa_user_sgpr_dispatch_id 0
		.amdhsa_user_sgpr_private_segment_size 0
		.amdhsa_wavefront_size32 1
		.amdhsa_uses_dynamic_stack 0
		.amdhsa_enable_private_segment 0
		.amdhsa_system_sgpr_workgroup_id_x 1
		.amdhsa_system_sgpr_workgroup_id_y 0
		.amdhsa_system_sgpr_workgroup_id_z 0
		.amdhsa_system_sgpr_workgroup_info 0
		.amdhsa_system_vgpr_workitem_id 0
		.amdhsa_next_free_vgpr 1
		.amdhsa_next_free_sgpr 1
		.amdhsa_reserve_vcc 0
		.amdhsa_float_round_mode_32 0
		.amdhsa_float_round_mode_16_64 0
		.amdhsa_float_denorm_mode_32 3
		.amdhsa_float_denorm_mode_16_64 3
		.amdhsa_dx10_clamp 1
		.amdhsa_ieee_mode 1
		.amdhsa_fp16_overflow 0
		.amdhsa_workgroup_processor_mode 1
		.amdhsa_memory_ordered 1
		.amdhsa_forward_progress 0
		.amdhsa_shared_vgpr_count 0
		.amdhsa_exception_fp_ieee_invalid_op 0
		.amdhsa_exception_fp_denorm_src 0
		.amdhsa_exception_fp_ieee_div_zero 0
		.amdhsa_exception_fp_ieee_overflow 0
		.amdhsa_exception_fp_ieee_underflow 0
		.amdhsa_exception_fp_ieee_inexact 0
		.amdhsa_exception_int_div_zero 0
	.end_amdhsa_kernel
	.section	.text._ZN7rocprim17ROCPRIM_400000_NS6detail17trampoline_kernelINS0_14default_configENS1_27upper_bound_config_selectorIyiEEZNS1_14transform_implILb0ES3_S5_N6thrust23THRUST_200600_302600_NS6detail15normal_iteratorINS8_10device_ptrIyEEEENSA_INSB_IiEEEEZNS1_13binary_searchIS3_S5_SD_SD_SF_NS1_21upper_bound_search_opENS9_16wrapped_functionINS0_4lessIvEEbEEEE10hipError_tPvRmT1_T2_T3_mmT4_T5_P12ihipStream_tbEUlRKyE_EESM_SQ_SR_mSS_SV_bEUlT_E_NS1_11comp_targetILNS1_3genE8ELNS1_11target_archE1030ELNS1_3gpuE2ELNS1_3repE0EEENS1_30default_config_static_selectorELNS0_4arch9wavefront6targetE0EEEvSP_,"axG",@progbits,_ZN7rocprim17ROCPRIM_400000_NS6detail17trampoline_kernelINS0_14default_configENS1_27upper_bound_config_selectorIyiEEZNS1_14transform_implILb0ES3_S5_N6thrust23THRUST_200600_302600_NS6detail15normal_iteratorINS8_10device_ptrIyEEEENSA_INSB_IiEEEEZNS1_13binary_searchIS3_S5_SD_SD_SF_NS1_21upper_bound_search_opENS9_16wrapped_functionINS0_4lessIvEEbEEEE10hipError_tPvRmT1_T2_T3_mmT4_T5_P12ihipStream_tbEUlRKyE_EESM_SQ_SR_mSS_SV_bEUlT_E_NS1_11comp_targetILNS1_3genE8ELNS1_11target_archE1030ELNS1_3gpuE2ELNS1_3repE0EEENS1_30default_config_static_selectorELNS0_4arch9wavefront6targetE0EEEvSP_,comdat
.Lfunc_end356:
	.size	_ZN7rocprim17ROCPRIM_400000_NS6detail17trampoline_kernelINS0_14default_configENS1_27upper_bound_config_selectorIyiEEZNS1_14transform_implILb0ES3_S5_N6thrust23THRUST_200600_302600_NS6detail15normal_iteratorINS8_10device_ptrIyEEEENSA_INSB_IiEEEEZNS1_13binary_searchIS3_S5_SD_SD_SF_NS1_21upper_bound_search_opENS9_16wrapped_functionINS0_4lessIvEEbEEEE10hipError_tPvRmT1_T2_T3_mmT4_T5_P12ihipStream_tbEUlRKyE_EESM_SQ_SR_mSS_SV_bEUlT_E_NS1_11comp_targetILNS1_3genE8ELNS1_11target_archE1030ELNS1_3gpuE2ELNS1_3repE0EEENS1_30default_config_static_selectorELNS0_4arch9wavefront6targetE0EEEvSP_, .Lfunc_end356-_ZN7rocprim17ROCPRIM_400000_NS6detail17trampoline_kernelINS0_14default_configENS1_27upper_bound_config_selectorIyiEEZNS1_14transform_implILb0ES3_S5_N6thrust23THRUST_200600_302600_NS6detail15normal_iteratorINS8_10device_ptrIyEEEENSA_INSB_IiEEEEZNS1_13binary_searchIS3_S5_SD_SD_SF_NS1_21upper_bound_search_opENS9_16wrapped_functionINS0_4lessIvEEbEEEE10hipError_tPvRmT1_T2_T3_mmT4_T5_P12ihipStream_tbEUlRKyE_EESM_SQ_SR_mSS_SV_bEUlT_E_NS1_11comp_targetILNS1_3genE8ELNS1_11target_archE1030ELNS1_3gpuE2ELNS1_3repE0EEENS1_30default_config_static_selectorELNS0_4arch9wavefront6targetE0EEEvSP_
                                        ; -- End function
	.section	.AMDGPU.csdata,"",@progbits
; Kernel info:
; codeLenInByte = 0
; NumSgprs: 0
; NumVgprs: 0
; ScratchSize: 0
; MemoryBound: 0
; FloatMode: 240
; IeeeMode: 1
; LDSByteSize: 0 bytes/workgroup (compile time only)
; SGPRBlocks: 0
; VGPRBlocks: 0
; NumSGPRsForWavesPerEU: 1
; NumVGPRsForWavesPerEU: 1
; Occupancy: 16
; WaveLimiterHint : 0
; COMPUTE_PGM_RSRC2:SCRATCH_EN: 0
; COMPUTE_PGM_RSRC2:USER_SGPR: 15
; COMPUTE_PGM_RSRC2:TRAP_HANDLER: 0
; COMPUTE_PGM_RSRC2:TGID_X_EN: 1
; COMPUTE_PGM_RSRC2:TGID_Y_EN: 0
; COMPUTE_PGM_RSRC2:TGID_Z_EN: 0
; COMPUTE_PGM_RSRC2:TIDIG_COMP_CNT: 0
	.section	.text._ZN7rocprim17ROCPRIM_400000_NS6detail17trampoline_kernelINS0_14default_configENS1_27upper_bound_config_selectorIjiEEZNS1_14transform_implILb0ES3_S5_N6thrust23THRUST_200600_302600_NS6detail15normal_iteratorINS8_10device_ptrIjEEEENSA_INSB_IiEEEEZNS1_13binary_searchIS3_S5_SD_SD_SF_NS1_21upper_bound_search_opENS9_16wrapped_functionINS0_4lessIvEEbEEEE10hipError_tPvRmT1_T2_T3_mmT4_T5_P12ihipStream_tbEUlRKjE_EESM_SQ_SR_mSS_SV_bEUlT_E_NS1_11comp_targetILNS1_3genE0ELNS1_11target_archE4294967295ELNS1_3gpuE0ELNS1_3repE0EEENS1_30default_config_static_selectorELNS0_4arch9wavefront6targetE0EEEvSP_,"axG",@progbits,_ZN7rocprim17ROCPRIM_400000_NS6detail17trampoline_kernelINS0_14default_configENS1_27upper_bound_config_selectorIjiEEZNS1_14transform_implILb0ES3_S5_N6thrust23THRUST_200600_302600_NS6detail15normal_iteratorINS8_10device_ptrIjEEEENSA_INSB_IiEEEEZNS1_13binary_searchIS3_S5_SD_SD_SF_NS1_21upper_bound_search_opENS9_16wrapped_functionINS0_4lessIvEEbEEEE10hipError_tPvRmT1_T2_T3_mmT4_T5_P12ihipStream_tbEUlRKjE_EESM_SQ_SR_mSS_SV_bEUlT_E_NS1_11comp_targetILNS1_3genE0ELNS1_11target_archE4294967295ELNS1_3gpuE0ELNS1_3repE0EEENS1_30default_config_static_selectorELNS0_4arch9wavefront6targetE0EEEvSP_,comdat
	.protected	_ZN7rocprim17ROCPRIM_400000_NS6detail17trampoline_kernelINS0_14default_configENS1_27upper_bound_config_selectorIjiEEZNS1_14transform_implILb0ES3_S5_N6thrust23THRUST_200600_302600_NS6detail15normal_iteratorINS8_10device_ptrIjEEEENSA_INSB_IiEEEEZNS1_13binary_searchIS3_S5_SD_SD_SF_NS1_21upper_bound_search_opENS9_16wrapped_functionINS0_4lessIvEEbEEEE10hipError_tPvRmT1_T2_T3_mmT4_T5_P12ihipStream_tbEUlRKjE_EESM_SQ_SR_mSS_SV_bEUlT_E_NS1_11comp_targetILNS1_3genE0ELNS1_11target_archE4294967295ELNS1_3gpuE0ELNS1_3repE0EEENS1_30default_config_static_selectorELNS0_4arch9wavefront6targetE0EEEvSP_ ; -- Begin function _ZN7rocprim17ROCPRIM_400000_NS6detail17trampoline_kernelINS0_14default_configENS1_27upper_bound_config_selectorIjiEEZNS1_14transform_implILb0ES3_S5_N6thrust23THRUST_200600_302600_NS6detail15normal_iteratorINS8_10device_ptrIjEEEENSA_INSB_IiEEEEZNS1_13binary_searchIS3_S5_SD_SD_SF_NS1_21upper_bound_search_opENS9_16wrapped_functionINS0_4lessIvEEbEEEE10hipError_tPvRmT1_T2_T3_mmT4_T5_P12ihipStream_tbEUlRKjE_EESM_SQ_SR_mSS_SV_bEUlT_E_NS1_11comp_targetILNS1_3genE0ELNS1_11target_archE4294967295ELNS1_3gpuE0ELNS1_3repE0EEENS1_30default_config_static_selectorELNS0_4arch9wavefront6targetE0EEEvSP_
	.globl	_ZN7rocprim17ROCPRIM_400000_NS6detail17trampoline_kernelINS0_14default_configENS1_27upper_bound_config_selectorIjiEEZNS1_14transform_implILb0ES3_S5_N6thrust23THRUST_200600_302600_NS6detail15normal_iteratorINS8_10device_ptrIjEEEENSA_INSB_IiEEEEZNS1_13binary_searchIS3_S5_SD_SD_SF_NS1_21upper_bound_search_opENS9_16wrapped_functionINS0_4lessIvEEbEEEE10hipError_tPvRmT1_T2_T3_mmT4_T5_P12ihipStream_tbEUlRKjE_EESM_SQ_SR_mSS_SV_bEUlT_E_NS1_11comp_targetILNS1_3genE0ELNS1_11target_archE4294967295ELNS1_3gpuE0ELNS1_3repE0EEENS1_30default_config_static_selectorELNS0_4arch9wavefront6targetE0EEEvSP_
	.p2align	8
	.type	_ZN7rocprim17ROCPRIM_400000_NS6detail17trampoline_kernelINS0_14default_configENS1_27upper_bound_config_selectorIjiEEZNS1_14transform_implILb0ES3_S5_N6thrust23THRUST_200600_302600_NS6detail15normal_iteratorINS8_10device_ptrIjEEEENSA_INSB_IiEEEEZNS1_13binary_searchIS3_S5_SD_SD_SF_NS1_21upper_bound_search_opENS9_16wrapped_functionINS0_4lessIvEEbEEEE10hipError_tPvRmT1_T2_T3_mmT4_T5_P12ihipStream_tbEUlRKjE_EESM_SQ_SR_mSS_SV_bEUlT_E_NS1_11comp_targetILNS1_3genE0ELNS1_11target_archE4294967295ELNS1_3gpuE0ELNS1_3repE0EEENS1_30default_config_static_selectorELNS0_4arch9wavefront6targetE0EEEvSP_,@function
_ZN7rocprim17ROCPRIM_400000_NS6detail17trampoline_kernelINS0_14default_configENS1_27upper_bound_config_selectorIjiEEZNS1_14transform_implILb0ES3_S5_N6thrust23THRUST_200600_302600_NS6detail15normal_iteratorINS8_10device_ptrIjEEEENSA_INSB_IiEEEEZNS1_13binary_searchIS3_S5_SD_SD_SF_NS1_21upper_bound_search_opENS9_16wrapped_functionINS0_4lessIvEEbEEEE10hipError_tPvRmT1_T2_T3_mmT4_T5_P12ihipStream_tbEUlRKjE_EESM_SQ_SR_mSS_SV_bEUlT_E_NS1_11comp_targetILNS1_3genE0ELNS1_11target_archE4294967295ELNS1_3gpuE0ELNS1_3repE0EEENS1_30default_config_static_selectorELNS0_4arch9wavefront6targetE0EEEvSP_: ; @_ZN7rocprim17ROCPRIM_400000_NS6detail17trampoline_kernelINS0_14default_configENS1_27upper_bound_config_selectorIjiEEZNS1_14transform_implILb0ES3_S5_N6thrust23THRUST_200600_302600_NS6detail15normal_iteratorINS8_10device_ptrIjEEEENSA_INSB_IiEEEEZNS1_13binary_searchIS3_S5_SD_SD_SF_NS1_21upper_bound_search_opENS9_16wrapped_functionINS0_4lessIvEEbEEEE10hipError_tPvRmT1_T2_T3_mmT4_T5_P12ihipStream_tbEUlRKjE_EESM_SQ_SR_mSS_SV_bEUlT_E_NS1_11comp_targetILNS1_3genE0ELNS1_11target_archE4294967295ELNS1_3gpuE0ELNS1_3repE0EEENS1_30default_config_static_selectorELNS0_4arch9wavefront6targetE0EEEvSP_
; %bb.0:
	.section	.rodata,"a",@progbits
	.p2align	6, 0x0
	.amdhsa_kernel _ZN7rocprim17ROCPRIM_400000_NS6detail17trampoline_kernelINS0_14default_configENS1_27upper_bound_config_selectorIjiEEZNS1_14transform_implILb0ES3_S5_N6thrust23THRUST_200600_302600_NS6detail15normal_iteratorINS8_10device_ptrIjEEEENSA_INSB_IiEEEEZNS1_13binary_searchIS3_S5_SD_SD_SF_NS1_21upper_bound_search_opENS9_16wrapped_functionINS0_4lessIvEEbEEEE10hipError_tPvRmT1_T2_T3_mmT4_T5_P12ihipStream_tbEUlRKjE_EESM_SQ_SR_mSS_SV_bEUlT_E_NS1_11comp_targetILNS1_3genE0ELNS1_11target_archE4294967295ELNS1_3gpuE0ELNS1_3repE0EEENS1_30default_config_static_selectorELNS0_4arch9wavefront6targetE0EEEvSP_
		.amdhsa_group_segment_fixed_size 0
		.amdhsa_private_segment_fixed_size 0
		.amdhsa_kernarg_size 56
		.amdhsa_user_sgpr_count 15
		.amdhsa_user_sgpr_dispatch_ptr 0
		.amdhsa_user_sgpr_queue_ptr 0
		.amdhsa_user_sgpr_kernarg_segment_ptr 1
		.amdhsa_user_sgpr_dispatch_id 0
		.amdhsa_user_sgpr_private_segment_size 0
		.amdhsa_wavefront_size32 1
		.amdhsa_uses_dynamic_stack 0
		.amdhsa_enable_private_segment 0
		.amdhsa_system_sgpr_workgroup_id_x 1
		.amdhsa_system_sgpr_workgroup_id_y 0
		.amdhsa_system_sgpr_workgroup_id_z 0
		.amdhsa_system_sgpr_workgroup_info 0
		.amdhsa_system_vgpr_workitem_id 0
		.amdhsa_next_free_vgpr 1
		.amdhsa_next_free_sgpr 1
		.amdhsa_reserve_vcc 0
		.amdhsa_float_round_mode_32 0
		.amdhsa_float_round_mode_16_64 0
		.amdhsa_float_denorm_mode_32 3
		.amdhsa_float_denorm_mode_16_64 3
		.amdhsa_dx10_clamp 1
		.amdhsa_ieee_mode 1
		.amdhsa_fp16_overflow 0
		.amdhsa_workgroup_processor_mode 1
		.amdhsa_memory_ordered 1
		.amdhsa_forward_progress 0
		.amdhsa_shared_vgpr_count 0
		.amdhsa_exception_fp_ieee_invalid_op 0
		.amdhsa_exception_fp_denorm_src 0
		.amdhsa_exception_fp_ieee_div_zero 0
		.amdhsa_exception_fp_ieee_overflow 0
		.amdhsa_exception_fp_ieee_underflow 0
		.amdhsa_exception_fp_ieee_inexact 0
		.amdhsa_exception_int_div_zero 0
	.end_amdhsa_kernel
	.section	.text._ZN7rocprim17ROCPRIM_400000_NS6detail17trampoline_kernelINS0_14default_configENS1_27upper_bound_config_selectorIjiEEZNS1_14transform_implILb0ES3_S5_N6thrust23THRUST_200600_302600_NS6detail15normal_iteratorINS8_10device_ptrIjEEEENSA_INSB_IiEEEEZNS1_13binary_searchIS3_S5_SD_SD_SF_NS1_21upper_bound_search_opENS9_16wrapped_functionINS0_4lessIvEEbEEEE10hipError_tPvRmT1_T2_T3_mmT4_T5_P12ihipStream_tbEUlRKjE_EESM_SQ_SR_mSS_SV_bEUlT_E_NS1_11comp_targetILNS1_3genE0ELNS1_11target_archE4294967295ELNS1_3gpuE0ELNS1_3repE0EEENS1_30default_config_static_selectorELNS0_4arch9wavefront6targetE0EEEvSP_,"axG",@progbits,_ZN7rocprim17ROCPRIM_400000_NS6detail17trampoline_kernelINS0_14default_configENS1_27upper_bound_config_selectorIjiEEZNS1_14transform_implILb0ES3_S5_N6thrust23THRUST_200600_302600_NS6detail15normal_iteratorINS8_10device_ptrIjEEEENSA_INSB_IiEEEEZNS1_13binary_searchIS3_S5_SD_SD_SF_NS1_21upper_bound_search_opENS9_16wrapped_functionINS0_4lessIvEEbEEEE10hipError_tPvRmT1_T2_T3_mmT4_T5_P12ihipStream_tbEUlRKjE_EESM_SQ_SR_mSS_SV_bEUlT_E_NS1_11comp_targetILNS1_3genE0ELNS1_11target_archE4294967295ELNS1_3gpuE0ELNS1_3repE0EEENS1_30default_config_static_selectorELNS0_4arch9wavefront6targetE0EEEvSP_,comdat
.Lfunc_end357:
	.size	_ZN7rocprim17ROCPRIM_400000_NS6detail17trampoline_kernelINS0_14default_configENS1_27upper_bound_config_selectorIjiEEZNS1_14transform_implILb0ES3_S5_N6thrust23THRUST_200600_302600_NS6detail15normal_iteratorINS8_10device_ptrIjEEEENSA_INSB_IiEEEEZNS1_13binary_searchIS3_S5_SD_SD_SF_NS1_21upper_bound_search_opENS9_16wrapped_functionINS0_4lessIvEEbEEEE10hipError_tPvRmT1_T2_T3_mmT4_T5_P12ihipStream_tbEUlRKjE_EESM_SQ_SR_mSS_SV_bEUlT_E_NS1_11comp_targetILNS1_3genE0ELNS1_11target_archE4294967295ELNS1_3gpuE0ELNS1_3repE0EEENS1_30default_config_static_selectorELNS0_4arch9wavefront6targetE0EEEvSP_, .Lfunc_end357-_ZN7rocprim17ROCPRIM_400000_NS6detail17trampoline_kernelINS0_14default_configENS1_27upper_bound_config_selectorIjiEEZNS1_14transform_implILb0ES3_S5_N6thrust23THRUST_200600_302600_NS6detail15normal_iteratorINS8_10device_ptrIjEEEENSA_INSB_IiEEEEZNS1_13binary_searchIS3_S5_SD_SD_SF_NS1_21upper_bound_search_opENS9_16wrapped_functionINS0_4lessIvEEbEEEE10hipError_tPvRmT1_T2_T3_mmT4_T5_P12ihipStream_tbEUlRKjE_EESM_SQ_SR_mSS_SV_bEUlT_E_NS1_11comp_targetILNS1_3genE0ELNS1_11target_archE4294967295ELNS1_3gpuE0ELNS1_3repE0EEENS1_30default_config_static_selectorELNS0_4arch9wavefront6targetE0EEEvSP_
                                        ; -- End function
	.section	.AMDGPU.csdata,"",@progbits
; Kernel info:
; codeLenInByte = 0
; NumSgprs: 0
; NumVgprs: 0
; ScratchSize: 0
; MemoryBound: 0
; FloatMode: 240
; IeeeMode: 1
; LDSByteSize: 0 bytes/workgroup (compile time only)
; SGPRBlocks: 0
; VGPRBlocks: 0
; NumSGPRsForWavesPerEU: 1
; NumVGPRsForWavesPerEU: 1
; Occupancy: 16
; WaveLimiterHint : 0
; COMPUTE_PGM_RSRC2:SCRATCH_EN: 0
; COMPUTE_PGM_RSRC2:USER_SGPR: 15
; COMPUTE_PGM_RSRC2:TRAP_HANDLER: 0
; COMPUTE_PGM_RSRC2:TGID_X_EN: 1
; COMPUTE_PGM_RSRC2:TGID_Y_EN: 0
; COMPUTE_PGM_RSRC2:TGID_Z_EN: 0
; COMPUTE_PGM_RSRC2:TIDIG_COMP_CNT: 0
	.section	.text._ZN7rocprim17ROCPRIM_400000_NS6detail17trampoline_kernelINS0_14default_configENS1_27upper_bound_config_selectorIjiEEZNS1_14transform_implILb0ES3_S5_N6thrust23THRUST_200600_302600_NS6detail15normal_iteratorINS8_10device_ptrIjEEEENSA_INSB_IiEEEEZNS1_13binary_searchIS3_S5_SD_SD_SF_NS1_21upper_bound_search_opENS9_16wrapped_functionINS0_4lessIvEEbEEEE10hipError_tPvRmT1_T2_T3_mmT4_T5_P12ihipStream_tbEUlRKjE_EESM_SQ_SR_mSS_SV_bEUlT_E_NS1_11comp_targetILNS1_3genE5ELNS1_11target_archE942ELNS1_3gpuE9ELNS1_3repE0EEENS1_30default_config_static_selectorELNS0_4arch9wavefront6targetE0EEEvSP_,"axG",@progbits,_ZN7rocprim17ROCPRIM_400000_NS6detail17trampoline_kernelINS0_14default_configENS1_27upper_bound_config_selectorIjiEEZNS1_14transform_implILb0ES3_S5_N6thrust23THRUST_200600_302600_NS6detail15normal_iteratorINS8_10device_ptrIjEEEENSA_INSB_IiEEEEZNS1_13binary_searchIS3_S5_SD_SD_SF_NS1_21upper_bound_search_opENS9_16wrapped_functionINS0_4lessIvEEbEEEE10hipError_tPvRmT1_T2_T3_mmT4_T5_P12ihipStream_tbEUlRKjE_EESM_SQ_SR_mSS_SV_bEUlT_E_NS1_11comp_targetILNS1_3genE5ELNS1_11target_archE942ELNS1_3gpuE9ELNS1_3repE0EEENS1_30default_config_static_selectorELNS0_4arch9wavefront6targetE0EEEvSP_,comdat
	.protected	_ZN7rocprim17ROCPRIM_400000_NS6detail17trampoline_kernelINS0_14default_configENS1_27upper_bound_config_selectorIjiEEZNS1_14transform_implILb0ES3_S5_N6thrust23THRUST_200600_302600_NS6detail15normal_iteratorINS8_10device_ptrIjEEEENSA_INSB_IiEEEEZNS1_13binary_searchIS3_S5_SD_SD_SF_NS1_21upper_bound_search_opENS9_16wrapped_functionINS0_4lessIvEEbEEEE10hipError_tPvRmT1_T2_T3_mmT4_T5_P12ihipStream_tbEUlRKjE_EESM_SQ_SR_mSS_SV_bEUlT_E_NS1_11comp_targetILNS1_3genE5ELNS1_11target_archE942ELNS1_3gpuE9ELNS1_3repE0EEENS1_30default_config_static_selectorELNS0_4arch9wavefront6targetE0EEEvSP_ ; -- Begin function _ZN7rocprim17ROCPRIM_400000_NS6detail17trampoline_kernelINS0_14default_configENS1_27upper_bound_config_selectorIjiEEZNS1_14transform_implILb0ES3_S5_N6thrust23THRUST_200600_302600_NS6detail15normal_iteratorINS8_10device_ptrIjEEEENSA_INSB_IiEEEEZNS1_13binary_searchIS3_S5_SD_SD_SF_NS1_21upper_bound_search_opENS9_16wrapped_functionINS0_4lessIvEEbEEEE10hipError_tPvRmT1_T2_T3_mmT4_T5_P12ihipStream_tbEUlRKjE_EESM_SQ_SR_mSS_SV_bEUlT_E_NS1_11comp_targetILNS1_3genE5ELNS1_11target_archE942ELNS1_3gpuE9ELNS1_3repE0EEENS1_30default_config_static_selectorELNS0_4arch9wavefront6targetE0EEEvSP_
	.globl	_ZN7rocprim17ROCPRIM_400000_NS6detail17trampoline_kernelINS0_14default_configENS1_27upper_bound_config_selectorIjiEEZNS1_14transform_implILb0ES3_S5_N6thrust23THRUST_200600_302600_NS6detail15normal_iteratorINS8_10device_ptrIjEEEENSA_INSB_IiEEEEZNS1_13binary_searchIS3_S5_SD_SD_SF_NS1_21upper_bound_search_opENS9_16wrapped_functionINS0_4lessIvEEbEEEE10hipError_tPvRmT1_T2_T3_mmT4_T5_P12ihipStream_tbEUlRKjE_EESM_SQ_SR_mSS_SV_bEUlT_E_NS1_11comp_targetILNS1_3genE5ELNS1_11target_archE942ELNS1_3gpuE9ELNS1_3repE0EEENS1_30default_config_static_selectorELNS0_4arch9wavefront6targetE0EEEvSP_
	.p2align	8
	.type	_ZN7rocprim17ROCPRIM_400000_NS6detail17trampoline_kernelINS0_14default_configENS1_27upper_bound_config_selectorIjiEEZNS1_14transform_implILb0ES3_S5_N6thrust23THRUST_200600_302600_NS6detail15normal_iteratorINS8_10device_ptrIjEEEENSA_INSB_IiEEEEZNS1_13binary_searchIS3_S5_SD_SD_SF_NS1_21upper_bound_search_opENS9_16wrapped_functionINS0_4lessIvEEbEEEE10hipError_tPvRmT1_T2_T3_mmT4_T5_P12ihipStream_tbEUlRKjE_EESM_SQ_SR_mSS_SV_bEUlT_E_NS1_11comp_targetILNS1_3genE5ELNS1_11target_archE942ELNS1_3gpuE9ELNS1_3repE0EEENS1_30default_config_static_selectorELNS0_4arch9wavefront6targetE0EEEvSP_,@function
_ZN7rocprim17ROCPRIM_400000_NS6detail17trampoline_kernelINS0_14default_configENS1_27upper_bound_config_selectorIjiEEZNS1_14transform_implILb0ES3_S5_N6thrust23THRUST_200600_302600_NS6detail15normal_iteratorINS8_10device_ptrIjEEEENSA_INSB_IiEEEEZNS1_13binary_searchIS3_S5_SD_SD_SF_NS1_21upper_bound_search_opENS9_16wrapped_functionINS0_4lessIvEEbEEEE10hipError_tPvRmT1_T2_T3_mmT4_T5_P12ihipStream_tbEUlRKjE_EESM_SQ_SR_mSS_SV_bEUlT_E_NS1_11comp_targetILNS1_3genE5ELNS1_11target_archE942ELNS1_3gpuE9ELNS1_3repE0EEENS1_30default_config_static_selectorELNS0_4arch9wavefront6targetE0EEEvSP_: ; @_ZN7rocprim17ROCPRIM_400000_NS6detail17trampoline_kernelINS0_14default_configENS1_27upper_bound_config_selectorIjiEEZNS1_14transform_implILb0ES3_S5_N6thrust23THRUST_200600_302600_NS6detail15normal_iteratorINS8_10device_ptrIjEEEENSA_INSB_IiEEEEZNS1_13binary_searchIS3_S5_SD_SD_SF_NS1_21upper_bound_search_opENS9_16wrapped_functionINS0_4lessIvEEbEEEE10hipError_tPvRmT1_T2_T3_mmT4_T5_P12ihipStream_tbEUlRKjE_EESM_SQ_SR_mSS_SV_bEUlT_E_NS1_11comp_targetILNS1_3genE5ELNS1_11target_archE942ELNS1_3gpuE9ELNS1_3repE0EEENS1_30default_config_static_selectorELNS0_4arch9wavefront6targetE0EEEvSP_
; %bb.0:
	.section	.rodata,"a",@progbits
	.p2align	6, 0x0
	.amdhsa_kernel _ZN7rocprim17ROCPRIM_400000_NS6detail17trampoline_kernelINS0_14default_configENS1_27upper_bound_config_selectorIjiEEZNS1_14transform_implILb0ES3_S5_N6thrust23THRUST_200600_302600_NS6detail15normal_iteratorINS8_10device_ptrIjEEEENSA_INSB_IiEEEEZNS1_13binary_searchIS3_S5_SD_SD_SF_NS1_21upper_bound_search_opENS9_16wrapped_functionINS0_4lessIvEEbEEEE10hipError_tPvRmT1_T2_T3_mmT4_T5_P12ihipStream_tbEUlRKjE_EESM_SQ_SR_mSS_SV_bEUlT_E_NS1_11comp_targetILNS1_3genE5ELNS1_11target_archE942ELNS1_3gpuE9ELNS1_3repE0EEENS1_30default_config_static_selectorELNS0_4arch9wavefront6targetE0EEEvSP_
		.amdhsa_group_segment_fixed_size 0
		.amdhsa_private_segment_fixed_size 0
		.amdhsa_kernarg_size 56
		.amdhsa_user_sgpr_count 15
		.amdhsa_user_sgpr_dispatch_ptr 0
		.amdhsa_user_sgpr_queue_ptr 0
		.amdhsa_user_sgpr_kernarg_segment_ptr 1
		.amdhsa_user_sgpr_dispatch_id 0
		.amdhsa_user_sgpr_private_segment_size 0
		.amdhsa_wavefront_size32 1
		.amdhsa_uses_dynamic_stack 0
		.amdhsa_enable_private_segment 0
		.amdhsa_system_sgpr_workgroup_id_x 1
		.amdhsa_system_sgpr_workgroup_id_y 0
		.amdhsa_system_sgpr_workgroup_id_z 0
		.amdhsa_system_sgpr_workgroup_info 0
		.amdhsa_system_vgpr_workitem_id 0
		.amdhsa_next_free_vgpr 1
		.amdhsa_next_free_sgpr 1
		.amdhsa_reserve_vcc 0
		.amdhsa_float_round_mode_32 0
		.amdhsa_float_round_mode_16_64 0
		.amdhsa_float_denorm_mode_32 3
		.amdhsa_float_denorm_mode_16_64 3
		.amdhsa_dx10_clamp 1
		.amdhsa_ieee_mode 1
		.amdhsa_fp16_overflow 0
		.amdhsa_workgroup_processor_mode 1
		.amdhsa_memory_ordered 1
		.amdhsa_forward_progress 0
		.amdhsa_shared_vgpr_count 0
		.amdhsa_exception_fp_ieee_invalid_op 0
		.amdhsa_exception_fp_denorm_src 0
		.amdhsa_exception_fp_ieee_div_zero 0
		.amdhsa_exception_fp_ieee_overflow 0
		.amdhsa_exception_fp_ieee_underflow 0
		.amdhsa_exception_fp_ieee_inexact 0
		.amdhsa_exception_int_div_zero 0
	.end_amdhsa_kernel
	.section	.text._ZN7rocprim17ROCPRIM_400000_NS6detail17trampoline_kernelINS0_14default_configENS1_27upper_bound_config_selectorIjiEEZNS1_14transform_implILb0ES3_S5_N6thrust23THRUST_200600_302600_NS6detail15normal_iteratorINS8_10device_ptrIjEEEENSA_INSB_IiEEEEZNS1_13binary_searchIS3_S5_SD_SD_SF_NS1_21upper_bound_search_opENS9_16wrapped_functionINS0_4lessIvEEbEEEE10hipError_tPvRmT1_T2_T3_mmT4_T5_P12ihipStream_tbEUlRKjE_EESM_SQ_SR_mSS_SV_bEUlT_E_NS1_11comp_targetILNS1_3genE5ELNS1_11target_archE942ELNS1_3gpuE9ELNS1_3repE0EEENS1_30default_config_static_selectorELNS0_4arch9wavefront6targetE0EEEvSP_,"axG",@progbits,_ZN7rocprim17ROCPRIM_400000_NS6detail17trampoline_kernelINS0_14default_configENS1_27upper_bound_config_selectorIjiEEZNS1_14transform_implILb0ES3_S5_N6thrust23THRUST_200600_302600_NS6detail15normal_iteratorINS8_10device_ptrIjEEEENSA_INSB_IiEEEEZNS1_13binary_searchIS3_S5_SD_SD_SF_NS1_21upper_bound_search_opENS9_16wrapped_functionINS0_4lessIvEEbEEEE10hipError_tPvRmT1_T2_T3_mmT4_T5_P12ihipStream_tbEUlRKjE_EESM_SQ_SR_mSS_SV_bEUlT_E_NS1_11comp_targetILNS1_3genE5ELNS1_11target_archE942ELNS1_3gpuE9ELNS1_3repE0EEENS1_30default_config_static_selectorELNS0_4arch9wavefront6targetE0EEEvSP_,comdat
.Lfunc_end358:
	.size	_ZN7rocprim17ROCPRIM_400000_NS6detail17trampoline_kernelINS0_14default_configENS1_27upper_bound_config_selectorIjiEEZNS1_14transform_implILb0ES3_S5_N6thrust23THRUST_200600_302600_NS6detail15normal_iteratorINS8_10device_ptrIjEEEENSA_INSB_IiEEEEZNS1_13binary_searchIS3_S5_SD_SD_SF_NS1_21upper_bound_search_opENS9_16wrapped_functionINS0_4lessIvEEbEEEE10hipError_tPvRmT1_T2_T3_mmT4_T5_P12ihipStream_tbEUlRKjE_EESM_SQ_SR_mSS_SV_bEUlT_E_NS1_11comp_targetILNS1_3genE5ELNS1_11target_archE942ELNS1_3gpuE9ELNS1_3repE0EEENS1_30default_config_static_selectorELNS0_4arch9wavefront6targetE0EEEvSP_, .Lfunc_end358-_ZN7rocprim17ROCPRIM_400000_NS6detail17trampoline_kernelINS0_14default_configENS1_27upper_bound_config_selectorIjiEEZNS1_14transform_implILb0ES3_S5_N6thrust23THRUST_200600_302600_NS6detail15normal_iteratorINS8_10device_ptrIjEEEENSA_INSB_IiEEEEZNS1_13binary_searchIS3_S5_SD_SD_SF_NS1_21upper_bound_search_opENS9_16wrapped_functionINS0_4lessIvEEbEEEE10hipError_tPvRmT1_T2_T3_mmT4_T5_P12ihipStream_tbEUlRKjE_EESM_SQ_SR_mSS_SV_bEUlT_E_NS1_11comp_targetILNS1_3genE5ELNS1_11target_archE942ELNS1_3gpuE9ELNS1_3repE0EEENS1_30default_config_static_selectorELNS0_4arch9wavefront6targetE0EEEvSP_
                                        ; -- End function
	.section	.AMDGPU.csdata,"",@progbits
; Kernel info:
; codeLenInByte = 0
; NumSgprs: 0
; NumVgprs: 0
; ScratchSize: 0
; MemoryBound: 0
; FloatMode: 240
; IeeeMode: 1
; LDSByteSize: 0 bytes/workgroup (compile time only)
; SGPRBlocks: 0
; VGPRBlocks: 0
; NumSGPRsForWavesPerEU: 1
; NumVGPRsForWavesPerEU: 1
; Occupancy: 16
; WaveLimiterHint : 0
; COMPUTE_PGM_RSRC2:SCRATCH_EN: 0
; COMPUTE_PGM_RSRC2:USER_SGPR: 15
; COMPUTE_PGM_RSRC2:TRAP_HANDLER: 0
; COMPUTE_PGM_RSRC2:TGID_X_EN: 1
; COMPUTE_PGM_RSRC2:TGID_Y_EN: 0
; COMPUTE_PGM_RSRC2:TGID_Z_EN: 0
; COMPUTE_PGM_RSRC2:TIDIG_COMP_CNT: 0
	.section	.text._ZN7rocprim17ROCPRIM_400000_NS6detail17trampoline_kernelINS0_14default_configENS1_27upper_bound_config_selectorIjiEEZNS1_14transform_implILb0ES3_S5_N6thrust23THRUST_200600_302600_NS6detail15normal_iteratorINS8_10device_ptrIjEEEENSA_INSB_IiEEEEZNS1_13binary_searchIS3_S5_SD_SD_SF_NS1_21upper_bound_search_opENS9_16wrapped_functionINS0_4lessIvEEbEEEE10hipError_tPvRmT1_T2_T3_mmT4_T5_P12ihipStream_tbEUlRKjE_EESM_SQ_SR_mSS_SV_bEUlT_E_NS1_11comp_targetILNS1_3genE4ELNS1_11target_archE910ELNS1_3gpuE8ELNS1_3repE0EEENS1_30default_config_static_selectorELNS0_4arch9wavefront6targetE0EEEvSP_,"axG",@progbits,_ZN7rocprim17ROCPRIM_400000_NS6detail17trampoline_kernelINS0_14default_configENS1_27upper_bound_config_selectorIjiEEZNS1_14transform_implILb0ES3_S5_N6thrust23THRUST_200600_302600_NS6detail15normal_iteratorINS8_10device_ptrIjEEEENSA_INSB_IiEEEEZNS1_13binary_searchIS3_S5_SD_SD_SF_NS1_21upper_bound_search_opENS9_16wrapped_functionINS0_4lessIvEEbEEEE10hipError_tPvRmT1_T2_T3_mmT4_T5_P12ihipStream_tbEUlRKjE_EESM_SQ_SR_mSS_SV_bEUlT_E_NS1_11comp_targetILNS1_3genE4ELNS1_11target_archE910ELNS1_3gpuE8ELNS1_3repE0EEENS1_30default_config_static_selectorELNS0_4arch9wavefront6targetE0EEEvSP_,comdat
	.protected	_ZN7rocprim17ROCPRIM_400000_NS6detail17trampoline_kernelINS0_14default_configENS1_27upper_bound_config_selectorIjiEEZNS1_14transform_implILb0ES3_S5_N6thrust23THRUST_200600_302600_NS6detail15normal_iteratorINS8_10device_ptrIjEEEENSA_INSB_IiEEEEZNS1_13binary_searchIS3_S5_SD_SD_SF_NS1_21upper_bound_search_opENS9_16wrapped_functionINS0_4lessIvEEbEEEE10hipError_tPvRmT1_T2_T3_mmT4_T5_P12ihipStream_tbEUlRKjE_EESM_SQ_SR_mSS_SV_bEUlT_E_NS1_11comp_targetILNS1_3genE4ELNS1_11target_archE910ELNS1_3gpuE8ELNS1_3repE0EEENS1_30default_config_static_selectorELNS0_4arch9wavefront6targetE0EEEvSP_ ; -- Begin function _ZN7rocprim17ROCPRIM_400000_NS6detail17trampoline_kernelINS0_14default_configENS1_27upper_bound_config_selectorIjiEEZNS1_14transform_implILb0ES3_S5_N6thrust23THRUST_200600_302600_NS6detail15normal_iteratorINS8_10device_ptrIjEEEENSA_INSB_IiEEEEZNS1_13binary_searchIS3_S5_SD_SD_SF_NS1_21upper_bound_search_opENS9_16wrapped_functionINS0_4lessIvEEbEEEE10hipError_tPvRmT1_T2_T3_mmT4_T5_P12ihipStream_tbEUlRKjE_EESM_SQ_SR_mSS_SV_bEUlT_E_NS1_11comp_targetILNS1_3genE4ELNS1_11target_archE910ELNS1_3gpuE8ELNS1_3repE0EEENS1_30default_config_static_selectorELNS0_4arch9wavefront6targetE0EEEvSP_
	.globl	_ZN7rocprim17ROCPRIM_400000_NS6detail17trampoline_kernelINS0_14default_configENS1_27upper_bound_config_selectorIjiEEZNS1_14transform_implILb0ES3_S5_N6thrust23THRUST_200600_302600_NS6detail15normal_iteratorINS8_10device_ptrIjEEEENSA_INSB_IiEEEEZNS1_13binary_searchIS3_S5_SD_SD_SF_NS1_21upper_bound_search_opENS9_16wrapped_functionINS0_4lessIvEEbEEEE10hipError_tPvRmT1_T2_T3_mmT4_T5_P12ihipStream_tbEUlRKjE_EESM_SQ_SR_mSS_SV_bEUlT_E_NS1_11comp_targetILNS1_3genE4ELNS1_11target_archE910ELNS1_3gpuE8ELNS1_3repE0EEENS1_30default_config_static_selectorELNS0_4arch9wavefront6targetE0EEEvSP_
	.p2align	8
	.type	_ZN7rocprim17ROCPRIM_400000_NS6detail17trampoline_kernelINS0_14default_configENS1_27upper_bound_config_selectorIjiEEZNS1_14transform_implILb0ES3_S5_N6thrust23THRUST_200600_302600_NS6detail15normal_iteratorINS8_10device_ptrIjEEEENSA_INSB_IiEEEEZNS1_13binary_searchIS3_S5_SD_SD_SF_NS1_21upper_bound_search_opENS9_16wrapped_functionINS0_4lessIvEEbEEEE10hipError_tPvRmT1_T2_T3_mmT4_T5_P12ihipStream_tbEUlRKjE_EESM_SQ_SR_mSS_SV_bEUlT_E_NS1_11comp_targetILNS1_3genE4ELNS1_11target_archE910ELNS1_3gpuE8ELNS1_3repE0EEENS1_30default_config_static_selectorELNS0_4arch9wavefront6targetE0EEEvSP_,@function
_ZN7rocprim17ROCPRIM_400000_NS6detail17trampoline_kernelINS0_14default_configENS1_27upper_bound_config_selectorIjiEEZNS1_14transform_implILb0ES3_S5_N6thrust23THRUST_200600_302600_NS6detail15normal_iteratorINS8_10device_ptrIjEEEENSA_INSB_IiEEEEZNS1_13binary_searchIS3_S5_SD_SD_SF_NS1_21upper_bound_search_opENS9_16wrapped_functionINS0_4lessIvEEbEEEE10hipError_tPvRmT1_T2_T3_mmT4_T5_P12ihipStream_tbEUlRKjE_EESM_SQ_SR_mSS_SV_bEUlT_E_NS1_11comp_targetILNS1_3genE4ELNS1_11target_archE910ELNS1_3gpuE8ELNS1_3repE0EEENS1_30default_config_static_selectorELNS0_4arch9wavefront6targetE0EEEvSP_: ; @_ZN7rocprim17ROCPRIM_400000_NS6detail17trampoline_kernelINS0_14default_configENS1_27upper_bound_config_selectorIjiEEZNS1_14transform_implILb0ES3_S5_N6thrust23THRUST_200600_302600_NS6detail15normal_iteratorINS8_10device_ptrIjEEEENSA_INSB_IiEEEEZNS1_13binary_searchIS3_S5_SD_SD_SF_NS1_21upper_bound_search_opENS9_16wrapped_functionINS0_4lessIvEEbEEEE10hipError_tPvRmT1_T2_T3_mmT4_T5_P12ihipStream_tbEUlRKjE_EESM_SQ_SR_mSS_SV_bEUlT_E_NS1_11comp_targetILNS1_3genE4ELNS1_11target_archE910ELNS1_3gpuE8ELNS1_3repE0EEENS1_30default_config_static_selectorELNS0_4arch9wavefront6targetE0EEEvSP_
; %bb.0:
	.section	.rodata,"a",@progbits
	.p2align	6, 0x0
	.amdhsa_kernel _ZN7rocprim17ROCPRIM_400000_NS6detail17trampoline_kernelINS0_14default_configENS1_27upper_bound_config_selectorIjiEEZNS1_14transform_implILb0ES3_S5_N6thrust23THRUST_200600_302600_NS6detail15normal_iteratorINS8_10device_ptrIjEEEENSA_INSB_IiEEEEZNS1_13binary_searchIS3_S5_SD_SD_SF_NS1_21upper_bound_search_opENS9_16wrapped_functionINS0_4lessIvEEbEEEE10hipError_tPvRmT1_T2_T3_mmT4_T5_P12ihipStream_tbEUlRKjE_EESM_SQ_SR_mSS_SV_bEUlT_E_NS1_11comp_targetILNS1_3genE4ELNS1_11target_archE910ELNS1_3gpuE8ELNS1_3repE0EEENS1_30default_config_static_selectorELNS0_4arch9wavefront6targetE0EEEvSP_
		.amdhsa_group_segment_fixed_size 0
		.amdhsa_private_segment_fixed_size 0
		.amdhsa_kernarg_size 56
		.amdhsa_user_sgpr_count 15
		.amdhsa_user_sgpr_dispatch_ptr 0
		.amdhsa_user_sgpr_queue_ptr 0
		.amdhsa_user_sgpr_kernarg_segment_ptr 1
		.amdhsa_user_sgpr_dispatch_id 0
		.amdhsa_user_sgpr_private_segment_size 0
		.amdhsa_wavefront_size32 1
		.amdhsa_uses_dynamic_stack 0
		.amdhsa_enable_private_segment 0
		.amdhsa_system_sgpr_workgroup_id_x 1
		.amdhsa_system_sgpr_workgroup_id_y 0
		.amdhsa_system_sgpr_workgroup_id_z 0
		.amdhsa_system_sgpr_workgroup_info 0
		.amdhsa_system_vgpr_workitem_id 0
		.amdhsa_next_free_vgpr 1
		.amdhsa_next_free_sgpr 1
		.amdhsa_reserve_vcc 0
		.amdhsa_float_round_mode_32 0
		.amdhsa_float_round_mode_16_64 0
		.amdhsa_float_denorm_mode_32 3
		.amdhsa_float_denorm_mode_16_64 3
		.amdhsa_dx10_clamp 1
		.amdhsa_ieee_mode 1
		.amdhsa_fp16_overflow 0
		.amdhsa_workgroup_processor_mode 1
		.amdhsa_memory_ordered 1
		.amdhsa_forward_progress 0
		.amdhsa_shared_vgpr_count 0
		.amdhsa_exception_fp_ieee_invalid_op 0
		.amdhsa_exception_fp_denorm_src 0
		.amdhsa_exception_fp_ieee_div_zero 0
		.amdhsa_exception_fp_ieee_overflow 0
		.amdhsa_exception_fp_ieee_underflow 0
		.amdhsa_exception_fp_ieee_inexact 0
		.amdhsa_exception_int_div_zero 0
	.end_amdhsa_kernel
	.section	.text._ZN7rocprim17ROCPRIM_400000_NS6detail17trampoline_kernelINS0_14default_configENS1_27upper_bound_config_selectorIjiEEZNS1_14transform_implILb0ES3_S5_N6thrust23THRUST_200600_302600_NS6detail15normal_iteratorINS8_10device_ptrIjEEEENSA_INSB_IiEEEEZNS1_13binary_searchIS3_S5_SD_SD_SF_NS1_21upper_bound_search_opENS9_16wrapped_functionINS0_4lessIvEEbEEEE10hipError_tPvRmT1_T2_T3_mmT4_T5_P12ihipStream_tbEUlRKjE_EESM_SQ_SR_mSS_SV_bEUlT_E_NS1_11comp_targetILNS1_3genE4ELNS1_11target_archE910ELNS1_3gpuE8ELNS1_3repE0EEENS1_30default_config_static_selectorELNS0_4arch9wavefront6targetE0EEEvSP_,"axG",@progbits,_ZN7rocprim17ROCPRIM_400000_NS6detail17trampoline_kernelINS0_14default_configENS1_27upper_bound_config_selectorIjiEEZNS1_14transform_implILb0ES3_S5_N6thrust23THRUST_200600_302600_NS6detail15normal_iteratorINS8_10device_ptrIjEEEENSA_INSB_IiEEEEZNS1_13binary_searchIS3_S5_SD_SD_SF_NS1_21upper_bound_search_opENS9_16wrapped_functionINS0_4lessIvEEbEEEE10hipError_tPvRmT1_T2_T3_mmT4_T5_P12ihipStream_tbEUlRKjE_EESM_SQ_SR_mSS_SV_bEUlT_E_NS1_11comp_targetILNS1_3genE4ELNS1_11target_archE910ELNS1_3gpuE8ELNS1_3repE0EEENS1_30default_config_static_selectorELNS0_4arch9wavefront6targetE0EEEvSP_,comdat
.Lfunc_end359:
	.size	_ZN7rocprim17ROCPRIM_400000_NS6detail17trampoline_kernelINS0_14default_configENS1_27upper_bound_config_selectorIjiEEZNS1_14transform_implILb0ES3_S5_N6thrust23THRUST_200600_302600_NS6detail15normal_iteratorINS8_10device_ptrIjEEEENSA_INSB_IiEEEEZNS1_13binary_searchIS3_S5_SD_SD_SF_NS1_21upper_bound_search_opENS9_16wrapped_functionINS0_4lessIvEEbEEEE10hipError_tPvRmT1_T2_T3_mmT4_T5_P12ihipStream_tbEUlRKjE_EESM_SQ_SR_mSS_SV_bEUlT_E_NS1_11comp_targetILNS1_3genE4ELNS1_11target_archE910ELNS1_3gpuE8ELNS1_3repE0EEENS1_30default_config_static_selectorELNS0_4arch9wavefront6targetE0EEEvSP_, .Lfunc_end359-_ZN7rocprim17ROCPRIM_400000_NS6detail17trampoline_kernelINS0_14default_configENS1_27upper_bound_config_selectorIjiEEZNS1_14transform_implILb0ES3_S5_N6thrust23THRUST_200600_302600_NS6detail15normal_iteratorINS8_10device_ptrIjEEEENSA_INSB_IiEEEEZNS1_13binary_searchIS3_S5_SD_SD_SF_NS1_21upper_bound_search_opENS9_16wrapped_functionINS0_4lessIvEEbEEEE10hipError_tPvRmT1_T2_T3_mmT4_T5_P12ihipStream_tbEUlRKjE_EESM_SQ_SR_mSS_SV_bEUlT_E_NS1_11comp_targetILNS1_3genE4ELNS1_11target_archE910ELNS1_3gpuE8ELNS1_3repE0EEENS1_30default_config_static_selectorELNS0_4arch9wavefront6targetE0EEEvSP_
                                        ; -- End function
	.section	.AMDGPU.csdata,"",@progbits
; Kernel info:
; codeLenInByte = 0
; NumSgprs: 0
; NumVgprs: 0
; ScratchSize: 0
; MemoryBound: 0
; FloatMode: 240
; IeeeMode: 1
; LDSByteSize: 0 bytes/workgroup (compile time only)
; SGPRBlocks: 0
; VGPRBlocks: 0
; NumSGPRsForWavesPerEU: 1
; NumVGPRsForWavesPerEU: 1
; Occupancy: 16
; WaveLimiterHint : 0
; COMPUTE_PGM_RSRC2:SCRATCH_EN: 0
; COMPUTE_PGM_RSRC2:USER_SGPR: 15
; COMPUTE_PGM_RSRC2:TRAP_HANDLER: 0
; COMPUTE_PGM_RSRC2:TGID_X_EN: 1
; COMPUTE_PGM_RSRC2:TGID_Y_EN: 0
; COMPUTE_PGM_RSRC2:TGID_Z_EN: 0
; COMPUTE_PGM_RSRC2:TIDIG_COMP_CNT: 0
	.section	.text._ZN7rocprim17ROCPRIM_400000_NS6detail17trampoline_kernelINS0_14default_configENS1_27upper_bound_config_selectorIjiEEZNS1_14transform_implILb0ES3_S5_N6thrust23THRUST_200600_302600_NS6detail15normal_iteratorINS8_10device_ptrIjEEEENSA_INSB_IiEEEEZNS1_13binary_searchIS3_S5_SD_SD_SF_NS1_21upper_bound_search_opENS9_16wrapped_functionINS0_4lessIvEEbEEEE10hipError_tPvRmT1_T2_T3_mmT4_T5_P12ihipStream_tbEUlRKjE_EESM_SQ_SR_mSS_SV_bEUlT_E_NS1_11comp_targetILNS1_3genE3ELNS1_11target_archE908ELNS1_3gpuE7ELNS1_3repE0EEENS1_30default_config_static_selectorELNS0_4arch9wavefront6targetE0EEEvSP_,"axG",@progbits,_ZN7rocprim17ROCPRIM_400000_NS6detail17trampoline_kernelINS0_14default_configENS1_27upper_bound_config_selectorIjiEEZNS1_14transform_implILb0ES3_S5_N6thrust23THRUST_200600_302600_NS6detail15normal_iteratorINS8_10device_ptrIjEEEENSA_INSB_IiEEEEZNS1_13binary_searchIS3_S5_SD_SD_SF_NS1_21upper_bound_search_opENS9_16wrapped_functionINS0_4lessIvEEbEEEE10hipError_tPvRmT1_T2_T3_mmT4_T5_P12ihipStream_tbEUlRKjE_EESM_SQ_SR_mSS_SV_bEUlT_E_NS1_11comp_targetILNS1_3genE3ELNS1_11target_archE908ELNS1_3gpuE7ELNS1_3repE0EEENS1_30default_config_static_selectorELNS0_4arch9wavefront6targetE0EEEvSP_,comdat
	.protected	_ZN7rocprim17ROCPRIM_400000_NS6detail17trampoline_kernelINS0_14default_configENS1_27upper_bound_config_selectorIjiEEZNS1_14transform_implILb0ES3_S5_N6thrust23THRUST_200600_302600_NS6detail15normal_iteratorINS8_10device_ptrIjEEEENSA_INSB_IiEEEEZNS1_13binary_searchIS3_S5_SD_SD_SF_NS1_21upper_bound_search_opENS9_16wrapped_functionINS0_4lessIvEEbEEEE10hipError_tPvRmT1_T2_T3_mmT4_T5_P12ihipStream_tbEUlRKjE_EESM_SQ_SR_mSS_SV_bEUlT_E_NS1_11comp_targetILNS1_3genE3ELNS1_11target_archE908ELNS1_3gpuE7ELNS1_3repE0EEENS1_30default_config_static_selectorELNS0_4arch9wavefront6targetE0EEEvSP_ ; -- Begin function _ZN7rocprim17ROCPRIM_400000_NS6detail17trampoline_kernelINS0_14default_configENS1_27upper_bound_config_selectorIjiEEZNS1_14transform_implILb0ES3_S5_N6thrust23THRUST_200600_302600_NS6detail15normal_iteratorINS8_10device_ptrIjEEEENSA_INSB_IiEEEEZNS1_13binary_searchIS3_S5_SD_SD_SF_NS1_21upper_bound_search_opENS9_16wrapped_functionINS0_4lessIvEEbEEEE10hipError_tPvRmT1_T2_T3_mmT4_T5_P12ihipStream_tbEUlRKjE_EESM_SQ_SR_mSS_SV_bEUlT_E_NS1_11comp_targetILNS1_3genE3ELNS1_11target_archE908ELNS1_3gpuE7ELNS1_3repE0EEENS1_30default_config_static_selectorELNS0_4arch9wavefront6targetE0EEEvSP_
	.globl	_ZN7rocprim17ROCPRIM_400000_NS6detail17trampoline_kernelINS0_14default_configENS1_27upper_bound_config_selectorIjiEEZNS1_14transform_implILb0ES3_S5_N6thrust23THRUST_200600_302600_NS6detail15normal_iteratorINS8_10device_ptrIjEEEENSA_INSB_IiEEEEZNS1_13binary_searchIS3_S5_SD_SD_SF_NS1_21upper_bound_search_opENS9_16wrapped_functionINS0_4lessIvEEbEEEE10hipError_tPvRmT1_T2_T3_mmT4_T5_P12ihipStream_tbEUlRKjE_EESM_SQ_SR_mSS_SV_bEUlT_E_NS1_11comp_targetILNS1_3genE3ELNS1_11target_archE908ELNS1_3gpuE7ELNS1_3repE0EEENS1_30default_config_static_selectorELNS0_4arch9wavefront6targetE0EEEvSP_
	.p2align	8
	.type	_ZN7rocprim17ROCPRIM_400000_NS6detail17trampoline_kernelINS0_14default_configENS1_27upper_bound_config_selectorIjiEEZNS1_14transform_implILb0ES3_S5_N6thrust23THRUST_200600_302600_NS6detail15normal_iteratorINS8_10device_ptrIjEEEENSA_INSB_IiEEEEZNS1_13binary_searchIS3_S5_SD_SD_SF_NS1_21upper_bound_search_opENS9_16wrapped_functionINS0_4lessIvEEbEEEE10hipError_tPvRmT1_T2_T3_mmT4_T5_P12ihipStream_tbEUlRKjE_EESM_SQ_SR_mSS_SV_bEUlT_E_NS1_11comp_targetILNS1_3genE3ELNS1_11target_archE908ELNS1_3gpuE7ELNS1_3repE0EEENS1_30default_config_static_selectorELNS0_4arch9wavefront6targetE0EEEvSP_,@function
_ZN7rocprim17ROCPRIM_400000_NS6detail17trampoline_kernelINS0_14default_configENS1_27upper_bound_config_selectorIjiEEZNS1_14transform_implILb0ES3_S5_N6thrust23THRUST_200600_302600_NS6detail15normal_iteratorINS8_10device_ptrIjEEEENSA_INSB_IiEEEEZNS1_13binary_searchIS3_S5_SD_SD_SF_NS1_21upper_bound_search_opENS9_16wrapped_functionINS0_4lessIvEEbEEEE10hipError_tPvRmT1_T2_T3_mmT4_T5_P12ihipStream_tbEUlRKjE_EESM_SQ_SR_mSS_SV_bEUlT_E_NS1_11comp_targetILNS1_3genE3ELNS1_11target_archE908ELNS1_3gpuE7ELNS1_3repE0EEENS1_30default_config_static_selectorELNS0_4arch9wavefront6targetE0EEEvSP_: ; @_ZN7rocprim17ROCPRIM_400000_NS6detail17trampoline_kernelINS0_14default_configENS1_27upper_bound_config_selectorIjiEEZNS1_14transform_implILb0ES3_S5_N6thrust23THRUST_200600_302600_NS6detail15normal_iteratorINS8_10device_ptrIjEEEENSA_INSB_IiEEEEZNS1_13binary_searchIS3_S5_SD_SD_SF_NS1_21upper_bound_search_opENS9_16wrapped_functionINS0_4lessIvEEbEEEE10hipError_tPvRmT1_T2_T3_mmT4_T5_P12ihipStream_tbEUlRKjE_EESM_SQ_SR_mSS_SV_bEUlT_E_NS1_11comp_targetILNS1_3genE3ELNS1_11target_archE908ELNS1_3gpuE7ELNS1_3repE0EEENS1_30default_config_static_selectorELNS0_4arch9wavefront6targetE0EEEvSP_
; %bb.0:
	.section	.rodata,"a",@progbits
	.p2align	6, 0x0
	.amdhsa_kernel _ZN7rocprim17ROCPRIM_400000_NS6detail17trampoline_kernelINS0_14default_configENS1_27upper_bound_config_selectorIjiEEZNS1_14transform_implILb0ES3_S5_N6thrust23THRUST_200600_302600_NS6detail15normal_iteratorINS8_10device_ptrIjEEEENSA_INSB_IiEEEEZNS1_13binary_searchIS3_S5_SD_SD_SF_NS1_21upper_bound_search_opENS9_16wrapped_functionINS0_4lessIvEEbEEEE10hipError_tPvRmT1_T2_T3_mmT4_T5_P12ihipStream_tbEUlRKjE_EESM_SQ_SR_mSS_SV_bEUlT_E_NS1_11comp_targetILNS1_3genE3ELNS1_11target_archE908ELNS1_3gpuE7ELNS1_3repE0EEENS1_30default_config_static_selectorELNS0_4arch9wavefront6targetE0EEEvSP_
		.amdhsa_group_segment_fixed_size 0
		.amdhsa_private_segment_fixed_size 0
		.amdhsa_kernarg_size 56
		.amdhsa_user_sgpr_count 15
		.amdhsa_user_sgpr_dispatch_ptr 0
		.amdhsa_user_sgpr_queue_ptr 0
		.amdhsa_user_sgpr_kernarg_segment_ptr 1
		.amdhsa_user_sgpr_dispatch_id 0
		.amdhsa_user_sgpr_private_segment_size 0
		.amdhsa_wavefront_size32 1
		.amdhsa_uses_dynamic_stack 0
		.amdhsa_enable_private_segment 0
		.amdhsa_system_sgpr_workgroup_id_x 1
		.amdhsa_system_sgpr_workgroup_id_y 0
		.amdhsa_system_sgpr_workgroup_id_z 0
		.amdhsa_system_sgpr_workgroup_info 0
		.amdhsa_system_vgpr_workitem_id 0
		.amdhsa_next_free_vgpr 1
		.amdhsa_next_free_sgpr 1
		.amdhsa_reserve_vcc 0
		.amdhsa_float_round_mode_32 0
		.amdhsa_float_round_mode_16_64 0
		.amdhsa_float_denorm_mode_32 3
		.amdhsa_float_denorm_mode_16_64 3
		.amdhsa_dx10_clamp 1
		.amdhsa_ieee_mode 1
		.amdhsa_fp16_overflow 0
		.amdhsa_workgroup_processor_mode 1
		.amdhsa_memory_ordered 1
		.amdhsa_forward_progress 0
		.amdhsa_shared_vgpr_count 0
		.amdhsa_exception_fp_ieee_invalid_op 0
		.amdhsa_exception_fp_denorm_src 0
		.amdhsa_exception_fp_ieee_div_zero 0
		.amdhsa_exception_fp_ieee_overflow 0
		.amdhsa_exception_fp_ieee_underflow 0
		.amdhsa_exception_fp_ieee_inexact 0
		.amdhsa_exception_int_div_zero 0
	.end_amdhsa_kernel
	.section	.text._ZN7rocprim17ROCPRIM_400000_NS6detail17trampoline_kernelINS0_14default_configENS1_27upper_bound_config_selectorIjiEEZNS1_14transform_implILb0ES3_S5_N6thrust23THRUST_200600_302600_NS6detail15normal_iteratorINS8_10device_ptrIjEEEENSA_INSB_IiEEEEZNS1_13binary_searchIS3_S5_SD_SD_SF_NS1_21upper_bound_search_opENS9_16wrapped_functionINS0_4lessIvEEbEEEE10hipError_tPvRmT1_T2_T3_mmT4_T5_P12ihipStream_tbEUlRKjE_EESM_SQ_SR_mSS_SV_bEUlT_E_NS1_11comp_targetILNS1_3genE3ELNS1_11target_archE908ELNS1_3gpuE7ELNS1_3repE0EEENS1_30default_config_static_selectorELNS0_4arch9wavefront6targetE0EEEvSP_,"axG",@progbits,_ZN7rocprim17ROCPRIM_400000_NS6detail17trampoline_kernelINS0_14default_configENS1_27upper_bound_config_selectorIjiEEZNS1_14transform_implILb0ES3_S5_N6thrust23THRUST_200600_302600_NS6detail15normal_iteratorINS8_10device_ptrIjEEEENSA_INSB_IiEEEEZNS1_13binary_searchIS3_S5_SD_SD_SF_NS1_21upper_bound_search_opENS9_16wrapped_functionINS0_4lessIvEEbEEEE10hipError_tPvRmT1_T2_T3_mmT4_T5_P12ihipStream_tbEUlRKjE_EESM_SQ_SR_mSS_SV_bEUlT_E_NS1_11comp_targetILNS1_3genE3ELNS1_11target_archE908ELNS1_3gpuE7ELNS1_3repE0EEENS1_30default_config_static_selectorELNS0_4arch9wavefront6targetE0EEEvSP_,comdat
.Lfunc_end360:
	.size	_ZN7rocprim17ROCPRIM_400000_NS6detail17trampoline_kernelINS0_14default_configENS1_27upper_bound_config_selectorIjiEEZNS1_14transform_implILb0ES3_S5_N6thrust23THRUST_200600_302600_NS6detail15normal_iteratorINS8_10device_ptrIjEEEENSA_INSB_IiEEEEZNS1_13binary_searchIS3_S5_SD_SD_SF_NS1_21upper_bound_search_opENS9_16wrapped_functionINS0_4lessIvEEbEEEE10hipError_tPvRmT1_T2_T3_mmT4_T5_P12ihipStream_tbEUlRKjE_EESM_SQ_SR_mSS_SV_bEUlT_E_NS1_11comp_targetILNS1_3genE3ELNS1_11target_archE908ELNS1_3gpuE7ELNS1_3repE0EEENS1_30default_config_static_selectorELNS0_4arch9wavefront6targetE0EEEvSP_, .Lfunc_end360-_ZN7rocprim17ROCPRIM_400000_NS6detail17trampoline_kernelINS0_14default_configENS1_27upper_bound_config_selectorIjiEEZNS1_14transform_implILb0ES3_S5_N6thrust23THRUST_200600_302600_NS6detail15normal_iteratorINS8_10device_ptrIjEEEENSA_INSB_IiEEEEZNS1_13binary_searchIS3_S5_SD_SD_SF_NS1_21upper_bound_search_opENS9_16wrapped_functionINS0_4lessIvEEbEEEE10hipError_tPvRmT1_T2_T3_mmT4_T5_P12ihipStream_tbEUlRKjE_EESM_SQ_SR_mSS_SV_bEUlT_E_NS1_11comp_targetILNS1_3genE3ELNS1_11target_archE908ELNS1_3gpuE7ELNS1_3repE0EEENS1_30default_config_static_selectorELNS0_4arch9wavefront6targetE0EEEvSP_
                                        ; -- End function
	.section	.AMDGPU.csdata,"",@progbits
; Kernel info:
; codeLenInByte = 0
; NumSgprs: 0
; NumVgprs: 0
; ScratchSize: 0
; MemoryBound: 0
; FloatMode: 240
; IeeeMode: 1
; LDSByteSize: 0 bytes/workgroup (compile time only)
; SGPRBlocks: 0
; VGPRBlocks: 0
; NumSGPRsForWavesPerEU: 1
; NumVGPRsForWavesPerEU: 1
; Occupancy: 16
; WaveLimiterHint : 0
; COMPUTE_PGM_RSRC2:SCRATCH_EN: 0
; COMPUTE_PGM_RSRC2:USER_SGPR: 15
; COMPUTE_PGM_RSRC2:TRAP_HANDLER: 0
; COMPUTE_PGM_RSRC2:TGID_X_EN: 1
; COMPUTE_PGM_RSRC2:TGID_Y_EN: 0
; COMPUTE_PGM_RSRC2:TGID_Z_EN: 0
; COMPUTE_PGM_RSRC2:TIDIG_COMP_CNT: 0
	.section	.text._ZN7rocprim17ROCPRIM_400000_NS6detail17trampoline_kernelINS0_14default_configENS1_27upper_bound_config_selectorIjiEEZNS1_14transform_implILb0ES3_S5_N6thrust23THRUST_200600_302600_NS6detail15normal_iteratorINS8_10device_ptrIjEEEENSA_INSB_IiEEEEZNS1_13binary_searchIS3_S5_SD_SD_SF_NS1_21upper_bound_search_opENS9_16wrapped_functionINS0_4lessIvEEbEEEE10hipError_tPvRmT1_T2_T3_mmT4_T5_P12ihipStream_tbEUlRKjE_EESM_SQ_SR_mSS_SV_bEUlT_E_NS1_11comp_targetILNS1_3genE2ELNS1_11target_archE906ELNS1_3gpuE6ELNS1_3repE0EEENS1_30default_config_static_selectorELNS0_4arch9wavefront6targetE0EEEvSP_,"axG",@progbits,_ZN7rocprim17ROCPRIM_400000_NS6detail17trampoline_kernelINS0_14default_configENS1_27upper_bound_config_selectorIjiEEZNS1_14transform_implILb0ES3_S5_N6thrust23THRUST_200600_302600_NS6detail15normal_iteratorINS8_10device_ptrIjEEEENSA_INSB_IiEEEEZNS1_13binary_searchIS3_S5_SD_SD_SF_NS1_21upper_bound_search_opENS9_16wrapped_functionINS0_4lessIvEEbEEEE10hipError_tPvRmT1_T2_T3_mmT4_T5_P12ihipStream_tbEUlRKjE_EESM_SQ_SR_mSS_SV_bEUlT_E_NS1_11comp_targetILNS1_3genE2ELNS1_11target_archE906ELNS1_3gpuE6ELNS1_3repE0EEENS1_30default_config_static_selectorELNS0_4arch9wavefront6targetE0EEEvSP_,comdat
	.protected	_ZN7rocprim17ROCPRIM_400000_NS6detail17trampoline_kernelINS0_14default_configENS1_27upper_bound_config_selectorIjiEEZNS1_14transform_implILb0ES3_S5_N6thrust23THRUST_200600_302600_NS6detail15normal_iteratorINS8_10device_ptrIjEEEENSA_INSB_IiEEEEZNS1_13binary_searchIS3_S5_SD_SD_SF_NS1_21upper_bound_search_opENS9_16wrapped_functionINS0_4lessIvEEbEEEE10hipError_tPvRmT1_T2_T3_mmT4_T5_P12ihipStream_tbEUlRKjE_EESM_SQ_SR_mSS_SV_bEUlT_E_NS1_11comp_targetILNS1_3genE2ELNS1_11target_archE906ELNS1_3gpuE6ELNS1_3repE0EEENS1_30default_config_static_selectorELNS0_4arch9wavefront6targetE0EEEvSP_ ; -- Begin function _ZN7rocprim17ROCPRIM_400000_NS6detail17trampoline_kernelINS0_14default_configENS1_27upper_bound_config_selectorIjiEEZNS1_14transform_implILb0ES3_S5_N6thrust23THRUST_200600_302600_NS6detail15normal_iteratorINS8_10device_ptrIjEEEENSA_INSB_IiEEEEZNS1_13binary_searchIS3_S5_SD_SD_SF_NS1_21upper_bound_search_opENS9_16wrapped_functionINS0_4lessIvEEbEEEE10hipError_tPvRmT1_T2_T3_mmT4_T5_P12ihipStream_tbEUlRKjE_EESM_SQ_SR_mSS_SV_bEUlT_E_NS1_11comp_targetILNS1_3genE2ELNS1_11target_archE906ELNS1_3gpuE6ELNS1_3repE0EEENS1_30default_config_static_selectorELNS0_4arch9wavefront6targetE0EEEvSP_
	.globl	_ZN7rocprim17ROCPRIM_400000_NS6detail17trampoline_kernelINS0_14default_configENS1_27upper_bound_config_selectorIjiEEZNS1_14transform_implILb0ES3_S5_N6thrust23THRUST_200600_302600_NS6detail15normal_iteratorINS8_10device_ptrIjEEEENSA_INSB_IiEEEEZNS1_13binary_searchIS3_S5_SD_SD_SF_NS1_21upper_bound_search_opENS9_16wrapped_functionINS0_4lessIvEEbEEEE10hipError_tPvRmT1_T2_T3_mmT4_T5_P12ihipStream_tbEUlRKjE_EESM_SQ_SR_mSS_SV_bEUlT_E_NS1_11comp_targetILNS1_3genE2ELNS1_11target_archE906ELNS1_3gpuE6ELNS1_3repE0EEENS1_30default_config_static_selectorELNS0_4arch9wavefront6targetE0EEEvSP_
	.p2align	8
	.type	_ZN7rocprim17ROCPRIM_400000_NS6detail17trampoline_kernelINS0_14default_configENS1_27upper_bound_config_selectorIjiEEZNS1_14transform_implILb0ES3_S5_N6thrust23THRUST_200600_302600_NS6detail15normal_iteratorINS8_10device_ptrIjEEEENSA_INSB_IiEEEEZNS1_13binary_searchIS3_S5_SD_SD_SF_NS1_21upper_bound_search_opENS9_16wrapped_functionINS0_4lessIvEEbEEEE10hipError_tPvRmT1_T2_T3_mmT4_T5_P12ihipStream_tbEUlRKjE_EESM_SQ_SR_mSS_SV_bEUlT_E_NS1_11comp_targetILNS1_3genE2ELNS1_11target_archE906ELNS1_3gpuE6ELNS1_3repE0EEENS1_30default_config_static_selectorELNS0_4arch9wavefront6targetE0EEEvSP_,@function
_ZN7rocprim17ROCPRIM_400000_NS6detail17trampoline_kernelINS0_14default_configENS1_27upper_bound_config_selectorIjiEEZNS1_14transform_implILb0ES3_S5_N6thrust23THRUST_200600_302600_NS6detail15normal_iteratorINS8_10device_ptrIjEEEENSA_INSB_IiEEEEZNS1_13binary_searchIS3_S5_SD_SD_SF_NS1_21upper_bound_search_opENS9_16wrapped_functionINS0_4lessIvEEbEEEE10hipError_tPvRmT1_T2_T3_mmT4_T5_P12ihipStream_tbEUlRKjE_EESM_SQ_SR_mSS_SV_bEUlT_E_NS1_11comp_targetILNS1_3genE2ELNS1_11target_archE906ELNS1_3gpuE6ELNS1_3repE0EEENS1_30default_config_static_selectorELNS0_4arch9wavefront6targetE0EEEvSP_: ; @_ZN7rocprim17ROCPRIM_400000_NS6detail17trampoline_kernelINS0_14default_configENS1_27upper_bound_config_selectorIjiEEZNS1_14transform_implILb0ES3_S5_N6thrust23THRUST_200600_302600_NS6detail15normal_iteratorINS8_10device_ptrIjEEEENSA_INSB_IiEEEEZNS1_13binary_searchIS3_S5_SD_SD_SF_NS1_21upper_bound_search_opENS9_16wrapped_functionINS0_4lessIvEEbEEEE10hipError_tPvRmT1_T2_T3_mmT4_T5_P12ihipStream_tbEUlRKjE_EESM_SQ_SR_mSS_SV_bEUlT_E_NS1_11comp_targetILNS1_3genE2ELNS1_11target_archE906ELNS1_3gpuE6ELNS1_3repE0EEENS1_30default_config_static_selectorELNS0_4arch9wavefront6targetE0EEEvSP_
; %bb.0:
	.section	.rodata,"a",@progbits
	.p2align	6, 0x0
	.amdhsa_kernel _ZN7rocprim17ROCPRIM_400000_NS6detail17trampoline_kernelINS0_14default_configENS1_27upper_bound_config_selectorIjiEEZNS1_14transform_implILb0ES3_S5_N6thrust23THRUST_200600_302600_NS6detail15normal_iteratorINS8_10device_ptrIjEEEENSA_INSB_IiEEEEZNS1_13binary_searchIS3_S5_SD_SD_SF_NS1_21upper_bound_search_opENS9_16wrapped_functionINS0_4lessIvEEbEEEE10hipError_tPvRmT1_T2_T3_mmT4_T5_P12ihipStream_tbEUlRKjE_EESM_SQ_SR_mSS_SV_bEUlT_E_NS1_11comp_targetILNS1_3genE2ELNS1_11target_archE906ELNS1_3gpuE6ELNS1_3repE0EEENS1_30default_config_static_selectorELNS0_4arch9wavefront6targetE0EEEvSP_
		.amdhsa_group_segment_fixed_size 0
		.amdhsa_private_segment_fixed_size 0
		.amdhsa_kernarg_size 56
		.amdhsa_user_sgpr_count 15
		.amdhsa_user_sgpr_dispatch_ptr 0
		.amdhsa_user_sgpr_queue_ptr 0
		.amdhsa_user_sgpr_kernarg_segment_ptr 1
		.amdhsa_user_sgpr_dispatch_id 0
		.amdhsa_user_sgpr_private_segment_size 0
		.amdhsa_wavefront_size32 1
		.amdhsa_uses_dynamic_stack 0
		.amdhsa_enable_private_segment 0
		.amdhsa_system_sgpr_workgroup_id_x 1
		.amdhsa_system_sgpr_workgroup_id_y 0
		.amdhsa_system_sgpr_workgroup_id_z 0
		.amdhsa_system_sgpr_workgroup_info 0
		.amdhsa_system_vgpr_workitem_id 0
		.amdhsa_next_free_vgpr 1
		.amdhsa_next_free_sgpr 1
		.amdhsa_reserve_vcc 0
		.amdhsa_float_round_mode_32 0
		.amdhsa_float_round_mode_16_64 0
		.amdhsa_float_denorm_mode_32 3
		.amdhsa_float_denorm_mode_16_64 3
		.amdhsa_dx10_clamp 1
		.amdhsa_ieee_mode 1
		.amdhsa_fp16_overflow 0
		.amdhsa_workgroup_processor_mode 1
		.amdhsa_memory_ordered 1
		.amdhsa_forward_progress 0
		.amdhsa_shared_vgpr_count 0
		.amdhsa_exception_fp_ieee_invalid_op 0
		.amdhsa_exception_fp_denorm_src 0
		.amdhsa_exception_fp_ieee_div_zero 0
		.amdhsa_exception_fp_ieee_overflow 0
		.amdhsa_exception_fp_ieee_underflow 0
		.amdhsa_exception_fp_ieee_inexact 0
		.amdhsa_exception_int_div_zero 0
	.end_amdhsa_kernel
	.section	.text._ZN7rocprim17ROCPRIM_400000_NS6detail17trampoline_kernelINS0_14default_configENS1_27upper_bound_config_selectorIjiEEZNS1_14transform_implILb0ES3_S5_N6thrust23THRUST_200600_302600_NS6detail15normal_iteratorINS8_10device_ptrIjEEEENSA_INSB_IiEEEEZNS1_13binary_searchIS3_S5_SD_SD_SF_NS1_21upper_bound_search_opENS9_16wrapped_functionINS0_4lessIvEEbEEEE10hipError_tPvRmT1_T2_T3_mmT4_T5_P12ihipStream_tbEUlRKjE_EESM_SQ_SR_mSS_SV_bEUlT_E_NS1_11comp_targetILNS1_3genE2ELNS1_11target_archE906ELNS1_3gpuE6ELNS1_3repE0EEENS1_30default_config_static_selectorELNS0_4arch9wavefront6targetE0EEEvSP_,"axG",@progbits,_ZN7rocprim17ROCPRIM_400000_NS6detail17trampoline_kernelINS0_14default_configENS1_27upper_bound_config_selectorIjiEEZNS1_14transform_implILb0ES3_S5_N6thrust23THRUST_200600_302600_NS6detail15normal_iteratorINS8_10device_ptrIjEEEENSA_INSB_IiEEEEZNS1_13binary_searchIS3_S5_SD_SD_SF_NS1_21upper_bound_search_opENS9_16wrapped_functionINS0_4lessIvEEbEEEE10hipError_tPvRmT1_T2_T3_mmT4_T5_P12ihipStream_tbEUlRKjE_EESM_SQ_SR_mSS_SV_bEUlT_E_NS1_11comp_targetILNS1_3genE2ELNS1_11target_archE906ELNS1_3gpuE6ELNS1_3repE0EEENS1_30default_config_static_selectorELNS0_4arch9wavefront6targetE0EEEvSP_,comdat
.Lfunc_end361:
	.size	_ZN7rocprim17ROCPRIM_400000_NS6detail17trampoline_kernelINS0_14default_configENS1_27upper_bound_config_selectorIjiEEZNS1_14transform_implILb0ES3_S5_N6thrust23THRUST_200600_302600_NS6detail15normal_iteratorINS8_10device_ptrIjEEEENSA_INSB_IiEEEEZNS1_13binary_searchIS3_S5_SD_SD_SF_NS1_21upper_bound_search_opENS9_16wrapped_functionINS0_4lessIvEEbEEEE10hipError_tPvRmT1_T2_T3_mmT4_T5_P12ihipStream_tbEUlRKjE_EESM_SQ_SR_mSS_SV_bEUlT_E_NS1_11comp_targetILNS1_3genE2ELNS1_11target_archE906ELNS1_3gpuE6ELNS1_3repE0EEENS1_30default_config_static_selectorELNS0_4arch9wavefront6targetE0EEEvSP_, .Lfunc_end361-_ZN7rocprim17ROCPRIM_400000_NS6detail17trampoline_kernelINS0_14default_configENS1_27upper_bound_config_selectorIjiEEZNS1_14transform_implILb0ES3_S5_N6thrust23THRUST_200600_302600_NS6detail15normal_iteratorINS8_10device_ptrIjEEEENSA_INSB_IiEEEEZNS1_13binary_searchIS3_S5_SD_SD_SF_NS1_21upper_bound_search_opENS9_16wrapped_functionINS0_4lessIvEEbEEEE10hipError_tPvRmT1_T2_T3_mmT4_T5_P12ihipStream_tbEUlRKjE_EESM_SQ_SR_mSS_SV_bEUlT_E_NS1_11comp_targetILNS1_3genE2ELNS1_11target_archE906ELNS1_3gpuE6ELNS1_3repE0EEENS1_30default_config_static_selectorELNS0_4arch9wavefront6targetE0EEEvSP_
                                        ; -- End function
	.section	.AMDGPU.csdata,"",@progbits
; Kernel info:
; codeLenInByte = 0
; NumSgprs: 0
; NumVgprs: 0
; ScratchSize: 0
; MemoryBound: 0
; FloatMode: 240
; IeeeMode: 1
; LDSByteSize: 0 bytes/workgroup (compile time only)
; SGPRBlocks: 0
; VGPRBlocks: 0
; NumSGPRsForWavesPerEU: 1
; NumVGPRsForWavesPerEU: 1
; Occupancy: 16
; WaveLimiterHint : 0
; COMPUTE_PGM_RSRC2:SCRATCH_EN: 0
; COMPUTE_PGM_RSRC2:USER_SGPR: 15
; COMPUTE_PGM_RSRC2:TRAP_HANDLER: 0
; COMPUTE_PGM_RSRC2:TGID_X_EN: 1
; COMPUTE_PGM_RSRC2:TGID_Y_EN: 0
; COMPUTE_PGM_RSRC2:TGID_Z_EN: 0
; COMPUTE_PGM_RSRC2:TIDIG_COMP_CNT: 0
	.section	.text._ZN7rocprim17ROCPRIM_400000_NS6detail17trampoline_kernelINS0_14default_configENS1_27upper_bound_config_selectorIjiEEZNS1_14transform_implILb0ES3_S5_N6thrust23THRUST_200600_302600_NS6detail15normal_iteratorINS8_10device_ptrIjEEEENSA_INSB_IiEEEEZNS1_13binary_searchIS3_S5_SD_SD_SF_NS1_21upper_bound_search_opENS9_16wrapped_functionINS0_4lessIvEEbEEEE10hipError_tPvRmT1_T2_T3_mmT4_T5_P12ihipStream_tbEUlRKjE_EESM_SQ_SR_mSS_SV_bEUlT_E_NS1_11comp_targetILNS1_3genE10ELNS1_11target_archE1201ELNS1_3gpuE5ELNS1_3repE0EEENS1_30default_config_static_selectorELNS0_4arch9wavefront6targetE0EEEvSP_,"axG",@progbits,_ZN7rocprim17ROCPRIM_400000_NS6detail17trampoline_kernelINS0_14default_configENS1_27upper_bound_config_selectorIjiEEZNS1_14transform_implILb0ES3_S5_N6thrust23THRUST_200600_302600_NS6detail15normal_iteratorINS8_10device_ptrIjEEEENSA_INSB_IiEEEEZNS1_13binary_searchIS3_S5_SD_SD_SF_NS1_21upper_bound_search_opENS9_16wrapped_functionINS0_4lessIvEEbEEEE10hipError_tPvRmT1_T2_T3_mmT4_T5_P12ihipStream_tbEUlRKjE_EESM_SQ_SR_mSS_SV_bEUlT_E_NS1_11comp_targetILNS1_3genE10ELNS1_11target_archE1201ELNS1_3gpuE5ELNS1_3repE0EEENS1_30default_config_static_selectorELNS0_4arch9wavefront6targetE0EEEvSP_,comdat
	.protected	_ZN7rocprim17ROCPRIM_400000_NS6detail17trampoline_kernelINS0_14default_configENS1_27upper_bound_config_selectorIjiEEZNS1_14transform_implILb0ES3_S5_N6thrust23THRUST_200600_302600_NS6detail15normal_iteratorINS8_10device_ptrIjEEEENSA_INSB_IiEEEEZNS1_13binary_searchIS3_S5_SD_SD_SF_NS1_21upper_bound_search_opENS9_16wrapped_functionINS0_4lessIvEEbEEEE10hipError_tPvRmT1_T2_T3_mmT4_T5_P12ihipStream_tbEUlRKjE_EESM_SQ_SR_mSS_SV_bEUlT_E_NS1_11comp_targetILNS1_3genE10ELNS1_11target_archE1201ELNS1_3gpuE5ELNS1_3repE0EEENS1_30default_config_static_selectorELNS0_4arch9wavefront6targetE0EEEvSP_ ; -- Begin function _ZN7rocprim17ROCPRIM_400000_NS6detail17trampoline_kernelINS0_14default_configENS1_27upper_bound_config_selectorIjiEEZNS1_14transform_implILb0ES3_S5_N6thrust23THRUST_200600_302600_NS6detail15normal_iteratorINS8_10device_ptrIjEEEENSA_INSB_IiEEEEZNS1_13binary_searchIS3_S5_SD_SD_SF_NS1_21upper_bound_search_opENS9_16wrapped_functionINS0_4lessIvEEbEEEE10hipError_tPvRmT1_T2_T3_mmT4_T5_P12ihipStream_tbEUlRKjE_EESM_SQ_SR_mSS_SV_bEUlT_E_NS1_11comp_targetILNS1_3genE10ELNS1_11target_archE1201ELNS1_3gpuE5ELNS1_3repE0EEENS1_30default_config_static_selectorELNS0_4arch9wavefront6targetE0EEEvSP_
	.globl	_ZN7rocprim17ROCPRIM_400000_NS6detail17trampoline_kernelINS0_14default_configENS1_27upper_bound_config_selectorIjiEEZNS1_14transform_implILb0ES3_S5_N6thrust23THRUST_200600_302600_NS6detail15normal_iteratorINS8_10device_ptrIjEEEENSA_INSB_IiEEEEZNS1_13binary_searchIS3_S5_SD_SD_SF_NS1_21upper_bound_search_opENS9_16wrapped_functionINS0_4lessIvEEbEEEE10hipError_tPvRmT1_T2_T3_mmT4_T5_P12ihipStream_tbEUlRKjE_EESM_SQ_SR_mSS_SV_bEUlT_E_NS1_11comp_targetILNS1_3genE10ELNS1_11target_archE1201ELNS1_3gpuE5ELNS1_3repE0EEENS1_30default_config_static_selectorELNS0_4arch9wavefront6targetE0EEEvSP_
	.p2align	8
	.type	_ZN7rocprim17ROCPRIM_400000_NS6detail17trampoline_kernelINS0_14default_configENS1_27upper_bound_config_selectorIjiEEZNS1_14transform_implILb0ES3_S5_N6thrust23THRUST_200600_302600_NS6detail15normal_iteratorINS8_10device_ptrIjEEEENSA_INSB_IiEEEEZNS1_13binary_searchIS3_S5_SD_SD_SF_NS1_21upper_bound_search_opENS9_16wrapped_functionINS0_4lessIvEEbEEEE10hipError_tPvRmT1_T2_T3_mmT4_T5_P12ihipStream_tbEUlRKjE_EESM_SQ_SR_mSS_SV_bEUlT_E_NS1_11comp_targetILNS1_3genE10ELNS1_11target_archE1201ELNS1_3gpuE5ELNS1_3repE0EEENS1_30default_config_static_selectorELNS0_4arch9wavefront6targetE0EEEvSP_,@function
_ZN7rocprim17ROCPRIM_400000_NS6detail17trampoline_kernelINS0_14default_configENS1_27upper_bound_config_selectorIjiEEZNS1_14transform_implILb0ES3_S5_N6thrust23THRUST_200600_302600_NS6detail15normal_iteratorINS8_10device_ptrIjEEEENSA_INSB_IiEEEEZNS1_13binary_searchIS3_S5_SD_SD_SF_NS1_21upper_bound_search_opENS9_16wrapped_functionINS0_4lessIvEEbEEEE10hipError_tPvRmT1_T2_T3_mmT4_T5_P12ihipStream_tbEUlRKjE_EESM_SQ_SR_mSS_SV_bEUlT_E_NS1_11comp_targetILNS1_3genE10ELNS1_11target_archE1201ELNS1_3gpuE5ELNS1_3repE0EEENS1_30default_config_static_selectorELNS0_4arch9wavefront6targetE0EEEvSP_: ; @_ZN7rocprim17ROCPRIM_400000_NS6detail17trampoline_kernelINS0_14default_configENS1_27upper_bound_config_selectorIjiEEZNS1_14transform_implILb0ES3_S5_N6thrust23THRUST_200600_302600_NS6detail15normal_iteratorINS8_10device_ptrIjEEEENSA_INSB_IiEEEEZNS1_13binary_searchIS3_S5_SD_SD_SF_NS1_21upper_bound_search_opENS9_16wrapped_functionINS0_4lessIvEEbEEEE10hipError_tPvRmT1_T2_T3_mmT4_T5_P12ihipStream_tbEUlRKjE_EESM_SQ_SR_mSS_SV_bEUlT_E_NS1_11comp_targetILNS1_3genE10ELNS1_11target_archE1201ELNS1_3gpuE5ELNS1_3repE0EEENS1_30default_config_static_selectorELNS0_4arch9wavefront6targetE0EEEvSP_
; %bb.0:
	.section	.rodata,"a",@progbits
	.p2align	6, 0x0
	.amdhsa_kernel _ZN7rocprim17ROCPRIM_400000_NS6detail17trampoline_kernelINS0_14default_configENS1_27upper_bound_config_selectorIjiEEZNS1_14transform_implILb0ES3_S5_N6thrust23THRUST_200600_302600_NS6detail15normal_iteratorINS8_10device_ptrIjEEEENSA_INSB_IiEEEEZNS1_13binary_searchIS3_S5_SD_SD_SF_NS1_21upper_bound_search_opENS9_16wrapped_functionINS0_4lessIvEEbEEEE10hipError_tPvRmT1_T2_T3_mmT4_T5_P12ihipStream_tbEUlRKjE_EESM_SQ_SR_mSS_SV_bEUlT_E_NS1_11comp_targetILNS1_3genE10ELNS1_11target_archE1201ELNS1_3gpuE5ELNS1_3repE0EEENS1_30default_config_static_selectorELNS0_4arch9wavefront6targetE0EEEvSP_
		.amdhsa_group_segment_fixed_size 0
		.amdhsa_private_segment_fixed_size 0
		.amdhsa_kernarg_size 56
		.amdhsa_user_sgpr_count 15
		.amdhsa_user_sgpr_dispatch_ptr 0
		.amdhsa_user_sgpr_queue_ptr 0
		.amdhsa_user_sgpr_kernarg_segment_ptr 1
		.amdhsa_user_sgpr_dispatch_id 0
		.amdhsa_user_sgpr_private_segment_size 0
		.amdhsa_wavefront_size32 1
		.amdhsa_uses_dynamic_stack 0
		.amdhsa_enable_private_segment 0
		.amdhsa_system_sgpr_workgroup_id_x 1
		.amdhsa_system_sgpr_workgroup_id_y 0
		.amdhsa_system_sgpr_workgroup_id_z 0
		.amdhsa_system_sgpr_workgroup_info 0
		.amdhsa_system_vgpr_workitem_id 0
		.amdhsa_next_free_vgpr 1
		.amdhsa_next_free_sgpr 1
		.amdhsa_reserve_vcc 0
		.amdhsa_float_round_mode_32 0
		.amdhsa_float_round_mode_16_64 0
		.amdhsa_float_denorm_mode_32 3
		.amdhsa_float_denorm_mode_16_64 3
		.amdhsa_dx10_clamp 1
		.amdhsa_ieee_mode 1
		.amdhsa_fp16_overflow 0
		.amdhsa_workgroup_processor_mode 1
		.amdhsa_memory_ordered 1
		.amdhsa_forward_progress 0
		.amdhsa_shared_vgpr_count 0
		.amdhsa_exception_fp_ieee_invalid_op 0
		.amdhsa_exception_fp_denorm_src 0
		.amdhsa_exception_fp_ieee_div_zero 0
		.amdhsa_exception_fp_ieee_overflow 0
		.amdhsa_exception_fp_ieee_underflow 0
		.amdhsa_exception_fp_ieee_inexact 0
		.amdhsa_exception_int_div_zero 0
	.end_amdhsa_kernel
	.section	.text._ZN7rocprim17ROCPRIM_400000_NS6detail17trampoline_kernelINS0_14default_configENS1_27upper_bound_config_selectorIjiEEZNS1_14transform_implILb0ES3_S5_N6thrust23THRUST_200600_302600_NS6detail15normal_iteratorINS8_10device_ptrIjEEEENSA_INSB_IiEEEEZNS1_13binary_searchIS3_S5_SD_SD_SF_NS1_21upper_bound_search_opENS9_16wrapped_functionINS0_4lessIvEEbEEEE10hipError_tPvRmT1_T2_T3_mmT4_T5_P12ihipStream_tbEUlRKjE_EESM_SQ_SR_mSS_SV_bEUlT_E_NS1_11comp_targetILNS1_3genE10ELNS1_11target_archE1201ELNS1_3gpuE5ELNS1_3repE0EEENS1_30default_config_static_selectorELNS0_4arch9wavefront6targetE0EEEvSP_,"axG",@progbits,_ZN7rocprim17ROCPRIM_400000_NS6detail17trampoline_kernelINS0_14default_configENS1_27upper_bound_config_selectorIjiEEZNS1_14transform_implILb0ES3_S5_N6thrust23THRUST_200600_302600_NS6detail15normal_iteratorINS8_10device_ptrIjEEEENSA_INSB_IiEEEEZNS1_13binary_searchIS3_S5_SD_SD_SF_NS1_21upper_bound_search_opENS9_16wrapped_functionINS0_4lessIvEEbEEEE10hipError_tPvRmT1_T2_T3_mmT4_T5_P12ihipStream_tbEUlRKjE_EESM_SQ_SR_mSS_SV_bEUlT_E_NS1_11comp_targetILNS1_3genE10ELNS1_11target_archE1201ELNS1_3gpuE5ELNS1_3repE0EEENS1_30default_config_static_selectorELNS0_4arch9wavefront6targetE0EEEvSP_,comdat
.Lfunc_end362:
	.size	_ZN7rocprim17ROCPRIM_400000_NS6detail17trampoline_kernelINS0_14default_configENS1_27upper_bound_config_selectorIjiEEZNS1_14transform_implILb0ES3_S5_N6thrust23THRUST_200600_302600_NS6detail15normal_iteratorINS8_10device_ptrIjEEEENSA_INSB_IiEEEEZNS1_13binary_searchIS3_S5_SD_SD_SF_NS1_21upper_bound_search_opENS9_16wrapped_functionINS0_4lessIvEEbEEEE10hipError_tPvRmT1_T2_T3_mmT4_T5_P12ihipStream_tbEUlRKjE_EESM_SQ_SR_mSS_SV_bEUlT_E_NS1_11comp_targetILNS1_3genE10ELNS1_11target_archE1201ELNS1_3gpuE5ELNS1_3repE0EEENS1_30default_config_static_selectorELNS0_4arch9wavefront6targetE0EEEvSP_, .Lfunc_end362-_ZN7rocprim17ROCPRIM_400000_NS6detail17trampoline_kernelINS0_14default_configENS1_27upper_bound_config_selectorIjiEEZNS1_14transform_implILb0ES3_S5_N6thrust23THRUST_200600_302600_NS6detail15normal_iteratorINS8_10device_ptrIjEEEENSA_INSB_IiEEEEZNS1_13binary_searchIS3_S5_SD_SD_SF_NS1_21upper_bound_search_opENS9_16wrapped_functionINS0_4lessIvEEbEEEE10hipError_tPvRmT1_T2_T3_mmT4_T5_P12ihipStream_tbEUlRKjE_EESM_SQ_SR_mSS_SV_bEUlT_E_NS1_11comp_targetILNS1_3genE10ELNS1_11target_archE1201ELNS1_3gpuE5ELNS1_3repE0EEENS1_30default_config_static_selectorELNS0_4arch9wavefront6targetE0EEEvSP_
                                        ; -- End function
	.section	.AMDGPU.csdata,"",@progbits
; Kernel info:
; codeLenInByte = 0
; NumSgprs: 0
; NumVgprs: 0
; ScratchSize: 0
; MemoryBound: 0
; FloatMode: 240
; IeeeMode: 1
; LDSByteSize: 0 bytes/workgroup (compile time only)
; SGPRBlocks: 0
; VGPRBlocks: 0
; NumSGPRsForWavesPerEU: 1
; NumVGPRsForWavesPerEU: 1
; Occupancy: 16
; WaveLimiterHint : 0
; COMPUTE_PGM_RSRC2:SCRATCH_EN: 0
; COMPUTE_PGM_RSRC2:USER_SGPR: 15
; COMPUTE_PGM_RSRC2:TRAP_HANDLER: 0
; COMPUTE_PGM_RSRC2:TGID_X_EN: 1
; COMPUTE_PGM_RSRC2:TGID_Y_EN: 0
; COMPUTE_PGM_RSRC2:TGID_Z_EN: 0
; COMPUTE_PGM_RSRC2:TIDIG_COMP_CNT: 0
	.section	.text._ZN7rocprim17ROCPRIM_400000_NS6detail17trampoline_kernelINS0_14default_configENS1_27upper_bound_config_selectorIjiEEZNS1_14transform_implILb0ES3_S5_N6thrust23THRUST_200600_302600_NS6detail15normal_iteratorINS8_10device_ptrIjEEEENSA_INSB_IiEEEEZNS1_13binary_searchIS3_S5_SD_SD_SF_NS1_21upper_bound_search_opENS9_16wrapped_functionINS0_4lessIvEEbEEEE10hipError_tPvRmT1_T2_T3_mmT4_T5_P12ihipStream_tbEUlRKjE_EESM_SQ_SR_mSS_SV_bEUlT_E_NS1_11comp_targetILNS1_3genE10ELNS1_11target_archE1200ELNS1_3gpuE4ELNS1_3repE0EEENS1_30default_config_static_selectorELNS0_4arch9wavefront6targetE0EEEvSP_,"axG",@progbits,_ZN7rocprim17ROCPRIM_400000_NS6detail17trampoline_kernelINS0_14default_configENS1_27upper_bound_config_selectorIjiEEZNS1_14transform_implILb0ES3_S5_N6thrust23THRUST_200600_302600_NS6detail15normal_iteratorINS8_10device_ptrIjEEEENSA_INSB_IiEEEEZNS1_13binary_searchIS3_S5_SD_SD_SF_NS1_21upper_bound_search_opENS9_16wrapped_functionINS0_4lessIvEEbEEEE10hipError_tPvRmT1_T2_T3_mmT4_T5_P12ihipStream_tbEUlRKjE_EESM_SQ_SR_mSS_SV_bEUlT_E_NS1_11comp_targetILNS1_3genE10ELNS1_11target_archE1200ELNS1_3gpuE4ELNS1_3repE0EEENS1_30default_config_static_selectorELNS0_4arch9wavefront6targetE0EEEvSP_,comdat
	.protected	_ZN7rocprim17ROCPRIM_400000_NS6detail17trampoline_kernelINS0_14default_configENS1_27upper_bound_config_selectorIjiEEZNS1_14transform_implILb0ES3_S5_N6thrust23THRUST_200600_302600_NS6detail15normal_iteratorINS8_10device_ptrIjEEEENSA_INSB_IiEEEEZNS1_13binary_searchIS3_S5_SD_SD_SF_NS1_21upper_bound_search_opENS9_16wrapped_functionINS0_4lessIvEEbEEEE10hipError_tPvRmT1_T2_T3_mmT4_T5_P12ihipStream_tbEUlRKjE_EESM_SQ_SR_mSS_SV_bEUlT_E_NS1_11comp_targetILNS1_3genE10ELNS1_11target_archE1200ELNS1_3gpuE4ELNS1_3repE0EEENS1_30default_config_static_selectorELNS0_4arch9wavefront6targetE0EEEvSP_ ; -- Begin function _ZN7rocprim17ROCPRIM_400000_NS6detail17trampoline_kernelINS0_14default_configENS1_27upper_bound_config_selectorIjiEEZNS1_14transform_implILb0ES3_S5_N6thrust23THRUST_200600_302600_NS6detail15normal_iteratorINS8_10device_ptrIjEEEENSA_INSB_IiEEEEZNS1_13binary_searchIS3_S5_SD_SD_SF_NS1_21upper_bound_search_opENS9_16wrapped_functionINS0_4lessIvEEbEEEE10hipError_tPvRmT1_T2_T3_mmT4_T5_P12ihipStream_tbEUlRKjE_EESM_SQ_SR_mSS_SV_bEUlT_E_NS1_11comp_targetILNS1_3genE10ELNS1_11target_archE1200ELNS1_3gpuE4ELNS1_3repE0EEENS1_30default_config_static_selectorELNS0_4arch9wavefront6targetE0EEEvSP_
	.globl	_ZN7rocprim17ROCPRIM_400000_NS6detail17trampoline_kernelINS0_14default_configENS1_27upper_bound_config_selectorIjiEEZNS1_14transform_implILb0ES3_S5_N6thrust23THRUST_200600_302600_NS6detail15normal_iteratorINS8_10device_ptrIjEEEENSA_INSB_IiEEEEZNS1_13binary_searchIS3_S5_SD_SD_SF_NS1_21upper_bound_search_opENS9_16wrapped_functionINS0_4lessIvEEbEEEE10hipError_tPvRmT1_T2_T3_mmT4_T5_P12ihipStream_tbEUlRKjE_EESM_SQ_SR_mSS_SV_bEUlT_E_NS1_11comp_targetILNS1_3genE10ELNS1_11target_archE1200ELNS1_3gpuE4ELNS1_3repE0EEENS1_30default_config_static_selectorELNS0_4arch9wavefront6targetE0EEEvSP_
	.p2align	8
	.type	_ZN7rocprim17ROCPRIM_400000_NS6detail17trampoline_kernelINS0_14default_configENS1_27upper_bound_config_selectorIjiEEZNS1_14transform_implILb0ES3_S5_N6thrust23THRUST_200600_302600_NS6detail15normal_iteratorINS8_10device_ptrIjEEEENSA_INSB_IiEEEEZNS1_13binary_searchIS3_S5_SD_SD_SF_NS1_21upper_bound_search_opENS9_16wrapped_functionINS0_4lessIvEEbEEEE10hipError_tPvRmT1_T2_T3_mmT4_T5_P12ihipStream_tbEUlRKjE_EESM_SQ_SR_mSS_SV_bEUlT_E_NS1_11comp_targetILNS1_3genE10ELNS1_11target_archE1200ELNS1_3gpuE4ELNS1_3repE0EEENS1_30default_config_static_selectorELNS0_4arch9wavefront6targetE0EEEvSP_,@function
_ZN7rocprim17ROCPRIM_400000_NS6detail17trampoline_kernelINS0_14default_configENS1_27upper_bound_config_selectorIjiEEZNS1_14transform_implILb0ES3_S5_N6thrust23THRUST_200600_302600_NS6detail15normal_iteratorINS8_10device_ptrIjEEEENSA_INSB_IiEEEEZNS1_13binary_searchIS3_S5_SD_SD_SF_NS1_21upper_bound_search_opENS9_16wrapped_functionINS0_4lessIvEEbEEEE10hipError_tPvRmT1_T2_T3_mmT4_T5_P12ihipStream_tbEUlRKjE_EESM_SQ_SR_mSS_SV_bEUlT_E_NS1_11comp_targetILNS1_3genE10ELNS1_11target_archE1200ELNS1_3gpuE4ELNS1_3repE0EEENS1_30default_config_static_selectorELNS0_4arch9wavefront6targetE0EEEvSP_: ; @_ZN7rocprim17ROCPRIM_400000_NS6detail17trampoline_kernelINS0_14default_configENS1_27upper_bound_config_selectorIjiEEZNS1_14transform_implILb0ES3_S5_N6thrust23THRUST_200600_302600_NS6detail15normal_iteratorINS8_10device_ptrIjEEEENSA_INSB_IiEEEEZNS1_13binary_searchIS3_S5_SD_SD_SF_NS1_21upper_bound_search_opENS9_16wrapped_functionINS0_4lessIvEEbEEEE10hipError_tPvRmT1_T2_T3_mmT4_T5_P12ihipStream_tbEUlRKjE_EESM_SQ_SR_mSS_SV_bEUlT_E_NS1_11comp_targetILNS1_3genE10ELNS1_11target_archE1200ELNS1_3gpuE4ELNS1_3repE0EEENS1_30default_config_static_selectorELNS0_4arch9wavefront6targetE0EEEvSP_
; %bb.0:
	.section	.rodata,"a",@progbits
	.p2align	6, 0x0
	.amdhsa_kernel _ZN7rocprim17ROCPRIM_400000_NS6detail17trampoline_kernelINS0_14default_configENS1_27upper_bound_config_selectorIjiEEZNS1_14transform_implILb0ES3_S5_N6thrust23THRUST_200600_302600_NS6detail15normal_iteratorINS8_10device_ptrIjEEEENSA_INSB_IiEEEEZNS1_13binary_searchIS3_S5_SD_SD_SF_NS1_21upper_bound_search_opENS9_16wrapped_functionINS0_4lessIvEEbEEEE10hipError_tPvRmT1_T2_T3_mmT4_T5_P12ihipStream_tbEUlRKjE_EESM_SQ_SR_mSS_SV_bEUlT_E_NS1_11comp_targetILNS1_3genE10ELNS1_11target_archE1200ELNS1_3gpuE4ELNS1_3repE0EEENS1_30default_config_static_selectorELNS0_4arch9wavefront6targetE0EEEvSP_
		.amdhsa_group_segment_fixed_size 0
		.amdhsa_private_segment_fixed_size 0
		.amdhsa_kernarg_size 56
		.amdhsa_user_sgpr_count 15
		.amdhsa_user_sgpr_dispatch_ptr 0
		.amdhsa_user_sgpr_queue_ptr 0
		.amdhsa_user_sgpr_kernarg_segment_ptr 1
		.amdhsa_user_sgpr_dispatch_id 0
		.amdhsa_user_sgpr_private_segment_size 0
		.amdhsa_wavefront_size32 1
		.amdhsa_uses_dynamic_stack 0
		.amdhsa_enable_private_segment 0
		.amdhsa_system_sgpr_workgroup_id_x 1
		.amdhsa_system_sgpr_workgroup_id_y 0
		.amdhsa_system_sgpr_workgroup_id_z 0
		.amdhsa_system_sgpr_workgroup_info 0
		.amdhsa_system_vgpr_workitem_id 0
		.amdhsa_next_free_vgpr 1
		.amdhsa_next_free_sgpr 1
		.amdhsa_reserve_vcc 0
		.amdhsa_float_round_mode_32 0
		.amdhsa_float_round_mode_16_64 0
		.amdhsa_float_denorm_mode_32 3
		.amdhsa_float_denorm_mode_16_64 3
		.amdhsa_dx10_clamp 1
		.amdhsa_ieee_mode 1
		.amdhsa_fp16_overflow 0
		.amdhsa_workgroup_processor_mode 1
		.amdhsa_memory_ordered 1
		.amdhsa_forward_progress 0
		.amdhsa_shared_vgpr_count 0
		.amdhsa_exception_fp_ieee_invalid_op 0
		.amdhsa_exception_fp_denorm_src 0
		.amdhsa_exception_fp_ieee_div_zero 0
		.amdhsa_exception_fp_ieee_overflow 0
		.amdhsa_exception_fp_ieee_underflow 0
		.amdhsa_exception_fp_ieee_inexact 0
		.amdhsa_exception_int_div_zero 0
	.end_amdhsa_kernel
	.section	.text._ZN7rocprim17ROCPRIM_400000_NS6detail17trampoline_kernelINS0_14default_configENS1_27upper_bound_config_selectorIjiEEZNS1_14transform_implILb0ES3_S5_N6thrust23THRUST_200600_302600_NS6detail15normal_iteratorINS8_10device_ptrIjEEEENSA_INSB_IiEEEEZNS1_13binary_searchIS3_S5_SD_SD_SF_NS1_21upper_bound_search_opENS9_16wrapped_functionINS0_4lessIvEEbEEEE10hipError_tPvRmT1_T2_T3_mmT4_T5_P12ihipStream_tbEUlRKjE_EESM_SQ_SR_mSS_SV_bEUlT_E_NS1_11comp_targetILNS1_3genE10ELNS1_11target_archE1200ELNS1_3gpuE4ELNS1_3repE0EEENS1_30default_config_static_selectorELNS0_4arch9wavefront6targetE0EEEvSP_,"axG",@progbits,_ZN7rocprim17ROCPRIM_400000_NS6detail17trampoline_kernelINS0_14default_configENS1_27upper_bound_config_selectorIjiEEZNS1_14transform_implILb0ES3_S5_N6thrust23THRUST_200600_302600_NS6detail15normal_iteratorINS8_10device_ptrIjEEEENSA_INSB_IiEEEEZNS1_13binary_searchIS3_S5_SD_SD_SF_NS1_21upper_bound_search_opENS9_16wrapped_functionINS0_4lessIvEEbEEEE10hipError_tPvRmT1_T2_T3_mmT4_T5_P12ihipStream_tbEUlRKjE_EESM_SQ_SR_mSS_SV_bEUlT_E_NS1_11comp_targetILNS1_3genE10ELNS1_11target_archE1200ELNS1_3gpuE4ELNS1_3repE0EEENS1_30default_config_static_selectorELNS0_4arch9wavefront6targetE0EEEvSP_,comdat
.Lfunc_end363:
	.size	_ZN7rocprim17ROCPRIM_400000_NS6detail17trampoline_kernelINS0_14default_configENS1_27upper_bound_config_selectorIjiEEZNS1_14transform_implILb0ES3_S5_N6thrust23THRUST_200600_302600_NS6detail15normal_iteratorINS8_10device_ptrIjEEEENSA_INSB_IiEEEEZNS1_13binary_searchIS3_S5_SD_SD_SF_NS1_21upper_bound_search_opENS9_16wrapped_functionINS0_4lessIvEEbEEEE10hipError_tPvRmT1_T2_T3_mmT4_T5_P12ihipStream_tbEUlRKjE_EESM_SQ_SR_mSS_SV_bEUlT_E_NS1_11comp_targetILNS1_3genE10ELNS1_11target_archE1200ELNS1_3gpuE4ELNS1_3repE0EEENS1_30default_config_static_selectorELNS0_4arch9wavefront6targetE0EEEvSP_, .Lfunc_end363-_ZN7rocprim17ROCPRIM_400000_NS6detail17trampoline_kernelINS0_14default_configENS1_27upper_bound_config_selectorIjiEEZNS1_14transform_implILb0ES3_S5_N6thrust23THRUST_200600_302600_NS6detail15normal_iteratorINS8_10device_ptrIjEEEENSA_INSB_IiEEEEZNS1_13binary_searchIS3_S5_SD_SD_SF_NS1_21upper_bound_search_opENS9_16wrapped_functionINS0_4lessIvEEbEEEE10hipError_tPvRmT1_T2_T3_mmT4_T5_P12ihipStream_tbEUlRKjE_EESM_SQ_SR_mSS_SV_bEUlT_E_NS1_11comp_targetILNS1_3genE10ELNS1_11target_archE1200ELNS1_3gpuE4ELNS1_3repE0EEENS1_30default_config_static_selectorELNS0_4arch9wavefront6targetE0EEEvSP_
                                        ; -- End function
	.section	.AMDGPU.csdata,"",@progbits
; Kernel info:
; codeLenInByte = 0
; NumSgprs: 0
; NumVgprs: 0
; ScratchSize: 0
; MemoryBound: 0
; FloatMode: 240
; IeeeMode: 1
; LDSByteSize: 0 bytes/workgroup (compile time only)
; SGPRBlocks: 0
; VGPRBlocks: 0
; NumSGPRsForWavesPerEU: 1
; NumVGPRsForWavesPerEU: 1
; Occupancy: 16
; WaveLimiterHint : 0
; COMPUTE_PGM_RSRC2:SCRATCH_EN: 0
; COMPUTE_PGM_RSRC2:USER_SGPR: 15
; COMPUTE_PGM_RSRC2:TRAP_HANDLER: 0
; COMPUTE_PGM_RSRC2:TGID_X_EN: 1
; COMPUTE_PGM_RSRC2:TGID_Y_EN: 0
; COMPUTE_PGM_RSRC2:TGID_Z_EN: 0
; COMPUTE_PGM_RSRC2:TIDIG_COMP_CNT: 0
	.section	.text._ZN7rocprim17ROCPRIM_400000_NS6detail17trampoline_kernelINS0_14default_configENS1_27upper_bound_config_selectorIjiEEZNS1_14transform_implILb0ES3_S5_N6thrust23THRUST_200600_302600_NS6detail15normal_iteratorINS8_10device_ptrIjEEEENSA_INSB_IiEEEEZNS1_13binary_searchIS3_S5_SD_SD_SF_NS1_21upper_bound_search_opENS9_16wrapped_functionINS0_4lessIvEEbEEEE10hipError_tPvRmT1_T2_T3_mmT4_T5_P12ihipStream_tbEUlRKjE_EESM_SQ_SR_mSS_SV_bEUlT_E_NS1_11comp_targetILNS1_3genE9ELNS1_11target_archE1100ELNS1_3gpuE3ELNS1_3repE0EEENS1_30default_config_static_selectorELNS0_4arch9wavefront6targetE0EEEvSP_,"axG",@progbits,_ZN7rocprim17ROCPRIM_400000_NS6detail17trampoline_kernelINS0_14default_configENS1_27upper_bound_config_selectorIjiEEZNS1_14transform_implILb0ES3_S5_N6thrust23THRUST_200600_302600_NS6detail15normal_iteratorINS8_10device_ptrIjEEEENSA_INSB_IiEEEEZNS1_13binary_searchIS3_S5_SD_SD_SF_NS1_21upper_bound_search_opENS9_16wrapped_functionINS0_4lessIvEEbEEEE10hipError_tPvRmT1_T2_T3_mmT4_T5_P12ihipStream_tbEUlRKjE_EESM_SQ_SR_mSS_SV_bEUlT_E_NS1_11comp_targetILNS1_3genE9ELNS1_11target_archE1100ELNS1_3gpuE3ELNS1_3repE0EEENS1_30default_config_static_selectorELNS0_4arch9wavefront6targetE0EEEvSP_,comdat
	.protected	_ZN7rocprim17ROCPRIM_400000_NS6detail17trampoline_kernelINS0_14default_configENS1_27upper_bound_config_selectorIjiEEZNS1_14transform_implILb0ES3_S5_N6thrust23THRUST_200600_302600_NS6detail15normal_iteratorINS8_10device_ptrIjEEEENSA_INSB_IiEEEEZNS1_13binary_searchIS3_S5_SD_SD_SF_NS1_21upper_bound_search_opENS9_16wrapped_functionINS0_4lessIvEEbEEEE10hipError_tPvRmT1_T2_T3_mmT4_T5_P12ihipStream_tbEUlRKjE_EESM_SQ_SR_mSS_SV_bEUlT_E_NS1_11comp_targetILNS1_3genE9ELNS1_11target_archE1100ELNS1_3gpuE3ELNS1_3repE0EEENS1_30default_config_static_selectorELNS0_4arch9wavefront6targetE0EEEvSP_ ; -- Begin function _ZN7rocprim17ROCPRIM_400000_NS6detail17trampoline_kernelINS0_14default_configENS1_27upper_bound_config_selectorIjiEEZNS1_14transform_implILb0ES3_S5_N6thrust23THRUST_200600_302600_NS6detail15normal_iteratorINS8_10device_ptrIjEEEENSA_INSB_IiEEEEZNS1_13binary_searchIS3_S5_SD_SD_SF_NS1_21upper_bound_search_opENS9_16wrapped_functionINS0_4lessIvEEbEEEE10hipError_tPvRmT1_T2_T3_mmT4_T5_P12ihipStream_tbEUlRKjE_EESM_SQ_SR_mSS_SV_bEUlT_E_NS1_11comp_targetILNS1_3genE9ELNS1_11target_archE1100ELNS1_3gpuE3ELNS1_3repE0EEENS1_30default_config_static_selectorELNS0_4arch9wavefront6targetE0EEEvSP_
	.globl	_ZN7rocprim17ROCPRIM_400000_NS6detail17trampoline_kernelINS0_14default_configENS1_27upper_bound_config_selectorIjiEEZNS1_14transform_implILb0ES3_S5_N6thrust23THRUST_200600_302600_NS6detail15normal_iteratorINS8_10device_ptrIjEEEENSA_INSB_IiEEEEZNS1_13binary_searchIS3_S5_SD_SD_SF_NS1_21upper_bound_search_opENS9_16wrapped_functionINS0_4lessIvEEbEEEE10hipError_tPvRmT1_T2_T3_mmT4_T5_P12ihipStream_tbEUlRKjE_EESM_SQ_SR_mSS_SV_bEUlT_E_NS1_11comp_targetILNS1_3genE9ELNS1_11target_archE1100ELNS1_3gpuE3ELNS1_3repE0EEENS1_30default_config_static_selectorELNS0_4arch9wavefront6targetE0EEEvSP_
	.p2align	8
	.type	_ZN7rocprim17ROCPRIM_400000_NS6detail17trampoline_kernelINS0_14default_configENS1_27upper_bound_config_selectorIjiEEZNS1_14transform_implILb0ES3_S5_N6thrust23THRUST_200600_302600_NS6detail15normal_iteratorINS8_10device_ptrIjEEEENSA_INSB_IiEEEEZNS1_13binary_searchIS3_S5_SD_SD_SF_NS1_21upper_bound_search_opENS9_16wrapped_functionINS0_4lessIvEEbEEEE10hipError_tPvRmT1_T2_T3_mmT4_T5_P12ihipStream_tbEUlRKjE_EESM_SQ_SR_mSS_SV_bEUlT_E_NS1_11comp_targetILNS1_3genE9ELNS1_11target_archE1100ELNS1_3gpuE3ELNS1_3repE0EEENS1_30default_config_static_selectorELNS0_4arch9wavefront6targetE0EEEvSP_,@function
_ZN7rocprim17ROCPRIM_400000_NS6detail17trampoline_kernelINS0_14default_configENS1_27upper_bound_config_selectorIjiEEZNS1_14transform_implILb0ES3_S5_N6thrust23THRUST_200600_302600_NS6detail15normal_iteratorINS8_10device_ptrIjEEEENSA_INSB_IiEEEEZNS1_13binary_searchIS3_S5_SD_SD_SF_NS1_21upper_bound_search_opENS9_16wrapped_functionINS0_4lessIvEEbEEEE10hipError_tPvRmT1_T2_T3_mmT4_T5_P12ihipStream_tbEUlRKjE_EESM_SQ_SR_mSS_SV_bEUlT_E_NS1_11comp_targetILNS1_3genE9ELNS1_11target_archE1100ELNS1_3gpuE3ELNS1_3repE0EEENS1_30default_config_static_selectorELNS0_4arch9wavefront6targetE0EEEvSP_: ; @_ZN7rocprim17ROCPRIM_400000_NS6detail17trampoline_kernelINS0_14default_configENS1_27upper_bound_config_selectorIjiEEZNS1_14transform_implILb0ES3_S5_N6thrust23THRUST_200600_302600_NS6detail15normal_iteratorINS8_10device_ptrIjEEEENSA_INSB_IiEEEEZNS1_13binary_searchIS3_S5_SD_SD_SF_NS1_21upper_bound_search_opENS9_16wrapped_functionINS0_4lessIvEEbEEEE10hipError_tPvRmT1_T2_T3_mmT4_T5_P12ihipStream_tbEUlRKjE_EESM_SQ_SR_mSS_SV_bEUlT_E_NS1_11comp_targetILNS1_3genE9ELNS1_11target_archE1100ELNS1_3gpuE3ELNS1_3repE0EEENS1_30default_config_static_selectorELNS0_4arch9wavefront6targetE0EEEvSP_
; %bb.0:
	s_clause 0x3
	s_load_b128 s[16:19], s[0:1], 0x0
	s_load_b128 s[4:7], s[0:1], 0x18
	s_load_b32 s12, s[0:1], 0x38
	s_load_b64 s[8:9], s[0:1], 0x28
	s_waitcnt lgkmcnt(0)
	s_lshl_b64 s[2:3], s[18:19], 2
	s_delay_alu instid0(SALU_CYCLE_1)
	s_add_u32 s10, s16, s2
	s_addc_u32 s11, s17, s3
	s_add_u32 s4, s4, s2
	s_addc_u32 s5, s5, s3
	s_add_i32 s12, s12, -1
	s_lshl_b32 s2, s15, 8
	s_mov_b32 s3, 0
	s_cmp_lg_u32 s15, s12
	s_mov_b32 s12, -1
	s_cbranch_scc0 .LBB364_6
; %bb.1:
	v_mov_b32_e32 v1, 0
	s_cmp_eq_u64 s[8:9], 0
	s_cbranch_scc1 .LBB364_5
; %bb.2:
	v_lshlrev_b32_e32 v1, 2, v0
	s_lshl_b64 s[12:13], s[2:3], 2
	v_dual_mov_b32 v3, s8 :: v_dual_mov_b32 v4, s9
	s_add_u32 s12, s10, s12
	s_addc_u32 s13, s11, s13
	v_add_co_u32 v1, s12, s12, v1
	s_delay_alu instid0(VALU_DEP_1)
	v_add_co_ci_u32_e64 v2, null, s13, 0, s12
	s_mov_b32 s12, 0
	flat_load_b32 v5, v[1:2]
	v_mov_b32_e32 v1, 0
	v_mov_b32_e32 v2, 0
	.p2align	6
.LBB364_3:                              ; =>This Inner Loop Header: Depth=1
	s_delay_alu instid0(VALU_DEP_2) | instskip(NEXT) | instid1(VALU_DEP_2)
	v_sub_co_u32 v6, vcc_lo, v3, v1
	v_sub_co_ci_u32_e32 v7, vcc_lo, v4, v2, vcc_lo
	s_delay_alu instid0(VALU_DEP_1) | instskip(SKIP_1) | instid1(VALU_DEP_2)
	v_lshrrev_b64 v[8:9], 1, v[6:7]
	v_lshrrev_b64 v[6:7], 6, v[6:7]
	v_add_co_u32 v8, vcc_lo, v8, v1
	s_delay_alu instid0(VALU_DEP_3) | instskip(NEXT) | instid1(VALU_DEP_2)
	v_add_co_ci_u32_e32 v9, vcc_lo, v9, v2, vcc_lo
	v_add_co_u32 v6, vcc_lo, v8, v6
	s_delay_alu instid0(VALU_DEP_2) | instskip(NEXT) | instid1(VALU_DEP_1)
	v_add_co_ci_u32_e32 v7, vcc_lo, v9, v7, vcc_lo
	v_lshlrev_b64 v[8:9], 2, v[6:7]
	s_delay_alu instid0(VALU_DEP_1) | instskip(NEXT) | instid1(VALU_DEP_2)
	v_add_co_u32 v8, vcc_lo, s6, v8
	v_add_co_ci_u32_e32 v9, vcc_lo, s7, v9, vcc_lo
	global_load_b32 v8, v[8:9], off
	v_add_co_u32 v9, vcc_lo, v6, 1
	v_add_co_ci_u32_e32 v10, vcc_lo, 0, v7, vcc_lo
	s_waitcnt vmcnt(0) lgkmcnt(0)
	v_cmp_gt_u32_e32 vcc_lo, v8, v5
	v_dual_cndmask_b32 v4, v4, v7 :: v_dual_cndmask_b32 v3, v3, v6
	s_delay_alu instid0(VALU_DEP_3) | instskip(NEXT) | instid1(VALU_DEP_1)
	v_dual_cndmask_b32 v2, v10, v2 :: v_dual_cndmask_b32 v1, v9, v1
	v_cmp_ge_u64_e32 vcc_lo, v[1:2], v[3:4]
	s_or_b32 s12, vcc_lo, s12
	s_delay_alu instid0(SALU_CYCLE_1)
	s_and_not1_b32 exec_lo, exec_lo, s12
	s_cbranch_execnz .LBB364_3
; %bb.4:
	s_or_b32 exec_lo, exec_lo, s12
.LBB364_5:
	v_lshlrev_b32_e32 v2, 2, v0
	s_lshl_b64 s[12:13], s[2:3], 2
	s_delay_alu instid0(SALU_CYCLE_1) | instskip(SKIP_1) | instid1(VALU_DEP_1)
	s_add_u32 s12, s4, s12
	s_addc_u32 s13, s5, s13
	v_add_co_u32 v2, s12, s12, v2
	s_delay_alu instid0(VALU_DEP_1)
	v_add_co_ci_u32_e64 v3, null, s13, 0, s12
	s_mov_b32 s12, 0
	flat_store_b32 v[2:3], v1
.LBB364_6:
	s_and_b32 vcc_lo, exec_lo, s12
	s_cbranch_vccz .LBB364_11
; %bb.7:
	s_load_b32 s0, s[0:1], 0x10
                                        ; implicit-def: $vgpr5
	s_waitcnt lgkmcnt(0)
	s_sub_i32 s0, s0, s2
	s_delay_alu instid0(SALU_CYCLE_1)
	v_cmp_gt_u32_e32 vcc_lo, s0, v0
	s_and_saveexec_b32 s0, vcc_lo
	s_cbranch_execnz .LBB364_12
; %bb.8:
	s_or_b32 exec_lo, exec_lo, s0
                                        ; implicit-def: $vgpr1
	s_and_saveexec_b32 s1, vcc_lo
	s_cbranch_execnz .LBB364_13
.LBB364_9:
	s_or_b32 exec_lo, exec_lo, s1
	s_and_saveexec_b32 s0, vcc_lo
	s_cbranch_execz .LBB364_11
.LBB364_10:
	v_lshlrev_b32_e32 v0, 2, v0
	s_lshl_b64 s[0:1], s[2:3], 2
	s_delay_alu instid0(SALU_CYCLE_1) | instskip(SKIP_1) | instid1(VALU_DEP_1)
	s_add_u32 s0, s4, s0
	s_addc_u32 s1, s5, s1
	v_add_co_u32 v2, s0, s0, v0
	s_delay_alu instid0(VALU_DEP_1)
	v_add_co_ci_u32_e64 v3, null, s1, 0, s0
	flat_store_b32 v[2:3], v1
.LBB364_11:
	s_endpgm
.LBB364_12:
	v_lshlrev_b32_e32 v1, 2, v0
	s_lshl_b64 s[12:13], s[2:3], 2
	s_delay_alu instid0(SALU_CYCLE_1) | instskip(SKIP_1) | instid1(VALU_DEP_1)
	s_add_u32 s1, s10, s12
	s_addc_u32 s10, s11, s13
	v_add_co_u32 v1, s1, s1, v1
	s_delay_alu instid0(VALU_DEP_1)
	v_add_co_ci_u32_e64 v2, null, s10, 0, s1
	flat_load_b32 v5, v[1:2]
	s_or_b32 exec_lo, exec_lo, s0
                                        ; implicit-def: $vgpr1
	s_and_saveexec_b32 s1, vcc_lo
	s_cbranch_execz .LBB364_9
.LBB364_13:
	s_cmp_eq_u64 s[8:9], 0
	s_cbranch_scc1 .LBB364_17
; %bb.14:
	v_mov_b32_e32 v1, 0
	v_dual_mov_b32 v2, 0 :: v_dual_mov_b32 v3, s8
	v_mov_b32_e32 v4, s9
	s_mov_b32 s8, 0
	s_set_inst_prefetch_distance 0x1
	.p2align	6
.LBB364_15:                             ; =>This Inner Loop Header: Depth=1
	s_delay_alu instid0(VALU_DEP_2) | instskip(NEXT) | instid1(VALU_DEP_1)
	v_sub_co_u32 v6, s0, v3, v1
	v_sub_co_ci_u32_e64 v7, s0, v4, v2, s0
	s_delay_alu instid0(VALU_DEP_1) | instskip(SKIP_1) | instid1(VALU_DEP_2)
	v_lshrrev_b64 v[8:9], 1, v[6:7]
	v_lshrrev_b64 v[6:7], 6, v[6:7]
	v_add_co_u32 v8, s0, v8, v1
	s_delay_alu instid0(VALU_DEP_1) | instskip(NEXT) | instid1(VALU_DEP_2)
	v_add_co_ci_u32_e64 v9, s0, v9, v2, s0
	v_add_co_u32 v6, s0, v8, v6
	s_delay_alu instid0(VALU_DEP_1) | instskip(NEXT) | instid1(VALU_DEP_1)
	v_add_co_ci_u32_e64 v7, s0, v9, v7, s0
	v_lshlrev_b64 v[8:9], 2, v[6:7]
	s_delay_alu instid0(VALU_DEP_1) | instskip(NEXT) | instid1(VALU_DEP_1)
	v_add_co_u32 v8, s0, s6, v8
	v_add_co_ci_u32_e64 v9, s0, s7, v9, s0
	global_load_b32 v8, v[8:9], off
	v_add_co_u32 v9, s0, v6, 1
	s_delay_alu instid0(VALU_DEP_1) | instskip(SKIP_2) | instid1(VALU_DEP_1)
	v_add_co_ci_u32_e64 v10, s0, 0, v7, s0
	s_waitcnt vmcnt(0) lgkmcnt(0)
	v_cmp_gt_u32_e64 s0, v8, v5
	v_cndmask_b32_e64 v4, v4, v7, s0
	v_cndmask_b32_e64 v3, v3, v6, s0
	;; [unrolled: 1-line block ×4, first 2 shown]
	s_delay_alu instid0(VALU_DEP_1) | instskip(NEXT) | instid1(VALU_DEP_1)
	v_cmp_ge_u64_e64 s0, v[1:2], v[3:4]
	s_or_b32 s8, s0, s8
	s_delay_alu instid0(SALU_CYCLE_1)
	s_and_not1_b32 exec_lo, exec_lo, s8
	s_cbranch_execnz .LBB364_15
; %bb.16:
	s_set_inst_prefetch_distance 0x2
	s_or_b32 exec_lo, exec_lo, s8
	s_delay_alu instid0(SALU_CYCLE_1)
	s_or_b32 exec_lo, exec_lo, s1
	s_and_saveexec_b32 s0, vcc_lo
	s_cbranch_execnz .LBB364_10
	s_branch .LBB364_11
.LBB364_17:
	v_mov_b32_e32 v1, 0
	s_or_b32 exec_lo, exec_lo, s1
	s_and_saveexec_b32 s0, vcc_lo
	s_cbranch_execnz .LBB364_10
	s_branch .LBB364_11
	.section	.rodata,"a",@progbits
	.p2align	6, 0x0
	.amdhsa_kernel _ZN7rocprim17ROCPRIM_400000_NS6detail17trampoline_kernelINS0_14default_configENS1_27upper_bound_config_selectorIjiEEZNS1_14transform_implILb0ES3_S5_N6thrust23THRUST_200600_302600_NS6detail15normal_iteratorINS8_10device_ptrIjEEEENSA_INSB_IiEEEEZNS1_13binary_searchIS3_S5_SD_SD_SF_NS1_21upper_bound_search_opENS9_16wrapped_functionINS0_4lessIvEEbEEEE10hipError_tPvRmT1_T2_T3_mmT4_T5_P12ihipStream_tbEUlRKjE_EESM_SQ_SR_mSS_SV_bEUlT_E_NS1_11comp_targetILNS1_3genE9ELNS1_11target_archE1100ELNS1_3gpuE3ELNS1_3repE0EEENS1_30default_config_static_selectorELNS0_4arch9wavefront6targetE0EEEvSP_
		.amdhsa_group_segment_fixed_size 0
		.amdhsa_private_segment_fixed_size 0
		.amdhsa_kernarg_size 312
		.amdhsa_user_sgpr_count 15
		.amdhsa_user_sgpr_dispatch_ptr 0
		.amdhsa_user_sgpr_queue_ptr 0
		.amdhsa_user_sgpr_kernarg_segment_ptr 1
		.amdhsa_user_sgpr_dispatch_id 0
		.amdhsa_user_sgpr_private_segment_size 0
		.amdhsa_wavefront_size32 1
		.amdhsa_uses_dynamic_stack 0
		.amdhsa_enable_private_segment 0
		.amdhsa_system_sgpr_workgroup_id_x 1
		.amdhsa_system_sgpr_workgroup_id_y 0
		.amdhsa_system_sgpr_workgroup_id_z 0
		.amdhsa_system_sgpr_workgroup_info 0
		.amdhsa_system_vgpr_workitem_id 0
		.amdhsa_next_free_vgpr 11
		.amdhsa_next_free_sgpr 20
		.amdhsa_reserve_vcc 1
		.amdhsa_float_round_mode_32 0
		.amdhsa_float_round_mode_16_64 0
		.amdhsa_float_denorm_mode_32 3
		.amdhsa_float_denorm_mode_16_64 3
		.amdhsa_dx10_clamp 1
		.amdhsa_ieee_mode 1
		.amdhsa_fp16_overflow 0
		.amdhsa_workgroup_processor_mode 1
		.amdhsa_memory_ordered 1
		.amdhsa_forward_progress 0
		.amdhsa_shared_vgpr_count 0
		.amdhsa_exception_fp_ieee_invalid_op 0
		.amdhsa_exception_fp_denorm_src 0
		.amdhsa_exception_fp_ieee_div_zero 0
		.amdhsa_exception_fp_ieee_overflow 0
		.amdhsa_exception_fp_ieee_underflow 0
		.amdhsa_exception_fp_ieee_inexact 0
		.amdhsa_exception_int_div_zero 0
	.end_amdhsa_kernel
	.section	.text._ZN7rocprim17ROCPRIM_400000_NS6detail17trampoline_kernelINS0_14default_configENS1_27upper_bound_config_selectorIjiEEZNS1_14transform_implILb0ES3_S5_N6thrust23THRUST_200600_302600_NS6detail15normal_iteratorINS8_10device_ptrIjEEEENSA_INSB_IiEEEEZNS1_13binary_searchIS3_S5_SD_SD_SF_NS1_21upper_bound_search_opENS9_16wrapped_functionINS0_4lessIvEEbEEEE10hipError_tPvRmT1_T2_T3_mmT4_T5_P12ihipStream_tbEUlRKjE_EESM_SQ_SR_mSS_SV_bEUlT_E_NS1_11comp_targetILNS1_3genE9ELNS1_11target_archE1100ELNS1_3gpuE3ELNS1_3repE0EEENS1_30default_config_static_selectorELNS0_4arch9wavefront6targetE0EEEvSP_,"axG",@progbits,_ZN7rocprim17ROCPRIM_400000_NS6detail17trampoline_kernelINS0_14default_configENS1_27upper_bound_config_selectorIjiEEZNS1_14transform_implILb0ES3_S5_N6thrust23THRUST_200600_302600_NS6detail15normal_iteratorINS8_10device_ptrIjEEEENSA_INSB_IiEEEEZNS1_13binary_searchIS3_S5_SD_SD_SF_NS1_21upper_bound_search_opENS9_16wrapped_functionINS0_4lessIvEEbEEEE10hipError_tPvRmT1_T2_T3_mmT4_T5_P12ihipStream_tbEUlRKjE_EESM_SQ_SR_mSS_SV_bEUlT_E_NS1_11comp_targetILNS1_3genE9ELNS1_11target_archE1100ELNS1_3gpuE3ELNS1_3repE0EEENS1_30default_config_static_selectorELNS0_4arch9wavefront6targetE0EEEvSP_,comdat
.Lfunc_end364:
	.size	_ZN7rocprim17ROCPRIM_400000_NS6detail17trampoline_kernelINS0_14default_configENS1_27upper_bound_config_selectorIjiEEZNS1_14transform_implILb0ES3_S5_N6thrust23THRUST_200600_302600_NS6detail15normal_iteratorINS8_10device_ptrIjEEEENSA_INSB_IiEEEEZNS1_13binary_searchIS3_S5_SD_SD_SF_NS1_21upper_bound_search_opENS9_16wrapped_functionINS0_4lessIvEEbEEEE10hipError_tPvRmT1_T2_T3_mmT4_T5_P12ihipStream_tbEUlRKjE_EESM_SQ_SR_mSS_SV_bEUlT_E_NS1_11comp_targetILNS1_3genE9ELNS1_11target_archE1100ELNS1_3gpuE3ELNS1_3repE0EEENS1_30default_config_static_selectorELNS0_4arch9wavefront6targetE0EEEvSP_, .Lfunc_end364-_ZN7rocprim17ROCPRIM_400000_NS6detail17trampoline_kernelINS0_14default_configENS1_27upper_bound_config_selectorIjiEEZNS1_14transform_implILb0ES3_S5_N6thrust23THRUST_200600_302600_NS6detail15normal_iteratorINS8_10device_ptrIjEEEENSA_INSB_IiEEEEZNS1_13binary_searchIS3_S5_SD_SD_SF_NS1_21upper_bound_search_opENS9_16wrapped_functionINS0_4lessIvEEbEEEE10hipError_tPvRmT1_T2_T3_mmT4_T5_P12ihipStream_tbEUlRKjE_EESM_SQ_SR_mSS_SV_bEUlT_E_NS1_11comp_targetILNS1_3genE9ELNS1_11target_archE1100ELNS1_3gpuE3ELNS1_3repE0EEENS1_30default_config_static_selectorELNS0_4arch9wavefront6targetE0EEEvSP_
                                        ; -- End function
	.section	.AMDGPU.csdata,"",@progbits
; Kernel info:
; codeLenInByte = 844
; NumSgprs: 22
; NumVgprs: 11
; ScratchSize: 0
; MemoryBound: 0
; FloatMode: 240
; IeeeMode: 1
; LDSByteSize: 0 bytes/workgroup (compile time only)
; SGPRBlocks: 2
; VGPRBlocks: 1
; NumSGPRsForWavesPerEU: 22
; NumVGPRsForWavesPerEU: 11
; Occupancy: 16
; WaveLimiterHint : 0
; COMPUTE_PGM_RSRC2:SCRATCH_EN: 0
; COMPUTE_PGM_RSRC2:USER_SGPR: 15
; COMPUTE_PGM_RSRC2:TRAP_HANDLER: 0
; COMPUTE_PGM_RSRC2:TGID_X_EN: 1
; COMPUTE_PGM_RSRC2:TGID_Y_EN: 0
; COMPUTE_PGM_RSRC2:TGID_Z_EN: 0
; COMPUTE_PGM_RSRC2:TIDIG_COMP_CNT: 0
	.section	.text._ZN7rocprim17ROCPRIM_400000_NS6detail17trampoline_kernelINS0_14default_configENS1_27upper_bound_config_selectorIjiEEZNS1_14transform_implILb0ES3_S5_N6thrust23THRUST_200600_302600_NS6detail15normal_iteratorINS8_10device_ptrIjEEEENSA_INSB_IiEEEEZNS1_13binary_searchIS3_S5_SD_SD_SF_NS1_21upper_bound_search_opENS9_16wrapped_functionINS0_4lessIvEEbEEEE10hipError_tPvRmT1_T2_T3_mmT4_T5_P12ihipStream_tbEUlRKjE_EESM_SQ_SR_mSS_SV_bEUlT_E_NS1_11comp_targetILNS1_3genE8ELNS1_11target_archE1030ELNS1_3gpuE2ELNS1_3repE0EEENS1_30default_config_static_selectorELNS0_4arch9wavefront6targetE0EEEvSP_,"axG",@progbits,_ZN7rocprim17ROCPRIM_400000_NS6detail17trampoline_kernelINS0_14default_configENS1_27upper_bound_config_selectorIjiEEZNS1_14transform_implILb0ES3_S5_N6thrust23THRUST_200600_302600_NS6detail15normal_iteratorINS8_10device_ptrIjEEEENSA_INSB_IiEEEEZNS1_13binary_searchIS3_S5_SD_SD_SF_NS1_21upper_bound_search_opENS9_16wrapped_functionINS0_4lessIvEEbEEEE10hipError_tPvRmT1_T2_T3_mmT4_T5_P12ihipStream_tbEUlRKjE_EESM_SQ_SR_mSS_SV_bEUlT_E_NS1_11comp_targetILNS1_3genE8ELNS1_11target_archE1030ELNS1_3gpuE2ELNS1_3repE0EEENS1_30default_config_static_selectorELNS0_4arch9wavefront6targetE0EEEvSP_,comdat
	.protected	_ZN7rocprim17ROCPRIM_400000_NS6detail17trampoline_kernelINS0_14default_configENS1_27upper_bound_config_selectorIjiEEZNS1_14transform_implILb0ES3_S5_N6thrust23THRUST_200600_302600_NS6detail15normal_iteratorINS8_10device_ptrIjEEEENSA_INSB_IiEEEEZNS1_13binary_searchIS3_S5_SD_SD_SF_NS1_21upper_bound_search_opENS9_16wrapped_functionINS0_4lessIvEEbEEEE10hipError_tPvRmT1_T2_T3_mmT4_T5_P12ihipStream_tbEUlRKjE_EESM_SQ_SR_mSS_SV_bEUlT_E_NS1_11comp_targetILNS1_3genE8ELNS1_11target_archE1030ELNS1_3gpuE2ELNS1_3repE0EEENS1_30default_config_static_selectorELNS0_4arch9wavefront6targetE0EEEvSP_ ; -- Begin function _ZN7rocprim17ROCPRIM_400000_NS6detail17trampoline_kernelINS0_14default_configENS1_27upper_bound_config_selectorIjiEEZNS1_14transform_implILb0ES3_S5_N6thrust23THRUST_200600_302600_NS6detail15normal_iteratorINS8_10device_ptrIjEEEENSA_INSB_IiEEEEZNS1_13binary_searchIS3_S5_SD_SD_SF_NS1_21upper_bound_search_opENS9_16wrapped_functionINS0_4lessIvEEbEEEE10hipError_tPvRmT1_T2_T3_mmT4_T5_P12ihipStream_tbEUlRKjE_EESM_SQ_SR_mSS_SV_bEUlT_E_NS1_11comp_targetILNS1_3genE8ELNS1_11target_archE1030ELNS1_3gpuE2ELNS1_3repE0EEENS1_30default_config_static_selectorELNS0_4arch9wavefront6targetE0EEEvSP_
	.globl	_ZN7rocprim17ROCPRIM_400000_NS6detail17trampoline_kernelINS0_14default_configENS1_27upper_bound_config_selectorIjiEEZNS1_14transform_implILb0ES3_S5_N6thrust23THRUST_200600_302600_NS6detail15normal_iteratorINS8_10device_ptrIjEEEENSA_INSB_IiEEEEZNS1_13binary_searchIS3_S5_SD_SD_SF_NS1_21upper_bound_search_opENS9_16wrapped_functionINS0_4lessIvEEbEEEE10hipError_tPvRmT1_T2_T3_mmT4_T5_P12ihipStream_tbEUlRKjE_EESM_SQ_SR_mSS_SV_bEUlT_E_NS1_11comp_targetILNS1_3genE8ELNS1_11target_archE1030ELNS1_3gpuE2ELNS1_3repE0EEENS1_30default_config_static_selectorELNS0_4arch9wavefront6targetE0EEEvSP_
	.p2align	8
	.type	_ZN7rocprim17ROCPRIM_400000_NS6detail17trampoline_kernelINS0_14default_configENS1_27upper_bound_config_selectorIjiEEZNS1_14transform_implILb0ES3_S5_N6thrust23THRUST_200600_302600_NS6detail15normal_iteratorINS8_10device_ptrIjEEEENSA_INSB_IiEEEEZNS1_13binary_searchIS3_S5_SD_SD_SF_NS1_21upper_bound_search_opENS9_16wrapped_functionINS0_4lessIvEEbEEEE10hipError_tPvRmT1_T2_T3_mmT4_T5_P12ihipStream_tbEUlRKjE_EESM_SQ_SR_mSS_SV_bEUlT_E_NS1_11comp_targetILNS1_3genE8ELNS1_11target_archE1030ELNS1_3gpuE2ELNS1_3repE0EEENS1_30default_config_static_selectorELNS0_4arch9wavefront6targetE0EEEvSP_,@function
_ZN7rocprim17ROCPRIM_400000_NS6detail17trampoline_kernelINS0_14default_configENS1_27upper_bound_config_selectorIjiEEZNS1_14transform_implILb0ES3_S5_N6thrust23THRUST_200600_302600_NS6detail15normal_iteratorINS8_10device_ptrIjEEEENSA_INSB_IiEEEEZNS1_13binary_searchIS3_S5_SD_SD_SF_NS1_21upper_bound_search_opENS9_16wrapped_functionINS0_4lessIvEEbEEEE10hipError_tPvRmT1_T2_T3_mmT4_T5_P12ihipStream_tbEUlRKjE_EESM_SQ_SR_mSS_SV_bEUlT_E_NS1_11comp_targetILNS1_3genE8ELNS1_11target_archE1030ELNS1_3gpuE2ELNS1_3repE0EEENS1_30default_config_static_selectorELNS0_4arch9wavefront6targetE0EEEvSP_: ; @_ZN7rocprim17ROCPRIM_400000_NS6detail17trampoline_kernelINS0_14default_configENS1_27upper_bound_config_selectorIjiEEZNS1_14transform_implILb0ES3_S5_N6thrust23THRUST_200600_302600_NS6detail15normal_iteratorINS8_10device_ptrIjEEEENSA_INSB_IiEEEEZNS1_13binary_searchIS3_S5_SD_SD_SF_NS1_21upper_bound_search_opENS9_16wrapped_functionINS0_4lessIvEEbEEEE10hipError_tPvRmT1_T2_T3_mmT4_T5_P12ihipStream_tbEUlRKjE_EESM_SQ_SR_mSS_SV_bEUlT_E_NS1_11comp_targetILNS1_3genE8ELNS1_11target_archE1030ELNS1_3gpuE2ELNS1_3repE0EEENS1_30default_config_static_selectorELNS0_4arch9wavefront6targetE0EEEvSP_
; %bb.0:
	.section	.rodata,"a",@progbits
	.p2align	6, 0x0
	.amdhsa_kernel _ZN7rocprim17ROCPRIM_400000_NS6detail17trampoline_kernelINS0_14default_configENS1_27upper_bound_config_selectorIjiEEZNS1_14transform_implILb0ES3_S5_N6thrust23THRUST_200600_302600_NS6detail15normal_iteratorINS8_10device_ptrIjEEEENSA_INSB_IiEEEEZNS1_13binary_searchIS3_S5_SD_SD_SF_NS1_21upper_bound_search_opENS9_16wrapped_functionINS0_4lessIvEEbEEEE10hipError_tPvRmT1_T2_T3_mmT4_T5_P12ihipStream_tbEUlRKjE_EESM_SQ_SR_mSS_SV_bEUlT_E_NS1_11comp_targetILNS1_3genE8ELNS1_11target_archE1030ELNS1_3gpuE2ELNS1_3repE0EEENS1_30default_config_static_selectorELNS0_4arch9wavefront6targetE0EEEvSP_
		.amdhsa_group_segment_fixed_size 0
		.amdhsa_private_segment_fixed_size 0
		.amdhsa_kernarg_size 56
		.amdhsa_user_sgpr_count 15
		.amdhsa_user_sgpr_dispatch_ptr 0
		.amdhsa_user_sgpr_queue_ptr 0
		.amdhsa_user_sgpr_kernarg_segment_ptr 1
		.amdhsa_user_sgpr_dispatch_id 0
		.amdhsa_user_sgpr_private_segment_size 0
		.amdhsa_wavefront_size32 1
		.amdhsa_uses_dynamic_stack 0
		.amdhsa_enable_private_segment 0
		.amdhsa_system_sgpr_workgroup_id_x 1
		.amdhsa_system_sgpr_workgroup_id_y 0
		.amdhsa_system_sgpr_workgroup_id_z 0
		.amdhsa_system_sgpr_workgroup_info 0
		.amdhsa_system_vgpr_workitem_id 0
		.amdhsa_next_free_vgpr 1
		.amdhsa_next_free_sgpr 1
		.amdhsa_reserve_vcc 0
		.amdhsa_float_round_mode_32 0
		.amdhsa_float_round_mode_16_64 0
		.amdhsa_float_denorm_mode_32 3
		.amdhsa_float_denorm_mode_16_64 3
		.amdhsa_dx10_clamp 1
		.amdhsa_ieee_mode 1
		.amdhsa_fp16_overflow 0
		.amdhsa_workgroup_processor_mode 1
		.amdhsa_memory_ordered 1
		.amdhsa_forward_progress 0
		.amdhsa_shared_vgpr_count 0
		.amdhsa_exception_fp_ieee_invalid_op 0
		.amdhsa_exception_fp_denorm_src 0
		.amdhsa_exception_fp_ieee_div_zero 0
		.amdhsa_exception_fp_ieee_overflow 0
		.amdhsa_exception_fp_ieee_underflow 0
		.amdhsa_exception_fp_ieee_inexact 0
		.amdhsa_exception_int_div_zero 0
	.end_amdhsa_kernel
	.section	.text._ZN7rocprim17ROCPRIM_400000_NS6detail17trampoline_kernelINS0_14default_configENS1_27upper_bound_config_selectorIjiEEZNS1_14transform_implILb0ES3_S5_N6thrust23THRUST_200600_302600_NS6detail15normal_iteratorINS8_10device_ptrIjEEEENSA_INSB_IiEEEEZNS1_13binary_searchIS3_S5_SD_SD_SF_NS1_21upper_bound_search_opENS9_16wrapped_functionINS0_4lessIvEEbEEEE10hipError_tPvRmT1_T2_T3_mmT4_T5_P12ihipStream_tbEUlRKjE_EESM_SQ_SR_mSS_SV_bEUlT_E_NS1_11comp_targetILNS1_3genE8ELNS1_11target_archE1030ELNS1_3gpuE2ELNS1_3repE0EEENS1_30default_config_static_selectorELNS0_4arch9wavefront6targetE0EEEvSP_,"axG",@progbits,_ZN7rocprim17ROCPRIM_400000_NS6detail17trampoline_kernelINS0_14default_configENS1_27upper_bound_config_selectorIjiEEZNS1_14transform_implILb0ES3_S5_N6thrust23THRUST_200600_302600_NS6detail15normal_iteratorINS8_10device_ptrIjEEEENSA_INSB_IiEEEEZNS1_13binary_searchIS3_S5_SD_SD_SF_NS1_21upper_bound_search_opENS9_16wrapped_functionINS0_4lessIvEEbEEEE10hipError_tPvRmT1_T2_T3_mmT4_T5_P12ihipStream_tbEUlRKjE_EESM_SQ_SR_mSS_SV_bEUlT_E_NS1_11comp_targetILNS1_3genE8ELNS1_11target_archE1030ELNS1_3gpuE2ELNS1_3repE0EEENS1_30default_config_static_selectorELNS0_4arch9wavefront6targetE0EEEvSP_,comdat
.Lfunc_end365:
	.size	_ZN7rocprim17ROCPRIM_400000_NS6detail17trampoline_kernelINS0_14default_configENS1_27upper_bound_config_selectorIjiEEZNS1_14transform_implILb0ES3_S5_N6thrust23THRUST_200600_302600_NS6detail15normal_iteratorINS8_10device_ptrIjEEEENSA_INSB_IiEEEEZNS1_13binary_searchIS3_S5_SD_SD_SF_NS1_21upper_bound_search_opENS9_16wrapped_functionINS0_4lessIvEEbEEEE10hipError_tPvRmT1_T2_T3_mmT4_T5_P12ihipStream_tbEUlRKjE_EESM_SQ_SR_mSS_SV_bEUlT_E_NS1_11comp_targetILNS1_3genE8ELNS1_11target_archE1030ELNS1_3gpuE2ELNS1_3repE0EEENS1_30default_config_static_selectorELNS0_4arch9wavefront6targetE0EEEvSP_, .Lfunc_end365-_ZN7rocprim17ROCPRIM_400000_NS6detail17trampoline_kernelINS0_14default_configENS1_27upper_bound_config_selectorIjiEEZNS1_14transform_implILb0ES3_S5_N6thrust23THRUST_200600_302600_NS6detail15normal_iteratorINS8_10device_ptrIjEEEENSA_INSB_IiEEEEZNS1_13binary_searchIS3_S5_SD_SD_SF_NS1_21upper_bound_search_opENS9_16wrapped_functionINS0_4lessIvEEbEEEE10hipError_tPvRmT1_T2_T3_mmT4_T5_P12ihipStream_tbEUlRKjE_EESM_SQ_SR_mSS_SV_bEUlT_E_NS1_11comp_targetILNS1_3genE8ELNS1_11target_archE1030ELNS1_3gpuE2ELNS1_3repE0EEENS1_30default_config_static_selectorELNS0_4arch9wavefront6targetE0EEEvSP_
                                        ; -- End function
	.section	.AMDGPU.csdata,"",@progbits
; Kernel info:
; codeLenInByte = 0
; NumSgprs: 0
; NumVgprs: 0
; ScratchSize: 0
; MemoryBound: 0
; FloatMode: 240
; IeeeMode: 1
; LDSByteSize: 0 bytes/workgroup (compile time only)
; SGPRBlocks: 0
; VGPRBlocks: 0
; NumSGPRsForWavesPerEU: 1
; NumVGPRsForWavesPerEU: 1
; Occupancy: 16
; WaveLimiterHint : 0
; COMPUTE_PGM_RSRC2:SCRATCH_EN: 0
; COMPUTE_PGM_RSRC2:USER_SGPR: 15
; COMPUTE_PGM_RSRC2:TRAP_HANDLER: 0
; COMPUTE_PGM_RSRC2:TGID_X_EN: 1
; COMPUTE_PGM_RSRC2:TGID_Y_EN: 0
; COMPUTE_PGM_RSRC2:TGID_Z_EN: 0
; COMPUTE_PGM_RSRC2:TIDIG_COMP_CNT: 0
	.section	.text._ZN7rocprim17ROCPRIM_400000_NS6detail17trampoline_kernelINS0_14default_configENS1_27upper_bound_config_selectorItiEEZNS1_14transform_implILb0ES3_S5_N6thrust23THRUST_200600_302600_NS6detail15normal_iteratorINS8_10device_ptrItEEEENSA_INSB_IiEEEEZNS1_13binary_searchIS3_S5_SD_SD_SF_NS1_21upper_bound_search_opENS9_16wrapped_functionINS0_4lessIvEEbEEEE10hipError_tPvRmT1_T2_T3_mmT4_T5_P12ihipStream_tbEUlRKtE_EESM_SQ_SR_mSS_SV_bEUlT_E_NS1_11comp_targetILNS1_3genE0ELNS1_11target_archE4294967295ELNS1_3gpuE0ELNS1_3repE0EEENS1_30default_config_static_selectorELNS0_4arch9wavefront6targetE0EEEvSP_,"axG",@progbits,_ZN7rocprim17ROCPRIM_400000_NS6detail17trampoline_kernelINS0_14default_configENS1_27upper_bound_config_selectorItiEEZNS1_14transform_implILb0ES3_S5_N6thrust23THRUST_200600_302600_NS6detail15normal_iteratorINS8_10device_ptrItEEEENSA_INSB_IiEEEEZNS1_13binary_searchIS3_S5_SD_SD_SF_NS1_21upper_bound_search_opENS9_16wrapped_functionINS0_4lessIvEEbEEEE10hipError_tPvRmT1_T2_T3_mmT4_T5_P12ihipStream_tbEUlRKtE_EESM_SQ_SR_mSS_SV_bEUlT_E_NS1_11comp_targetILNS1_3genE0ELNS1_11target_archE4294967295ELNS1_3gpuE0ELNS1_3repE0EEENS1_30default_config_static_selectorELNS0_4arch9wavefront6targetE0EEEvSP_,comdat
	.protected	_ZN7rocprim17ROCPRIM_400000_NS6detail17trampoline_kernelINS0_14default_configENS1_27upper_bound_config_selectorItiEEZNS1_14transform_implILb0ES3_S5_N6thrust23THRUST_200600_302600_NS6detail15normal_iteratorINS8_10device_ptrItEEEENSA_INSB_IiEEEEZNS1_13binary_searchIS3_S5_SD_SD_SF_NS1_21upper_bound_search_opENS9_16wrapped_functionINS0_4lessIvEEbEEEE10hipError_tPvRmT1_T2_T3_mmT4_T5_P12ihipStream_tbEUlRKtE_EESM_SQ_SR_mSS_SV_bEUlT_E_NS1_11comp_targetILNS1_3genE0ELNS1_11target_archE4294967295ELNS1_3gpuE0ELNS1_3repE0EEENS1_30default_config_static_selectorELNS0_4arch9wavefront6targetE0EEEvSP_ ; -- Begin function _ZN7rocprim17ROCPRIM_400000_NS6detail17trampoline_kernelINS0_14default_configENS1_27upper_bound_config_selectorItiEEZNS1_14transform_implILb0ES3_S5_N6thrust23THRUST_200600_302600_NS6detail15normal_iteratorINS8_10device_ptrItEEEENSA_INSB_IiEEEEZNS1_13binary_searchIS3_S5_SD_SD_SF_NS1_21upper_bound_search_opENS9_16wrapped_functionINS0_4lessIvEEbEEEE10hipError_tPvRmT1_T2_T3_mmT4_T5_P12ihipStream_tbEUlRKtE_EESM_SQ_SR_mSS_SV_bEUlT_E_NS1_11comp_targetILNS1_3genE0ELNS1_11target_archE4294967295ELNS1_3gpuE0ELNS1_3repE0EEENS1_30default_config_static_selectorELNS0_4arch9wavefront6targetE0EEEvSP_
	.globl	_ZN7rocprim17ROCPRIM_400000_NS6detail17trampoline_kernelINS0_14default_configENS1_27upper_bound_config_selectorItiEEZNS1_14transform_implILb0ES3_S5_N6thrust23THRUST_200600_302600_NS6detail15normal_iteratorINS8_10device_ptrItEEEENSA_INSB_IiEEEEZNS1_13binary_searchIS3_S5_SD_SD_SF_NS1_21upper_bound_search_opENS9_16wrapped_functionINS0_4lessIvEEbEEEE10hipError_tPvRmT1_T2_T3_mmT4_T5_P12ihipStream_tbEUlRKtE_EESM_SQ_SR_mSS_SV_bEUlT_E_NS1_11comp_targetILNS1_3genE0ELNS1_11target_archE4294967295ELNS1_3gpuE0ELNS1_3repE0EEENS1_30default_config_static_selectorELNS0_4arch9wavefront6targetE0EEEvSP_
	.p2align	8
	.type	_ZN7rocprim17ROCPRIM_400000_NS6detail17trampoline_kernelINS0_14default_configENS1_27upper_bound_config_selectorItiEEZNS1_14transform_implILb0ES3_S5_N6thrust23THRUST_200600_302600_NS6detail15normal_iteratorINS8_10device_ptrItEEEENSA_INSB_IiEEEEZNS1_13binary_searchIS3_S5_SD_SD_SF_NS1_21upper_bound_search_opENS9_16wrapped_functionINS0_4lessIvEEbEEEE10hipError_tPvRmT1_T2_T3_mmT4_T5_P12ihipStream_tbEUlRKtE_EESM_SQ_SR_mSS_SV_bEUlT_E_NS1_11comp_targetILNS1_3genE0ELNS1_11target_archE4294967295ELNS1_3gpuE0ELNS1_3repE0EEENS1_30default_config_static_selectorELNS0_4arch9wavefront6targetE0EEEvSP_,@function
_ZN7rocprim17ROCPRIM_400000_NS6detail17trampoline_kernelINS0_14default_configENS1_27upper_bound_config_selectorItiEEZNS1_14transform_implILb0ES3_S5_N6thrust23THRUST_200600_302600_NS6detail15normal_iteratorINS8_10device_ptrItEEEENSA_INSB_IiEEEEZNS1_13binary_searchIS3_S5_SD_SD_SF_NS1_21upper_bound_search_opENS9_16wrapped_functionINS0_4lessIvEEbEEEE10hipError_tPvRmT1_T2_T3_mmT4_T5_P12ihipStream_tbEUlRKtE_EESM_SQ_SR_mSS_SV_bEUlT_E_NS1_11comp_targetILNS1_3genE0ELNS1_11target_archE4294967295ELNS1_3gpuE0ELNS1_3repE0EEENS1_30default_config_static_selectorELNS0_4arch9wavefront6targetE0EEEvSP_: ; @_ZN7rocprim17ROCPRIM_400000_NS6detail17trampoline_kernelINS0_14default_configENS1_27upper_bound_config_selectorItiEEZNS1_14transform_implILb0ES3_S5_N6thrust23THRUST_200600_302600_NS6detail15normal_iteratorINS8_10device_ptrItEEEENSA_INSB_IiEEEEZNS1_13binary_searchIS3_S5_SD_SD_SF_NS1_21upper_bound_search_opENS9_16wrapped_functionINS0_4lessIvEEbEEEE10hipError_tPvRmT1_T2_T3_mmT4_T5_P12ihipStream_tbEUlRKtE_EESM_SQ_SR_mSS_SV_bEUlT_E_NS1_11comp_targetILNS1_3genE0ELNS1_11target_archE4294967295ELNS1_3gpuE0ELNS1_3repE0EEENS1_30default_config_static_selectorELNS0_4arch9wavefront6targetE0EEEvSP_
; %bb.0:
	.section	.rodata,"a",@progbits
	.p2align	6, 0x0
	.amdhsa_kernel _ZN7rocprim17ROCPRIM_400000_NS6detail17trampoline_kernelINS0_14default_configENS1_27upper_bound_config_selectorItiEEZNS1_14transform_implILb0ES3_S5_N6thrust23THRUST_200600_302600_NS6detail15normal_iteratorINS8_10device_ptrItEEEENSA_INSB_IiEEEEZNS1_13binary_searchIS3_S5_SD_SD_SF_NS1_21upper_bound_search_opENS9_16wrapped_functionINS0_4lessIvEEbEEEE10hipError_tPvRmT1_T2_T3_mmT4_T5_P12ihipStream_tbEUlRKtE_EESM_SQ_SR_mSS_SV_bEUlT_E_NS1_11comp_targetILNS1_3genE0ELNS1_11target_archE4294967295ELNS1_3gpuE0ELNS1_3repE0EEENS1_30default_config_static_selectorELNS0_4arch9wavefront6targetE0EEEvSP_
		.amdhsa_group_segment_fixed_size 0
		.amdhsa_private_segment_fixed_size 0
		.amdhsa_kernarg_size 56
		.amdhsa_user_sgpr_count 15
		.amdhsa_user_sgpr_dispatch_ptr 0
		.amdhsa_user_sgpr_queue_ptr 0
		.amdhsa_user_sgpr_kernarg_segment_ptr 1
		.amdhsa_user_sgpr_dispatch_id 0
		.amdhsa_user_sgpr_private_segment_size 0
		.amdhsa_wavefront_size32 1
		.amdhsa_uses_dynamic_stack 0
		.amdhsa_enable_private_segment 0
		.amdhsa_system_sgpr_workgroup_id_x 1
		.amdhsa_system_sgpr_workgroup_id_y 0
		.amdhsa_system_sgpr_workgroup_id_z 0
		.amdhsa_system_sgpr_workgroup_info 0
		.amdhsa_system_vgpr_workitem_id 0
		.amdhsa_next_free_vgpr 1
		.amdhsa_next_free_sgpr 1
		.amdhsa_reserve_vcc 0
		.amdhsa_float_round_mode_32 0
		.amdhsa_float_round_mode_16_64 0
		.amdhsa_float_denorm_mode_32 3
		.amdhsa_float_denorm_mode_16_64 3
		.amdhsa_dx10_clamp 1
		.amdhsa_ieee_mode 1
		.amdhsa_fp16_overflow 0
		.amdhsa_workgroup_processor_mode 1
		.amdhsa_memory_ordered 1
		.amdhsa_forward_progress 0
		.amdhsa_shared_vgpr_count 0
		.amdhsa_exception_fp_ieee_invalid_op 0
		.amdhsa_exception_fp_denorm_src 0
		.amdhsa_exception_fp_ieee_div_zero 0
		.amdhsa_exception_fp_ieee_overflow 0
		.amdhsa_exception_fp_ieee_underflow 0
		.amdhsa_exception_fp_ieee_inexact 0
		.amdhsa_exception_int_div_zero 0
	.end_amdhsa_kernel
	.section	.text._ZN7rocprim17ROCPRIM_400000_NS6detail17trampoline_kernelINS0_14default_configENS1_27upper_bound_config_selectorItiEEZNS1_14transform_implILb0ES3_S5_N6thrust23THRUST_200600_302600_NS6detail15normal_iteratorINS8_10device_ptrItEEEENSA_INSB_IiEEEEZNS1_13binary_searchIS3_S5_SD_SD_SF_NS1_21upper_bound_search_opENS9_16wrapped_functionINS0_4lessIvEEbEEEE10hipError_tPvRmT1_T2_T3_mmT4_T5_P12ihipStream_tbEUlRKtE_EESM_SQ_SR_mSS_SV_bEUlT_E_NS1_11comp_targetILNS1_3genE0ELNS1_11target_archE4294967295ELNS1_3gpuE0ELNS1_3repE0EEENS1_30default_config_static_selectorELNS0_4arch9wavefront6targetE0EEEvSP_,"axG",@progbits,_ZN7rocprim17ROCPRIM_400000_NS6detail17trampoline_kernelINS0_14default_configENS1_27upper_bound_config_selectorItiEEZNS1_14transform_implILb0ES3_S5_N6thrust23THRUST_200600_302600_NS6detail15normal_iteratorINS8_10device_ptrItEEEENSA_INSB_IiEEEEZNS1_13binary_searchIS3_S5_SD_SD_SF_NS1_21upper_bound_search_opENS9_16wrapped_functionINS0_4lessIvEEbEEEE10hipError_tPvRmT1_T2_T3_mmT4_T5_P12ihipStream_tbEUlRKtE_EESM_SQ_SR_mSS_SV_bEUlT_E_NS1_11comp_targetILNS1_3genE0ELNS1_11target_archE4294967295ELNS1_3gpuE0ELNS1_3repE0EEENS1_30default_config_static_selectorELNS0_4arch9wavefront6targetE0EEEvSP_,comdat
.Lfunc_end366:
	.size	_ZN7rocprim17ROCPRIM_400000_NS6detail17trampoline_kernelINS0_14default_configENS1_27upper_bound_config_selectorItiEEZNS1_14transform_implILb0ES3_S5_N6thrust23THRUST_200600_302600_NS6detail15normal_iteratorINS8_10device_ptrItEEEENSA_INSB_IiEEEEZNS1_13binary_searchIS3_S5_SD_SD_SF_NS1_21upper_bound_search_opENS9_16wrapped_functionINS0_4lessIvEEbEEEE10hipError_tPvRmT1_T2_T3_mmT4_T5_P12ihipStream_tbEUlRKtE_EESM_SQ_SR_mSS_SV_bEUlT_E_NS1_11comp_targetILNS1_3genE0ELNS1_11target_archE4294967295ELNS1_3gpuE0ELNS1_3repE0EEENS1_30default_config_static_selectorELNS0_4arch9wavefront6targetE0EEEvSP_, .Lfunc_end366-_ZN7rocprim17ROCPRIM_400000_NS6detail17trampoline_kernelINS0_14default_configENS1_27upper_bound_config_selectorItiEEZNS1_14transform_implILb0ES3_S5_N6thrust23THRUST_200600_302600_NS6detail15normal_iteratorINS8_10device_ptrItEEEENSA_INSB_IiEEEEZNS1_13binary_searchIS3_S5_SD_SD_SF_NS1_21upper_bound_search_opENS9_16wrapped_functionINS0_4lessIvEEbEEEE10hipError_tPvRmT1_T2_T3_mmT4_T5_P12ihipStream_tbEUlRKtE_EESM_SQ_SR_mSS_SV_bEUlT_E_NS1_11comp_targetILNS1_3genE0ELNS1_11target_archE4294967295ELNS1_3gpuE0ELNS1_3repE0EEENS1_30default_config_static_selectorELNS0_4arch9wavefront6targetE0EEEvSP_
                                        ; -- End function
	.section	.AMDGPU.csdata,"",@progbits
; Kernel info:
; codeLenInByte = 0
; NumSgprs: 0
; NumVgprs: 0
; ScratchSize: 0
; MemoryBound: 0
; FloatMode: 240
; IeeeMode: 1
; LDSByteSize: 0 bytes/workgroup (compile time only)
; SGPRBlocks: 0
; VGPRBlocks: 0
; NumSGPRsForWavesPerEU: 1
; NumVGPRsForWavesPerEU: 1
; Occupancy: 16
; WaveLimiterHint : 0
; COMPUTE_PGM_RSRC2:SCRATCH_EN: 0
; COMPUTE_PGM_RSRC2:USER_SGPR: 15
; COMPUTE_PGM_RSRC2:TRAP_HANDLER: 0
; COMPUTE_PGM_RSRC2:TGID_X_EN: 1
; COMPUTE_PGM_RSRC2:TGID_Y_EN: 0
; COMPUTE_PGM_RSRC2:TGID_Z_EN: 0
; COMPUTE_PGM_RSRC2:TIDIG_COMP_CNT: 0
	.section	.text._ZN7rocprim17ROCPRIM_400000_NS6detail17trampoline_kernelINS0_14default_configENS1_27upper_bound_config_selectorItiEEZNS1_14transform_implILb0ES3_S5_N6thrust23THRUST_200600_302600_NS6detail15normal_iteratorINS8_10device_ptrItEEEENSA_INSB_IiEEEEZNS1_13binary_searchIS3_S5_SD_SD_SF_NS1_21upper_bound_search_opENS9_16wrapped_functionINS0_4lessIvEEbEEEE10hipError_tPvRmT1_T2_T3_mmT4_T5_P12ihipStream_tbEUlRKtE_EESM_SQ_SR_mSS_SV_bEUlT_E_NS1_11comp_targetILNS1_3genE5ELNS1_11target_archE942ELNS1_3gpuE9ELNS1_3repE0EEENS1_30default_config_static_selectorELNS0_4arch9wavefront6targetE0EEEvSP_,"axG",@progbits,_ZN7rocprim17ROCPRIM_400000_NS6detail17trampoline_kernelINS0_14default_configENS1_27upper_bound_config_selectorItiEEZNS1_14transform_implILb0ES3_S5_N6thrust23THRUST_200600_302600_NS6detail15normal_iteratorINS8_10device_ptrItEEEENSA_INSB_IiEEEEZNS1_13binary_searchIS3_S5_SD_SD_SF_NS1_21upper_bound_search_opENS9_16wrapped_functionINS0_4lessIvEEbEEEE10hipError_tPvRmT1_T2_T3_mmT4_T5_P12ihipStream_tbEUlRKtE_EESM_SQ_SR_mSS_SV_bEUlT_E_NS1_11comp_targetILNS1_3genE5ELNS1_11target_archE942ELNS1_3gpuE9ELNS1_3repE0EEENS1_30default_config_static_selectorELNS0_4arch9wavefront6targetE0EEEvSP_,comdat
	.protected	_ZN7rocprim17ROCPRIM_400000_NS6detail17trampoline_kernelINS0_14default_configENS1_27upper_bound_config_selectorItiEEZNS1_14transform_implILb0ES3_S5_N6thrust23THRUST_200600_302600_NS6detail15normal_iteratorINS8_10device_ptrItEEEENSA_INSB_IiEEEEZNS1_13binary_searchIS3_S5_SD_SD_SF_NS1_21upper_bound_search_opENS9_16wrapped_functionINS0_4lessIvEEbEEEE10hipError_tPvRmT1_T2_T3_mmT4_T5_P12ihipStream_tbEUlRKtE_EESM_SQ_SR_mSS_SV_bEUlT_E_NS1_11comp_targetILNS1_3genE5ELNS1_11target_archE942ELNS1_3gpuE9ELNS1_3repE0EEENS1_30default_config_static_selectorELNS0_4arch9wavefront6targetE0EEEvSP_ ; -- Begin function _ZN7rocprim17ROCPRIM_400000_NS6detail17trampoline_kernelINS0_14default_configENS1_27upper_bound_config_selectorItiEEZNS1_14transform_implILb0ES3_S5_N6thrust23THRUST_200600_302600_NS6detail15normal_iteratorINS8_10device_ptrItEEEENSA_INSB_IiEEEEZNS1_13binary_searchIS3_S5_SD_SD_SF_NS1_21upper_bound_search_opENS9_16wrapped_functionINS0_4lessIvEEbEEEE10hipError_tPvRmT1_T2_T3_mmT4_T5_P12ihipStream_tbEUlRKtE_EESM_SQ_SR_mSS_SV_bEUlT_E_NS1_11comp_targetILNS1_3genE5ELNS1_11target_archE942ELNS1_3gpuE9ELNS1_3repE0EEENS1_30default_config_static_selectorELNS0_4arch9wavefront6targetE0EEEvSP_
	.globl	_ZN7rocprim17ROCPRIM_400000_NS6detail17trampoline_kernelINS0_14default_configENS1_27upper_bound_config_selectorItiEEZNS1_14transform_implILb0ES3_S5_N6thrust23THRUST_200600_302600_NS6detail15normal_iteratorINS8_10device_ptrItEEEENSA_INSB_IiEEEEZNS1_13binary_searchIS3_S5_SD_SD_SF_NS1_21upper_bound_search_opENS9_16wrapped_functionINS0_4lessIvEEbEEEE10hipError_tPvRmT1_T2_T3_mmT4_T5_P12ihipStream_tbEUlRKtE_EESM_SQ_SR_mSS_SV_bEUlT_E_NS1_11comp_targetILNS1_3genE5ELNS1_11target_archE942ELNS1_3gpuE9ELNS1_3repE0EEENS1_30default_config_static_selectorELNS0_4arch9wavefront6targetE0EEEvSP_
	.p2align	8
	.type	_ZN7rocprim17ROCPRIM_400000_NS6detail17trampoline_kernelINS0_14default_configENS1_27upper_bound_config_selectorItiEEZNS1_14transform_implILb0ES3_S5_N6thrust23THRUST_200600_302600_NS6detail15normal_iteratorINS8_10device_ptrItEEEENSA_INSB_IiEEEEZNS1_13binary_searchIS3_S5_SD_SD_SF_NS1_21upper_bound_search_opENS9_16wrapped_functionINS0_4lessIvEEbEEEE10hipError_tPvRmT1_T2_T3_mmT4_T5_P12ihipStream_tbEUlRKtE_EESM_SQ_SR_mSS_SV_bEUlT_E_NS1_11comp_targetILNS1_3genE5ELNS1_11target_archE942ELNS1_3gpuE9ELNS1_3repE0EEENS1_30default_config_static_selectorELNS0_4arch9wavefront6targetE0EEEvSP_,@function
_ZN7rocprim17ROCPRIM_400000_NS6detail17trampoline_kernelINS0_14default_configENS1_27upper_bound_config_selectorItiEEZNS1_14transform_implILb0ES3_S5_N6thrust23THRUST_200600_302600_NS6detail15normal_iteratorINS8_10device_ptrItEEEENSA_INSB_IiEEEEZNS1_13binary_searchIS3_S5_SD_SD_SF_NS1_21upper_bound_search_opENS9_16wrapped_functionINS0_4lessIvEEbEEEE10hipError_tPvRmT1_T2_T3_mmT4_T5_P12ihipStream_tbEUlRKtE_EESM_SQ_SR_mSS_SV_bEUlT_E_NS1_11comp_targetILNS1_3genE5ELNS1_11target_archE942ELNS1_3gpuE9ELNS1_3repE0EEENS1_30default_config_static_selectorELNS0_4arch9wavefront6targetE0EEEvSP_: ; @_ZN7rocprim17ROCPRIM_400000_NS6detail17trampoline_kernelINS0_14default_configENS1_27upper_bound_config_selectorItiEEZNS1_14transform_implILb0ES3_S5_N6thrust23THRUST_200600_302600_NS6detail15normal_iteratorINS8_10device_ptrItEEEENSA_INSB_IiEEEEZNS1_13binary_searchIS3_S5_SD_SD_SF_NS1_21upper_bound_search_opENS9_16wrapped_functionINS0_4lessIvEEbEEEE10hipError_tPvRmT1_T2_T3_mmT4_T5_P12ihipStream_tbEUlRKtE_EESM_SQ_SR_mSS_SV_bEUlT_E_NS1_11comp_targetILNS1_3genE5ELNS1_11target_archE942ELNS1_3gpuE9ELNS1_3repE0EEENS1_30default_config_static_selectorELNS0_4arch9wavefront6targetE0EEEvSP_
; %bb.0:
	.section	.rodata,"a",@progbits
	.p2align	6, 0x0
	.amdhsa_kernel _ZN7rocprim17ROCPRIM_400000_NS6detail17trampoline_kernelINS0_14default_configENS1_27upper_bound_config_selectorItiEEZNS1_14transform_implILb0ES3_S5_N6thrust23THRUST_200600_302600_NS6detail15normal_iteratorINS8_10device_ptrItEEEENSA_INSB_IiEEEEZNS1_13binary_searchIS3_S5_SD_SD_SF_NS1_21upper_bound_search_opENS9_16wrapped_functionINS0_4lessIvEEbEEEE10hipError_tPvRmT1_T2_T3_mmT4_T5_P12ihipStream_tbEUlRKtE_EESM_SQ_SR_mSS_SV_bEUlT_E_NS1_11comp_targetILNS1_3genE5ELNS1_11target_archE942ELNS1_3gpuE9ELNS1_3repE0EEENS1_30default_config_static_selectorELNS0_4arch9wavefront6targetE0EEEvSP_
		.amdhsa_group_segment_fixed_size 0
		.amdhsa_private_segment_fixed_size 0
		.amdhsa_kernarg_size 56
		.amdhsa_user_sgpr_count 15
		.amdhsa_user_sgpr_dispatch_ptr 0
		.amdhsa_user_sgpr_queue_ptr 0
		.amdhsa_user_sgpr_kernarg_segment_ptr 1
		.amdhsa_user_sgpr_dispatch_id 0
		.amdhsa_user_sgpr_private_segment_size 0
		.amdhsa_wavefront_size32 1
		.amdhsa_uses_dynamic_stack 0
		.amdhsa_enable_private_segment 0
		.amdhsa_system_sgpr_workgroup_id_x 1
		.amdhsa_system_sgpr_workgroup_id_y 0
		.amdhsa_system_sgpr_workgroup_id_z 0
		.amdhsa_system_sgpr_workgroup_info 0
		.amdhsa_system_vgpr_workitem_id 0
		.amdhsa_next_free_vgpr 1
		.amdhsa_next_free_sgpr 1
		.amdhsa_reserve_vcc 0
		.amdhsa_float_round_mode_32 0
		.amdhsa_float_round_mode_16_64 0
		.amdhsa_float_denorm_mode_32 3
		.amdhsa_float_denorm_mode_16_64 3
		.amdhsa_dx10_clamp 1
		.amdhsa_ieee_mode 1
		.amdhsa_fp16_overflow 0
		.amdhsa_workgroup_processor_mode 1
		.amdhsa_memory_ordered 1
		.amdhsa_forward_progress 0
		.amdhsa_shared_vgpr_count 0
		.amdhsa_exception_fp_ieee_invalid_op 0
		.amdhsa_exception_fp_denorm_src 0
		.amdhsa_exception_fp_ieee_div_zero 0
		.amdhsa_exception_fp_ieee_overflow 0
		.amdhsa_exception_fp_ieee_underflow 0
		.amdhsa_exception_fp_ieee_inexact 0
		.amdhsa_exception_int_div_zero 0
	.end_amdhsa_kernel
	.section	.text._ZN7rocprim17ROCPRIM_400000_NS6detail17trampoline_kernelINS0_14default_configENS1_27upper_bound_config_selectorItiEEZNS1_14transform_implILb0ES3_S5_N6thrust23THRUST_200600_302600_NS6detail15normal_iteratorINS8_10device_ptrItEEEENSA_INSB_IiEEEEZNS1_13binary_searchIS3_S5_SD_SD_SF_NS1_21upper_bound_search_opENS9_16wrapped_functionINS0_4lessIvEEbEEEE10hipError_tPvRmT1_T2_T3_mmT4_T5_P12ihipStream_tbEUlRKtE_EESM_SQ_SR_mSS_SV_bEUlT_E_NS1_11comp_targetILNS1_3genE5ELNS1_11target_archE942ELNS1_3gpuE9ELNS1_3repE0EEENS1_30default_config_static_selectorELNS0_4arch9wavefront6targetE0EEEvSP_,"axG",@progbits,_ZN7rocprim17ROCPRIM_400000_NS6detail17trampoline_kernelINS0_14default_configENS1_27upper_bound_config_selectorItiEEZNS1_14transform_implILb0ES3_S5_N6thrust23THRUST_200600_302600_NS6detail15normal_iteratorINS8_10device_ptrItEEEENSA_INSB_IiEEEEZNS1_13binary_searchIS3_S5_SD_SD_SF_NS1_21upper_bound_search_opENS9_16wrapped_functionINS0_4lessIvEEbEEEE10hipError_tPvRmT1_T2_T3_mmT4_T5_P12ihipStream_tbEUlRKtE_EESM_SQ_SR_mSS_SV_bEUlT_E_NS1_11comp_targetILNS1_3genE5ELNS1_11target_archE942ELNS1_3gpuE9ELNS1_3repE0EEENS1_30default_config_static_selectorELNS0_4arch9wavefront6targetE0EEEvSP_,comdat
.Lfunc_end367:
	.size	_ZN7rocprim17ROCPRIM_400000_NS6detail17trampoline_kernelINS0_14default_configENS1_27upper_bound_config_selectorItiEEZNS1_14transform_implILb0ES3_S5_N6thrust23THRUST_200600_302600_NS6detail15normal_iteratorINS8_10device_ptrItEEEENSA_INSB_IiEEEEZNS1_13binary_searchIS3_S5_SD_SD_SF_NS1_21upper_bound_search_opENS9_16wrapped_functionINS0_4lessIvEEbEEEE10hipError_tPvRmT1_T2_T3_mmT4_T5_P12ihipStream_tbEUlRKtE_EESM_SQ_SR_mSS_SV_bEUlT_E_NS1_11comp_targetILNS1_3genE5ELNS1_11target_archE942ELNS1_3gpuE9ELNS1_3repE0EEENS1_30default_config_static_selectorELNS0_4arch9wavefront6targetE0EEEvSP_, .Lfunc_end367-_ZN7rocprim17ROCPRIM_400000_NS6detail17trampoline_kernelINS0_14default_configENS1_27upper_bound_config_selectorItiEEZNS1_14transform_implILb0ES3_S5_N6thrust23THRUST_200600_302600_NS6detail15normal_iteratorINS8_10device_ptrItEEEENSA_INSB_IiEEEEZNS1_13binary_searchIS3_S5_SD_SD_SF_NS1_21upper_bound_search_opENS9_16wrapped_functionINS0_4lessIvEEbEEEE10hipError_tPvRmT1_T2_T3_mmT4_T5_P12ihipStream_tbEUlRKtE_EESM_SQ_SR_mSS_SV_bEUlT_E_NS1_11comp_targetILNS1_3genE5ELNS1_11target_archE942ELNS1_3gpuE9ELNS1_3repE0EEENS1_30default_config_static_selectorELNS0_4arch9wavefront6targetE0EEEvSP_
                                        ; -- End function
	.section	.AMDGPU.csdata,"",@progbits
; Kernel info:
; codeLenInByte = 0
; NumSgprs: 0
; NumVgprs: 0
; ScratchSize: 0
; MemoryBound: 0
; FloatMode: 240
; IeeeMode: 1
; LDSByteSize: 0 bytes/workgroup (compile time only)
; SGPRBlocks: 0
; VGPRBlocks: 0
; NumSGPRsForWavesPerEU: 1
; NumVGPRsForWavesPerEU: 1
; Occupancy: 16
; WaveLimiterHint : 0
; COMPUTE_PGM_RSRC2:SCRATCH_EN: 0
; COMPUTE_PGM_RSRC2:USER_SGPR: 15
; COMPUTE_PGM_RSRC2:TRAP_HANDLER: 0
; COMPUTE_PGM_RSRC2:TGID_X_EN: 1
; COMPUTE_PGM_RSRC2:TGID_Y_EN: 0
; COMPUTE_PGM_RSRC2:TGID_Z_EN: 0
; COMPUTE_PGM_RSRC2:TIDIG_COMP_CNT: 0
	.section	.text._ZN7rocprim17ROCPRIM_400000_NS6detail17trampoline_kernelINS0_14default_configENS1_27upper_bound_config_selectorItiEEZNS1_14transform_implILb0ES3_S5_N6thrust23THRUST_200600_302600_NS6detail15normal_iteratorINS8_10device_ptrItEEEENSA_INSB_IiEEEEZNS1_13binary_searchIS3_S5_SD_SD_SF_NS1_21upper_bound_search_opENS9_16wrapped_functionINS0_4lessIvEEbEEEE10hipError_tPvRmT1_T2_T3_mmT4_T5_P12ihipStream_tbEUlRKtE_EESM_SQ_SR_mSS_SV_bEUlT_E_NS1_11comp_targetILNS1_3genE4ELNS1_11target_archE910ELNS1_3gpuE8ELNS1_3repE0EEENS1_30default_config_static_selectorELNS0_4arch9wavefront6targetE0EEEvSP_,"axG",@progbits,_ZN7rocprim17ROCPRIM_400000_NS6detail17trampoline_kernelINS0_14default_configENS1_27upper_bound_config_selectorItiEEZNS1_14transform_implILb0ES3_S5_N6thrust23THRUST_200600_302600_NS6detail15normal_iteratorINS8_10device_ptrItEEEENSA_INSB_IiEEEEZNS1_13binary_searchIS3_S5_SD_SD_SF_NS1_21upper_bound_search_opENS9_16wrapped_functionINS0_4lessIvEEbEEEE10hipError_tPvRmT1_T2_T3_mmT4_T5_P12ihipStream_tbEUlRKtE_EESM_SQ_SR_mSS_SV_bEUlT_E_NS1_11comp_targetILNS1_3genE4ELNS1_11target_archE910ELNS1_3gpuE8ELNS1_3repE0EEENS1_30default_config_static_selectorELNS0_4arch9wavefront6targetE0EEEvSP_,comdat
	.protected	_ZN7rocprim17ROCPRIM_400000_NS6detail17trampoline_kernelINS0_14default_configENS1_27upper_bound_config_selectorItiEEZNS1_14transform_implILb0ES3_S5_N6thrust23THRUST_200600_302600_NS6detail15normal_iteratorINS8_10device_ptrItEEEENSA_INSB_IiEEEEZNS1_13binary_searchIS3_S5_SD_SD_SF_NS1_21upper_bound_search_opENS9_16wrapped_functionINS0_4lessIvEEbEEEE10hipError_tPvRmT1_T2_T3_mmT4_T5_P12ihipStream_tbEUlRKtE_EESM_SQ_SR_mSS_SV_bEUlT_E_NS1_11comp_targetILNS1_3genE4ELNS1_11target_archE910ELNS1_3gpuE8ELNS1_3repE0EEENS1_30default_config_static_selectorELNS0_4arch9wavefront6targetE0EEEvSP_ ; -- Begin function _ZN7rocprim17ROCPRIM_400000_NS6detail17trampoline_kernelINS0_14default_configENS1_27upper_bound_config_selectorItiEEZNS1_14transform_implILb0ES3_S5_N6thrust23THRUST_200600_302600_NS6detail15normal_iteratorINS8_10device_ptrItEEEENSA_INSB_IiEEEEZNS1_13binary_searchIS3_S5_SD_SD_SF_NS1_21upper_bound_search_opENS9_16wrapped_functionINS0_4lessIvEEbEEEE10hipError_tPvRmT1_T2_T3_mmT4_T5_P12ihipStream_tbEUlRKtE_EESM_SQ_SR_mSS_SV_bEUlT_E_NS1_11comp_targetILNS1_3genE4ELNS1_11target_archE910ELNS1_3gpuE8ELNS1_3repE0EEENS1_30default_config_static_selectorELNS0_4arch9wavefront6targetE0EEEvSP_
	.globl	_ZN7rocprim17ROCPRIM_400000_NS6detail17trampoline_kernelINS0_14default_configENS1_27upper_bound_config_selectorItiEEZNS1_14transform_implILb0ES3_S5_N6thrust23THRUST_200600_302600_NS6detail15normal_iteratorINS8_10device_ptrItEEEENSA_INSB_IiEEEEZNS1_13binary_searchIS3_S5_SD_SD_SF_NS1_21upper_bound_search_opENS9_16wrapped_functionINS0_4lessIvEEbEEEE10hipError_tPvRmT1_T2_T3_mmT4_T5_P12ihipStream_tbEUlRKtE_EESM_SQ_SR_mSS_SV_bEUlT_E_NS1_11comp_targetILNS1_3genE4ELNS1_11target_archE910ELNS1_3gpuE8ELNS1_3repE0EEENS1_30default_config_static_selectorELNS0_4arch9wavefront6targetE0EEEvSP_
	.p2align	8
	.type	_ZN7rocprim17ROCPRIM_400000_NS6detail17trampoline_kernelINS0_14default_configENS1_27upper_bound_config_selectorItiEEZNS1_14transform_implILb0ES3_S5_N6thrust23THRUST_200600_302600_NS6detail15normal_iteratorINS8_10device_ptrItEEEENSA_INSB_IiEEEEZNS1_13binary_searchIS3_S5_SD_SD_SF_NS1_21upper_bound_search_opENS9_16wrapped_functionINS0_4lessIvEEbEEEE10hipError_tPvRmT1_T2_T3_mmT4_T5_P12ihipStream_tbEUlRKtE_EESM_SQ_SR_mSS_SV_bEUlT_E_NS1_11comp_targetILNS1_3genE4ELNS1_11target_archE910ELNS1_3gpuE8ELNS1_3repE0EEENS1_30default_config_static_selectorELNS0_4arch9wavefront6targetE0EEEvSP_,@function
_ZN7rocprim17ROCPRIM_400000_NS6detail17trampoline_kernelINS0_14default_configENS1_27upper_bound_config_selectorItiEEZNS1_14transform_implILb0ES3_S5_N6thrust23THRUST_200600_302600_NS6detail15normal_iteratorINS8_10device_ptrItEEEENSA_INSB_IiEEEEZNS1_13binary_searchIS3_S5_SD_SD_SF_NS1_21upper_bound_search_opENS9_16wrapped_functionINS0_4lessIvEEbEEEE10hipError_tPvRmT1_T2_T3_mmT4_T5_P12ihipStream_tbEUlRKtE_EESM_SQ_SR_mSS_SV_bEUlT_E_NS1_11comp_targetILNS1_3genE4ELNS1_11target_archE910ELNS1_3gpuE8ELNS1_3repE0EEENS1_30default_config_static_selectorELNS0_4arch9wavefront6targetE0EEEvSP_: ; @_ZN7rocprim17ROCPRIM_400000_NS6detail17trampoline_kernelINS0_14default_configENS1_27upper_bound_config_selectorItiEEZNS1_14transform_implILb0ES3_S5_N6thrust23THRUST_200600_302600_NS6detail15normal_iteratorINS8_10device_ptrItEEEENSA_INSB_IiEEEEZNS1_13binary_searchIS3_S5_SD_SD_SF_NS1_21upper_bound_search_opENS9_16wrapped_functionINS0_4lessIvEEbEEEE10hipError_tPvRmT1_T2_T3_mmT4_T5_P12ihipStream_tbEUlRKtE_EESM_SQ_SR_mSS_SV_bEUlT_E_NS1_11comp_targetILNS1_3genE4ELNS1_11target_archE910ELNS1_3gpuE8ELNS1_3repE0EEENS1_30default_config_static_selectorELNS0_4arch9wavefront6targetE0EEEvSP_
; %bb.0:
	.section	.rodata,"a",@progbits
	.p2align	6, 0x0
	.amdhsa_kernel _ZN7rocprim17ROCPRIM_400000_NS6detail17trampoline_kernelINS0_14default_configENS1_27upper_bound_config_selectorItiEEZNS1_14transform_implILb0ES3_S5_N6thrust23THRUST_200600_302600_NS6detail15normal_iteratorINS8_10device_ptrItEEEENSA_INSB_IiEEEEZNS1_13binary_searchIS3_S5_SD_SD_SF_NS1_21upper_bound_search_opENS9_16wrapped_functionINS0_4lessIvEEbEEEE10hipError_tPvRmT1_T2_T3_mmT4_T5_P12ihipStream_tbEUlRKtE_EESM_SQ_SR_mSS_SV_bEUlT_E_NS1_11comp_targetILNS1_3genE4ELNS1_11target_archE910ELNS1_3gpuE8ELNS1_3repE0EEENS1_30default_config_static_selectorELNS0_4arch9wavefront6targetE0EEEvSP_
		.amdhsa_group_segment_fixed_size 0
		.amdhsa_private_segment_fixed_size 0
		.amdhsa_kernarg_size 56
		.amdhsa_user_sgpr_count 15
		.amdhsa_user_sgpr_dispatch_ptr 0
		.amdhsa_user_sgpr_queue_ptr 0
		.amdhsa_user_sgpr_kernarg_segment_ptr 1
		.amdhsa_user_sgpr_dispatch_id 0
		.amdhsa_user_sgpr_private_segment_size 0
		.amdhsa_wavefront_size32 1
		.amdhsa_uses_dynamic_stack 0
		.amdhsa_enable_private_segment 0
		.amdhsa_system_sgpr_workgroup_id_x 1
		.amdhsa_system_sgpr_workgroup_id_y 0
		.amdhsa_system_sgpr_workgroup_id_z 0
		.amdhsa_system_sgpr_workgroup_info 0
		.amdhsa_system_vgpr_workitem_id 0
		.amdhsa_next_free_vgpr 1
		.amdhsa_next_free_sgpr 1
		.amdhsa_reserve_vcc 0
		.amdhsa_float_round_mode_32 0
		.amdhsa_float_round_mode_16_64 0
		.amdhsa_float_denorm_mode_32 3
		.amdhsa_float_denorm_mode_16_64 3
		.amdhsa_dx10_clamp 1
		.amdhsa_ieee_mode 1
		.amdhsa_fp16_overflow 0
		.amdhsa_workgroup_processor_mode 1
		.amdhsa_memory_ordered 1
		.amdhsa_forward_progress 0
		.amdhsa_shared_vgpr_count 0
		.amdhsa_exception_fp_ieee_invalid_op 0
		.amdhsa_exception_fp_denorm_src 0
		.amdhsa_exception_fp_ieee_div_zero 0
		.amdhsa_exception_fp_ieee_overflow 0
		.amdhsa_exception_fp_ieee_underflow 0
		.amdhsa_exception_fp_ieee_inexact 0
		.amdhsa_exception_int_div_zero 0
	.end_amdhsa_kernel
	.section	.text._ZN7rocprim17ROCPRIM_400000_NS6detail17trampoline_kernelINS0_14default_configENS1_27upper_bound_config_selectorItiEEZNS1_14transform_implILb0ES3_S5_N6thrust23THRUST_200600_302600_NS6detail15normal_iteratorINS8_10device_ptrItEEEENSA_INSB_IiEEEEZNS1_13binary_searchIS3_S5_SD_SD_SF_NS1_21upper_bound_search_opENS9_16wrapped_functionINS0_4lessIvEEbEEEE10hipError_tPvRmT1_T2_T3_mmT4_T5_P12ihipStream_tbEUlRKtE_EESM_SQ_SR_mSS_SV_bEUlT_E_NS1_11comp_targetILNS1_3genE4ELNS1_11target_archE910ELNS1_3gpuE8ELNS1_3repE0EEENS1_30default_config_static_selectorELNS0_4arch9wavefront6targetE0EEEvSP_,"axG",@progbits,_ZN7rocprim17ROCPRIM_400000_NS6detail17trampoline_kernelINS0_14default_configENS1_27upper_bound_config_selectorItiEEZNS1_14transform_implILb0ES3_S5_N6thrust23THRUST_200600_302600_NS6detail15normal_iteratorINS8_10device_ptrItEEEENSA_INSB_IiEEEEZNS1_13binary_searchIS3_S5_SD_SD_SF_NS1_21upper_bound_search_opENS9_16wrapped_functionINS0_4lessIvEEbEEEE10hipError_tPvRmT1_T2_T3_mmT4_T5_P12ihipStream_tbEUlRKtE_EESM_SQ_SR_mSS_SV_bEUlT_E_NS1_11comp_targetILNS1_3genE4ELNS1_11target_archE910ELNS1_3gpuE8ELNS1_3repE0EEENS1_30default_config_static_selectorELNS0_4arch9wavefront6targetE0EEEvSP_,comdat
.Lfunc_end368:
	.size	_ZN7rocprim17ROCPRIM_400000_NS6detail17trampoline_kernelINS0_14default_configENS1_27upper_bound_config_selectorItiEEZNS1_14transform_implILb0ES3_S5_N6thrust23THRUST_200600_302600_NS6detail15normal_iteratorINS8_10device_ptrItEEEENSA_INSB_IiEEEEZNS1_13binary_searchIS3_S5_SD_SD_SF_NS1_21upper_bound_search_opENS9_16wrapped_functionINS0_4lessIvEEbEEEE10hipError_tPvRmT1_T2_T3_mmT4_T5_P12ihipStream_tbEUlRKtE_EESM_SQ_SR_mSS_SV_bEUlT_E_NS1_11comp_targetILNS1_3genE4ELNS1_11target_archE910ELNS1_3gpuE8ELNS1_3repE0EEENS1_30default_config_static_selectorELNS0_4arch9wavefront6targetE0EEEvSP_, .Lfunc_end368-_ZN7rocprim17ROCPRIM_400000_NS6detail17trampoline_kernelINS0_14default_configENS1_27upper_bound_config_selectorItiEEZNS1_14transform_implILb0ES3_S5_N6thrust23THRUST_200600_302600_NS6detail15normal_iteratorINS8_10device_ptrItEEEENSA_INSB_IiEEEEZNS1_13binary_searchIS3_S5_SD_SD_SF_NS1_21upper_bound_search_opENS9_16wrapped_functionINS0_4lessIvEEbEEEE10hipError_tPvRmT1_T2_T3_mmT4_T5_P12ihipStream_tbEUlRKtE_EESM_SQ_SR_mSS_SV_bEUlT_E_NS1_11comp_targetILNS1_3genE4ELNS1_11target_archE910ELNS1_3gpuE8ELNS1_3repE0EEENS1_30default_config_static_selectorELNS0_4arch9wavefront6targetE0EEEvSP_
                                        ; -- End function
	.section	.AMDGPU.csdata,"",@progbits
; Kernel info:
; codeLenInByte = 0
; NumSgprs: 0
; NumVgprs: 0
; ScratchSize: 0
; MemoryBound: 0
; FloatMode: 240
; IeeeMode: 1
; LDSByteSize: 0 bytes/workgroup (compile time only)
; SGPRBlocks: 0
; VGPRBlocks: 0
; NumSGPRsForWavesPerEU: 1
; NumVGPRsForWavesPerEU: 1
; Occupancy: 16
; WaveLimiterHint : 0
; COMPUTE_PGM_RSRC2:SCRATCH_EN: 0
; COMPUTE_PGM_RSRC2:USER_SGPR: 15
; COMPUTE_PGM_RSRC2:TRAP_HANDLER: 0
; COMPUTE_PGM_RSRC2:TGID_X_EN: 1
; COMPUTE_PGM_RSRC2:TGID_Y_EN: 0
; COMPUTE_PGM_RSRC2:TGID_Z_EN: 0
; COMPUTE_PGM_RSRC2:TIDIG_COMP_CNT: 0
	.section	.text._ZN7rocprim17ROCPRIM_400000_NS6detail17trampoline_kernelINS0_14default_configENS1_27upper_bound_config_selectorItiEEZNS1_14transform_implILb0ES3_S5_N6thrust23THRUST_200600_302600_NS6detail15normal_iteratorINS8_10device_ptrItEEEENSA_INSB_IiEEEEZNS1_13binary_searchIS3_S5_SD_SD_SF_NS1_21upper_bound_search_opENS9_16wrapped_functionINS0_4lessIvEEbEEEE10hipError_tPvRmT1_T2_T3_mmT4_T5_P12ihipStream_tbEUlRKtE_EESM_SQ_SR_mSS_SV_bEUlT_E_NS1_11comp_targetILNS1_3genE3ELNS1_11target_archE908ELNS1_3gpuE7ELNS1_3repE0EEENS1_30default_config_static_selectorELNS0_4arch9wavefront6targetE0EEEvSP_,"axG",@progbits,_ZN7rocprim17ROCPRIM_400000_NS6detail17trampoline_kernelINS0_14default_configENS1_27upper_bound_config_selectorItiEEZNS1_14transform_implILb0ES3_S5_N6thrust23THRUST_200600_302600_NS6detail15normal_iteratorINS8_10device_ptrItEEEENSA_INSB_IiEEEEZNS1_13binary_searchIS3_S5_SD_SD_SF_NS1_21upper_bound_search_opENS9_16wrapped_functionINS0_4lessIvEEbEEEE10hipError_tPvRmT1_T2_T3_mmT4_T5_P12ihipStream_tbEUlRKtE_EESM_SQ_SR_mSS_SV_bEUlT_E_NS1_11comp_targetILNS1_3genE3ELNS1_11target_archE908ELNS1_3gpuE7ELNS1_3repE0EEENS1_30default_config_static_selectorELNS0_4arch9wavefront6targetE0EEEvSP_,comdat
	.protected	_ZN7rocprim17ROCPRIM_400000_NS6detail17trampoline_kernelINS0_14default_configENS1_27upper_bound_config_selectorItiEEZNS1_14transform_implILb0ES3_S5_N6thrust23THRUST_200600_302600_NS6detail15normal_iteratorINS8_10device_ptrItEEEENSA_INSB_IiEEEEZNS1_13binary_searchIS3_S5_SD_SD_SF_NS1_21upper_bound_search_opENS9_16wrapped_functionINS0_4lessIvEEbEEEE10hipError_tPvRmT1_T2_T3_mmT4_T5_P12ihipStream_tbEUlRKtE_EESM_SQ_SR_mSS_SV_bEUlT_E_NS1_11comp_targetILNS1_3genE3ELNS1_11target_archE908ELNS1_3gpuE7ELNS1_3repE0EEENS1_30default_config_static_selectorELNS0_4arch9wavefront6targetE0EEEvSP_ ; -- Begin function _ZN7rocprim17ROCPRIM_400000_NS6detail17trampoline_kernelINS0_14default_configENS1_27upper_bound_config_selectorItiEEZNS1_14transform_implILb0ES3_S5_N6thrust23THRUST_200600_302600_NS6detail15normal_iteratorINS8_10device_ptrItEEEENSA_INSB_IiEEEEZNS1_13binary_searchIS3_S5_SD_SD_SF_NS1_21upper_bound_search_opENS9_16wrapped_functionINS0_4lessIvEEbEEEE10hipError_tPvRmT1_T2_T3_mmT4_T5_P12ihipStream_tbEUlRKtE_EESM_SQ_SR_mSS_SV_bEUlT_E_NS1_11comp_targetILNS1_3genE3ELNS1_11target_archE908ELNS1_3gpuE7ELNS1_3repE0EEENS1_30default_config_static_selectorELNS0_4arch9wavefront6targetE0EEEvSP_
	.globl	_ZN7rocprim17ROCPRIM_400000_NS6detail17trampoline_kernelINS0_14default_configENS1_27upper_bound_config_selectorItiEEZNS1_14transform_implILb0ES3_S5_N6thrust23THRUST_200600_302600_NS6detail15normal_iteratorINS8_10device_ptrItEEEENSA_INSB_IiEEEEZNS1_13binary_searchIS3_S5_SD_SD_SF_NS1_21upper_bound_search_opENS9_16wrapped_functionINS0_4lessIvEEbEEEE10hipError_tPvRmT1_T2_T3_mmT4_T5_P12ihipStream_tbEUlRKtE_EESM_SQ_SR_mSS_SV_bEUlT_E_NS1_11comp_targetILNS1_3genE3ELNS1_11target_archE908ELNS1_3gpuE7ELNS1_3repE0EEENS1_30default_config_static_selectorELNS0_4arch9wavefront6targetE0EEEvSP_
	.p2align	8
	.type	_ZN7rocprim17ROCPRIM_400000_NS6detail17trampoline_kernelINS0_14default_configENS1_27upper_bound_config_selectorItiEEZNS1_14transform_implILb0ES3_S5_N6thrust23THRUST_200600_302600_NS6detail15normal_iteratorINS8_10device_ptrItEEEENSA_INSB_IiEEEEZNS1_13binary_searchIS3_S5_SD_SD_SF_NS1_21upper_bound_search_opENS9_16wrapped_functionINS0_4lessIvEEbEEEE10hipError_tPvRmT1_T2_T3_mmT4_T5_P12ihipStream_tbEUlRKtE_EESM_SQ_SR_mSS_SV_bEUlT_E_NS1_11comp_targetILNS1_3genE3ELNS1_11target_archE908ELNS1_3gpuE7ELNS1_3repE0EEENS1_30default_config_static_selectorELNS0_4arch9wavefront6targetE0EEEvSP_,@function
_ZN7rocprim17ROCPRIM_400000_NS6detail17trampoline_kernelINS0_14default_configENS1_27upper_bound_config_selectorItiEEZNS1_14transform_implILb0ES3_S5_N6thrust23THRUST_200600_302600_NS6detail15normal_iteratorINS8_10device_ptrItEEEENSA_INSB_IiEEEEZNS1_13binary_searchIS3_S5_SD_SD_SF_NS1_21upper_bound_search_opENS9_16wrapped_functionINS0_4lessIvEEbEEEE10hipError_tPvRmT1_T2_T3_mmT4_T5_P12ihipStream_tbEUlRKtE_EESM_SQ_SR_mSS_SV_bEUlT_E_NS1_11comp_targetILNS1_3genE3ELNS1_11target_archE908ELNS1_3gpuE7ELNS1_3repE0EEENS1_30default_config_static_selectorELNS0_4arch9wavefront6targetE0EEEvSP_: ; @_ZN7rocprim17ROCPRIM_400000_NS6detail17trampoline_kernelINS0_14default_configENS1_27upper_bound_config_selectorItiEEZNS1_14transform_implILb0ES3_S5_N6thrust23THRUST_200600_302600_NS6detail15normal_iteratorINS8_10device_ptrItEEEENSA_INSB_IiEEEEZNS1_13binary_searchIS3_S5_SD_SD_SF_NS1_21upper_bound_search_opENS9_16wrapped_functionINS0_4lessIvEEbEEEE10hipError_tPvRmT1_T2_T3_mmT4_T5_P12ihipStream_tbEUlRKtE_EESM_SQ_SR_mSS_SV_bEUlT_E_NS1_11comp_targetILNS1_3genE3ELNS1_11target_archE908ELNS1_3gpuE7ELNS1_3repE0EEENS1_30default_config_static_selectorELNS0_4arch9wavefront6targetE0EEEvSP_
; %bb.0:
	.section	.rodata,"a",@progbits
	.p2align	6, 0x0
	.amdhsa_kernel _ZN7rocprim17ROCPRIM_400000_NS6detail17trampoline_kernelINS0_14default_configENS1_27upper_bound_config_selectorItiEEZNS1_14transform_implILb0ES3_S5_N6thrust23THRUST_200600_302600_NS6detail15normal_iteratorINS8_10device_ptrItEEEENSA_INSB_IiEEEEZNS1_13binary_searchIS3_S5_SD_SD_SF_NS1_21upper_bound_search_opENS9_16wrapped_functionINS0_4lessIvEEbEEEE10hipError_tPvRmT1_T2_T3_mmT4_T5_P12ihipStream_tbEUlRKtE_EESM_SQ_SR_mSS_SV_bEUlT_E_NS1_11comp_targetILNS1_3genE3ELNS1_11target_archE908ELNS1_3gpuE7ELNS1_3repE0EEENS1_30default_config_static_selectorELNS0_4arch9wavefront6targetE0EEEvSP_
		.amdhsa_group_segment_fixed_size 0
		.amdhsa_private_segment_fixed_size 0
		.amdhsa_kernarg_size 56
		.amdhsa_user_sgpr_count 15
		.amdhsa_user_sgpr_dispatch_ptr 0
		.amdhsa_user_sgpr_queue_ptr 0
		.amdhsa_user_sgpr_kernarg_segment_ptr 1
		.amdhsa_user_sgpr_dispatch_id 0
		.amdhsa_user_sgpr_private_segment_size 0
		.amdhsa_wavefront_size32 1
		.amdhsa_uses_dynamic_stack 0
		.amdhsa_enable_private_segment 0
		.amdhsa_system_sgpr_workgroup_id_x 1
		.amdhsa_system_sgpr_workgroup_id_y 0
		.amdhsa_system_sgpr_workgroup_id_z 0
		.amdhsa_system_sgpr_workgroup_info 0
		.amdhsa_system_vgpr_workitem_id 0
		.amdhsa_next_free_vgpr 1
		.amdhsa_next_free_sgpr 1
		.amdhsa_reserve_vcc 0
		.amdhsa_float_round_mode_32 0
		.amdhsa_float_round_mode_16_64 0
		.amdhsa_float_denorm_mode_32 3
		.amdhsa_float_denorm_mode_16_64 3
		.amdhsa_dx10_clamp 1
		.amdhsa_ieee_mode 1
		.amdhsa_fp16_overflow 0
		.amdhsa_workgroup_processor_mode 1
		.amdhsa_memory_ordered 1
		.amdhsa_forward_progress 0
		.amdhsa_shared_vgpr_count 0
		.amdhsa_exception_fp_ieee_invalid_op 0
		.amdhsa_exception_fp_denorm_src 0
		.amdhsa_exception_fp_ieee_div_zero 0
		.amdhsa_exception_fp_ieee_overflow 0
		.amdhsa_exception_fp_ieee_underflow 0
		.amdhsa_exception_fp_ieee_inexact 0
		.amdhsa_exception_int_div_zero 0
	.end_amdhsa_kernel
	.section	.text._ZN7rocprim17ROCPRIM_400000_NS6detail17trampoline_kernelINS0_14default_configENS1_27upper_bound_config_selectorItiEEZNS1_14transform_implILb0ES3_S5_N6thrust23THRUST_200600_302600_NS6detail15normal_iteratorINS8_10device_ptrItEEEENSA_INSB_IiEEEEZNS1_13binary_searchIS3_S5_SD_SD_SF_NS1_21upper_bound_search_opENS9_16wrapped_functionINS0_4lessIvEEbEEEE10hipError_tPvRmT1_T2_T3_mmT4_T5_P12ihipStream_tbEUlRKtE_EESM_SQ_SR_mSS_SV_bEUlT_E_NS1_11comp_targetILNS1_3genE3ELNS1_11target_archE908ELNS1_3gpuE7ELNS1_3repE0EEENS1_30default_config_static_selectorELNS0_4arch9wavefront6targetE0EEEvSP_,"axG",@progbits,_ZN7rocprim17ROCPRIM_400000_NS6detail17trampoline_kernelINS0_14default_configENS1_27upper_bound_config_selectorItiEEZNS1_14transform_implILb0ES3_S5_N6thrust23THRUST_200600_302600_NS6detail15normal_iteratorINS8_10device_ptrItEEEENSA_INSB_IiEEEEZNS1_13binary_searchIS3_S5_SD_SD_SF_NS1_21upper_bound_search_opENS9_16wrapped_functionINS0_4lessIvEEbEEEE10hipError_tPvRmT1_T2_T3_mmT4_T5_P12ihipStream_tbEUlRKtE_EESM_SQ_SR_mSS_SV_bEUlT_E_NS1_11comp_targetILNS1_3genE3ELNS1_11target_archE908ELNS1_3gpuE7ELNS1_3repE0EEENS1_30default_config_static_selectorELNS0_4arch9wavefront6targetE0EEEvSP_,comdat
.Lfunc_end369:
	.size	_ZN7rocprim17ROCPRIM_400000_NS6detail17trampoline_kernelINS0_14default_configENS1_27upper_bound_config_selectorItiEEZNS1_14transform_implILb0ES3_S5_N6thrust23THRUST_200600_302600_NS6detail15normal_iteratorINS8_10device_ptrItEEEENSA_INSB_IiEEEEZNS1_13binary_searchIS3_S5_SD_SD_SF_NS1_21upper_bound_search_opENS9_16wrapped_functionINS0_4lessIvEEbEEEE10hipError_tPvRmT1_T2_T3_mmT4_T5_P12ihipStream_tbEUlRKtE_EESM_SQ_SR_mSS_SV_bEUlT_E_NS1_11comp_targetILNS1_3genE3ELNS1_11target_archE908ELNS1_3gpuE7ELNS1_3repE0EEENS1_30default_config_static_selectorELNS0_4arch9wavefront6targetE0EEEvSP_, .Lfunc_end369-_ZN7rocprim17ROCPRIM_400000_NS6detail17trampoline_kernelINS0_14default_configENS1_27upper_bound_config_selectorItiEEZNS1_14transform_implILb0ES3_S5_N6thrust23THRUST_200600_302600_NS6detail15normal_iteratorINS8_10device_ptrItEEEENSA_INSB_IiEEEEZNS1_13binary_searchIS3_S5_SD_SD_SF_NS1_21upper_bound_search_opENS9_16wrapped_functionINS0_4lessIvEEbEEEE10hipError_tPvRmT1_T2_T3_mmT4_T5_P12ihipStream_tbEUlRKtE_EESM_SQ_SR_mSS_SV_bEUlT_E_NS1_11comp_targetILNS1_3genE3ELNS1_11target_archE908ELNS1_3gpuE7ELNS1_3repE0EEENS1_30default_config_static_selectorELNS0_4arch9wavefront6targetE0EEEvSP_
                                        ; -- End function
	.section	.AMDGPU.csdata,"",@progbits
; Kernel info:
; codeLenInByte = 0
; NumSgprs: 0
; NumVgprs: 0
; ScratchSize: 0
; MemoryBound: 0
; FloatMode: 240
; IeeeMode: 1
; LDSByteSize: 0 bytes/workgroup (compile time only)
; SGPRBlocks: 0
; VGPRBlocks: 0
; NumSGPRsForWavesPerEU: 1
; NumVGPRsForWavesPerEU: 1
; Occupancy: 16
; WaveLimiterHint : 0
; COMPUTE_PGM_RSRC2:SCRATCH_EN: 0
; COMPUTE_PGM_RSRC2:USER_SGPR: 15
; COMPUTE_PGM_RSRC2:TRAP_HANDLER: 0
; COMPUTE_PGM_RSRC2:TGID_X_EN: 1
; COMPUTE_PGM_RSRC2:TGID_Y_EN: 0
; COMPUTE_PGM_RSRC2:TGID_Z_EN: 0
; COMPUTE_PGM_RSRC2:TIDIG_COMP_CNT: 0
	.section	.text._ZN7rocprim17ROCPRIM_400000_NS6detail17trampoline_kernelINS0_14default_configENS1_27upper_bound_config_selectorItiEEZNS1_14transform_implILb0ES3_S5_N6thrust23THRUST_200600_302600_NS6detail15normal_iteratorINS8_10device_ptrItEEEENSA_INSB_IiEEEEZNS1_13binary_searchIS3_S5_SD_SD_SF_NS1_21upper_bound_search_opENS9_16wrapped_functionINS0_4lessIvEEbEEEE10hipError_tPvRmT1_T2_T3_mmT4_T5_P12ihipStream_tbEUlRKtE_EESM_SQ_SR_mSS_SV_bEUlT_E_NS1_11comp_targetILNS1_3genE2ELNS1_11target_archE906ELNS1_3gpuE6ELNS1_3repE0EEENS1_30default_config_static_selectorELNS0_4arch9wavefront6targetE0EEEvSP_,"axG",@progbits,_ZN7rocprim17ROCPRIM_400000_NS6detail17trampoline_kernelINS0_14default_configENS1_27upper_bound_config_selectorItiEEZNS1_14transform_implILb0ES3_S5_N6thrust23THRUST_200600_302600_NS6detail15normal_iteratorINS8_10device_ptrItEEEENSA_INSB_IiEEEEZNS1_13binary_searchIS3_S5_SD_SD_SF_NS1_21upper_bound_search_opENS9_16wrapped_functionINS0_4lessIvEEbEEEE10hipError_tPvRmT1_T2_T3_mmT4_T5_P12ihipStream_tbEUlRKtE_EESM_SQ_SR_mSS_SV_bEUlT_E_NS1_11comp_targetILNS1_3genE2ELNS1_11target_archE906ELNS1_3gpuE6ELNS1_3repE0EEENS1_30default_config_static_selectorELNS0_4arch9wavefront6targetE0EEEvSP_,comdat
	.protected	_ZN7rocprim17ROCPRIM_400000_NS6detail17trampoline_kernelINS0_14default_configENS1_27upper_bound_config_selectorItiEEZNS1_14transform_implILb0ES3_S5_N6thrust23THRUST_200600_302600_NS6detail15normal_iteratorINS8_10device_ptrItEEEENSA_INSB_IiEEEEZNS1_13binary_searchIS3_S5_SD_SD_SF_NS1_21upper_bound_search_opENS9_16wrapped_functionINS0_4lessIvEEbEEEE10hipError_tPvRmT1_T2_T3_mmT4_T5_P12ihipStream_tbEUlRKtE_EESM_SQ_SR_mSS_SV_bEUlT_E_NS1_11comp_targetILNS1_3genE2ELNS1_11target_archE906ELNS1_3gpuE6ELNS1_3repE0EEENS1_30default_config_static_selectorELNS0_4arch9wavefront6targetE0EEEvSP_ ; -- Begin function _ZN7rocprim17ROCPRIM_400000_NS6detail17trampoline_kernelINS0_14default_configENS1_27upper_bound_config_selectorItiEEZNS1_14transform_implILb0ES3_S5_N6thrust23THRUST_200600_302600_NS6detail15normal_iteratorINS8_10device_ptrItEEEENSA_INSB_IiEEEEZNS1_13binary_searchIS3_S5_SD_SD_SF_NS1_21upper_bound_search_opENS9_16wrapped_functionINS0_4lessIvEEbEEEE10hipError_tPvRmT1_T2_T3_mmT4_T5_P12ihipStream_tbEUlRKtE_EESM_SQ_SR_mSS_SV_bEUlT_E_NS1_11comp_targetILNS1_3genE2ELNS1_11target_archE906ELNS1_3gpuE6ELNS1_3repE0EEENS1_30default_config_static_selectorELNS0_4arch9wavefront6targetE0EEEvSP_
	.globl	_ZN7rocprim17ROCPRIM_400000_NS6detail17trampoline_kernelINS0_14default_configENS1_27upper_bound_config_selectorItiEEZNS1_14transform_implILb0ES3_S5_N6thrust23THRUST_200600_302600_NS6detail15normal_iteratorINS8_10device_ptrItEEEENSA_INSB_IiEEEEZNS1_13binary_searchIS3_S5_SD_SD_SF_NS1_21upper_bound_search_opENS9_16wrapped_functionINS0_4lessIvEEbEEEE10hipError_tPvRmT1_T2_T3_mmT4_T5_P12ihipStream_tbEUlRKtE_EESM_SQ_SR_mSS_SV_bEUlT_E_NS1_11comp_targetILNS1_3genE2ELNS1_11target_archE906ELNS1_3gpuE6ELNS1_3repE0EEENS1_30default_config_static_selectorELNS0_4arch9wavefront6targetE0EEEvSP_
	.p2align	8
	.type	_ZN7rocprim17ROCPRIM_400000_NS6detail17trampoline_kernelINS0_14default_configENS1_27upper_bound_config_selectorItiEEZNS1_14transform_implILb0ES3_S5_N6thrust23THRUST_200600_302600_NS6detail15normal_iteratorINS8_10device_ptrItEEEENSA_INSB_IiEEEEZNS1_13binary_searchIS3_S5_SD_SD_SF_NS1_21upper_bound_search_opENS9_16wrapped_functionINS0_4lessIvEEbEEEE10hipError_tPvRmT1_T2_T3_mmT4_T5_P12ihipStream_tbEUlRKtE_EESM_SQ_SR_mSS_SV_bEUlT_E_NS1_11comp_targetILNS1_3genE2ELNS1_11target_archE906ELNS1_3gpuE6ELNS1_3repE0EEENS1_30default_config_static_selectorELNS0_4arch9wavefront6targetE0EEEvSP_,@function
_ZN7rocprim17ROCPRIM_400000_NS6detail17trampoline_kernelINS0_14default_configENS1_27upper_bound_config_selectorItiEEZNS1_14transform_implILb0ES3_S5_N6thrust23THRUST_200600_302600_NS6detail15normal_iteratorINS8_10device_ptrItEEEENSA_INSB_IiEEEEZNS1_13binary_searchIS3_S5_SD_SD_SF_NS1_21upper_bound_search_opENS9_16wrapped_functionINS0_4lessIvEEbEEEE10hipError_tPvRmT1_T2_T3_mmT4_T5_P12ihipStream_tbEUlRKtE_EESM_SQ_SR_mSS_SV_bEUlT_E_NS1_11comp_targetILNS1_3genE2ELNS1_11target_archE906ELNS1_3gpuE6ELNS1_3repE0EEENS1_30default_config_static_selectorELNS0_4arch9wavefront6targetE0EEEvSP_: ; @_ZN7rocprim17ROCPRIM_400000_NS6detail17trampoline_kernelINS0_14default_configENS1_27upper_bound_config_selectorItiEEZNS1_14transform_implILb0ES3_S5_N6thrust23THRUST_200600_302600_NS6detail15normal_iteratorINS8_10device_ptrItEEEENSA_INSB_IiEEEEZNS1_13binary_searchIS3_S5_SD_SD_SF_NS1_21upper_bound_search_opENS9_16wrapped_functionINS0_4lessIvEEbEEEE10hipError_tPvRmT1_T2_T3_mmT4_T5_P12ihipStream_tbEUlRKtE_EESM_SQ_SR_mSS_SV_bEUlT_E_NS1_11comp_targetILNS1_3genE2ELNS1_11target_archE906ELNS1_3gpuE6ELNS1_3repE0EEENS1_30default_config_static_selectorELNS0_4arch9wavefront6targetE0EEEvSP_
; %bb.0:
	.section	.rodata,"a",@progbits
	.p2align	6, 0x0
	.amdhsa_kernel _ZN7rocprim17ROCPRIM_400000_NS6detail17trampoline_kernelINS0_14default_configENS1_27upper_bound_config_selectorItiEEZNS1_14transform_implILb0ES3_S5_N6thrust23THRUST_200600_302600_NS6detail15normal_iteratorINS8_10device_ptrItEEEENSA_INSB_IiEEEEZNS1_13binary_searchIS3_S5_SD_SD_SF_NS1_21upper_bound_search_opENS9_16wrapped_functionINS0_4lessIvEEbEEEE10hipError_tPvRmT1_T2_T3_mmT4_T5_P12ihipStream_tbEUlRKtE_EESM_SQ_SR_mSS_SV_bEUlT_E_NS1_11comp_targetILNS1_3genE2ELNS1_11target_archE906ELNS1_3gpuE6ELNS1_3repE0EEENS1_30default_config_static_selectorELNS0_4arch9wavefront6targetE0EEEvSP_
		.amdhsa_group_segment_fixed_size 0
		.amdhsa_private_segment_fixed_size 0
		.amdhsa_kernarg_size 56
		.amdhsa_user_sgpr_count 15
		.amdhsa_user_sgpr_dispatch_ptr 0
		.amdhsa_user_sgpr_queue_ptr 0
		.amdhsa_user_sgpr_kernarg_segment_ptr 1
		.amdhsa_user_sgpr_dispatch_id 0
		.amdhsa_user_sgpr_private_segment_size 0
		.amdhsa_wavefront_size32 1
		.amdhsa_uses_dynamic_stack 0
		.amdhsa_enable_private_segment 0
		.amdhsa_system_sgpr_workgroup_id_x 1
		.amdhsa_system_sgpr_workgroup_id_y 0
		.amdhsa_system_sgpr_workgroup_id_z 0
		.amdhsa_system_sgpr_workgroup_info 0
		.amdhsa_system_vgpr_workitem_id 0
		.amdhsa_next_free_vgpr 1
		.amdhsa_next_free_sgpr 1
		.amdhsa_reserve_vcc 0
		.amdhsa_float_round_mode_32 0
		.amdhsa_float_round_mode_16_64 0
		.amdhsa_float_denorm_mode_32 3
		.amdhsa_float_denorm_mode_16_64 3
		.amdhsa_dx10_clamp 1
		.amdhsa_ieee_mode 1
		.amdhsa_fp16_overflow 0
		.amdhsa_workgroup_processor_mode 1
		.amdhsa_memory_ordered 1
		.amdhsa_forward_progress 0
		.amdhsa_shared_vgpr_count 0
		.amdhsa_exception_fp_ieee_invalid_op 0
		.amdhsa_exception_fp_denorm_src 0
		.amdhsa_exception_fp_ieee_div_zero 0
		.amdhsa_exception_fp_ieee_overflow 0
		.amdhsa_exception_fp_ieee_underflow 0
		.amdhsa_exception_fp_ieee_inexact 0
		.amdhsa_exception_int_div_zero 0
	.end_amdhsa_kernel
	.section	.text._ZN7rocprim17ROCPRIM_400000_NS6detail17trampoline_kernelINS0_14default_configENS1_27upper_bound_config_selectorItiEEZNS1_14transform_implILb0ES3_S5_N6thrust23THRUST_200600_302600_NS6detail15normal_iteratorINS8_10device_ptrItEEEENSA_INSB_IiEEEEZNS1_13binary_searchIS3_S5_SD_SD_SF_NS1_21upper_bound_search_opENS9_16wrapped_functionINS0_4lessIvEEbEEEE10hipError_tPvRmT1_T2_T3_mmT4_T5_P12ihipStream_tbEUlRKtE_EESM_SQ_SR_mSS_SV_bEUlT_E_NS1_11comp_targetILNS1_3genE2ELNS1_11target_archE906ELNS1_3gpuE6ELNS1_3repE0EEENS1_30default_config_static_selectorELNS0_4arch9wavefront6targetE0EEEvSP_,"axG",@progbits,_ZN7rocprim17ROCPRIM_400000_NS6detail17trampoline_kernelINS0_14default_configENS1_27upper_bound_config_selectorItiEEZNS1_14transform_implILb0ES3_S5_N6thrust23THRUST_200600_302600_NS6detail15normal_iteratorINS8_10device_ptrItEEEENSA_INSB_IiEEEEZNS1_13binary_searchIS3_S5_SD_SD_SF_NS1_21upper_bound_search_opENS9_16wrapped_functionINS0_4lessIvEEbEEEE10hipError_tPvRmT1_T2_T3_mmT4_T5_P12ihipStream_tbEUlRKtE_EESM_SQ_SR_mSS_SV_bEUlT_E_NS1_11comp_targetILNS1_3genE2ELNS1_11target_archE906ELNS1_3gpuE6ELNS1_3repE0EEENS1_30default_config_static_selectorELNS0_4arch9wavefront6targetE0EEEvSP_,comdat
.Lfunc_end370:
	.size	_ZN7rocprim17ROCPRIM_400000_NS6detail17trampoline_kernelINS0_14default_configENS1_27upper_bound_config_selectorItiEEZNS1_14transform_implILb0ES3_S5_N6thrust23THRUST_200600_302600_NS6detail15normal_iteratorINS8_10device_ptrItEEEENSA_INSB_IiEEEEZNS1_13binary_searchIS3_S5_SD_SD_SF_NS1_21upper_bound_search_opENS9_16wrapped_functionINS0_4lessIvEEbEEEE10hipError_tPvRmT1_T2_T3_mmT4_T5_P12ihipStream_tbEUlRKtE_EESM_SQ_SR_mSS_SV_bEUlT_E_NS1_11comp_targetILNS1_3genE2ELNS1_11target_archE906ELNS1_3gpuE6ELNS1_3repE0EEENS1_30default_config_static_selectorELNS0_4arch9wavefront6targetE0EEEvSP_, .Lfunc_end370-_ZN7rocprim17ROCPRIM_400000_NS6detail17trampoline_kernelINS0_14default_configENS1_27upper_bound_config_selectorItiEEZNS1_14transform_implILb0ES3_S5_N6thrust23THRUST_200600_302600_NS6detail15normal_iteratorINS8_10device_ptrItEEEENSA_INSB_IiEEEEZNS1_13binary_searchIS3_S5_SD_SD_SF_NS1_21upper_bound_search_opENS9_16wrapped_functionINS0_4lessIvEEbEEEE10hipError_tPvRmT1_T2_T3_mmT4_T5_P12ihipStream_tbEUlRKtE_EESM_SQ_SR_mSS_SV_bEUlT_E_NS1_11comp_targetILNS1_3genE2ELNS1_11target_archE906ELNS1_3gpuE6ELNS1_3repE0EEENS1_30default_config_static_selectorELNS0_4arch9wavefront6targetE0EEEvSP_
                                        ; -- End function
	.section	.AMDGPU.csdata,"",@progbits
; Kernel info:
; codeLenInByte = 0
; NumSgprs: 0
; NumVgprs: 0
; ScratchSize: 0
; MemoryBound: 0
; FloatMode: 240
; IeeeMode: 1
; LDSByteSize: 0 bytes/workgroup (compile time only)
; SGPRBlocks: 0
; VGPRBlocks: 0
; NumSGPRsForWavesPerEU: 1
; NumVGPRsForWavesPerEU: 1
; Occupancy: 16
; WaveLimiterHint : 0
; COMPUTE_PGM_RSRC2:SCRATCH_EN: 0
; COMPUTE_PGM_RSRC2:USER_SGPR: 15
; COMPUTE_PGM_RSRC2:TRAP_HANDLER: 0
; COMPUTE_PGM_RSRC2:TGID_X_EN: 1
; COMPUTE_PGM_RSRC2:TGID_Y_EN: 0
; COMPUTE_PGM_RSRC2:TGID_Z_EN: 0
; COMPUTE_PGM_RSRC2:TIDIG_COMP_CNT: 0
	.section	.text._ZN7rocprim17ROCPRIM_400000_NS6detail17trampoline_kernelINS0_14default_configENS1_27upper_bound_config_selectorItiEEZNS1_14transform_implILb0ES3_S5_N6thrust23THRUST_200600_302600_NS6detail15normal_iteratorINS8_10device_ptrItEEEENSA_INSB_IiEEEEZNS1_13binary_searchIS3_S5_SD_SD_SF_NS1_21upper_bound_search_opENS9_16wrapped_functionINS0_4lessIvEEbEEEE10hipError_tPvRmT1_T2_T3_mmT4_T5_P12ihipStream_tbEUlRKtE_EESM_SQ_SR_mSS_SV_bEUlT_E_NS1_11comp_targetILNS1_3genE10ELNS1_11target_archE1201ELNS1_3gpuE5ELNS1_3repE0EEENS1_30default_config_static_selectorELNS0_4arch9wavefront6targetE0EEEvSP_,"axG",@progbits,_ZN7rocprim17ROCPRIM_400000_NS6detail17trampoline_kernelINS0_14default_configENS1_27upper_bound_config_selectorItiEEZNS1_14transform_implILb0ES3_S5_N6thrust23THRUST_200600_302600_NS6detail15normal_iteratorINS8_10device_ptrItEEEENSA_INSB_IiEEEEZNS1_13binary_searchIS3_S5_SD_SD_SF_NS1_21upper_bound_search_opENS9_16wrapped_functionINS0_4lessIvEEbEEEE10hipError_tPvRmT1_T2_T3_mmT4_T5_P12ihipStream_tbEUlRKtE_EESM_SQ_SR_mSS_SV_bEUlT_E_NS1_11comp_targetILNS1_3genE10ELNS1_11target_archE1201ELNS1_3gpuE5ELNS1_3repE0EEENS1_30default_config_static_selectorELNS0_4arch9wavefront6targetE0EEEvSP_,comdat
	.protected	_ZN7rocprim17ROCPRIM_400000_NS6detail17trampoline_kernelINS0_14default_configENS1_27upper_bound_config_selectorItiEEZNS1_14transform_implILb0ES3_S5_N6thrust23THRUST_200600_302600_NS6detail15normal_iteratorINS8_10device_ptrItEEEENSA_INSB_IiEEEEZNS1_13binary_searchIS3_S5_SD_SD_SF_NS1_21upper_bound_search_opENS9_16wrapped_functionINS0_4lessIvEEbEEEE10hipError_tPvRmT1_T2_T3_mmT4_T5_P12ihipStream_tbEUlRKtE_EESM_SQ_SR_mSS_SV_bEUlT_E_NS1_11comp_targetILNS1_3genE10ELNS1_11target_archE1201ELNS1_3gpuE5ELNS1_3repE0EEENS1_30default_config_static_selectorELNS0_4arch9wavefront6targetE0EEEvSP_ ; -- Begin function _ZN7rocprim17ROCPRIM_400000_NS6detail17trampoline_kernelINS0_14default_configENS1_27upper_bound_config_selectorItiEEZNS1_14transform_implILb0ES3_S5_N6thrust23THRUST_200600_302600_NS6detail15normal_iteratorINS8_10device_ptrItEEEENSA_INSB_IiEEEEZNS1_13binary_searchIS3_S5_SD_SD_SF_NS1_21upper_bound_search_opENS9_16wrapped_functionINS0_4lessIvEEbEEEE10hipError_tPvRmT1_T2_T3_mmT4_T5_P12ihipStream_tbEUlRKtE_EESM_SQ_SR_mSS_SV_bEUlT_E_NS1_11comp_targetILNS1_3genE10ELNS1_11target_archE1201ELNS1_3gpuE5ELNS1_3repE0EEENS1_30default_config_static_selectorELNS0_4arch9wavefront6targetE0EEEvSP_
	.globl	_ZN7rocprim17ROCPRIM_400000_NS6detail17trampoline_kernelINS0_14default_configENS1_27upper_bound_config_selectorItiEEZNS1_14transform_implILb0ES3_S5_N6thrust23THRUST_200600_302600_NS6detail15normal_iteratorINS8_10device_ptrItEEEENSA_INSB_IiEEEEZNS1_13binary_searchIS3_S5_SD_SD_SF_NS1_21upper_bound_search_opENS9_16wrapped_functionINS0_4lessIvEEbEEEE10hipError_tPvRmT1_T2_T3_mmT4_T5_P12ihipStream_tbEUlRKtE_EESM_SQ_SR_mSS_SV_bEUlT_E_NS1_11comp_targetILNS1_3genE10ELNS1_11target_archE1201ELNS1_3gpuE5ELNS1_3repE0EEENS1_30default_config_static_selectorELNS0_4arch9wavefront6targetE0EEEvSP_
	.p2align	8
	.type	_ZN7rocprim17ROCPRIM_400000_NS6detail17trampoline_kernelINS0_14default_configENS1_27upper_bound_config_selectorItiEEZNS1_14transform_implILb0ES3_S5_N6thrust23THRUST_200600_302600_NS6detail15normal_iteratorINS8_10device_ptrItEEEENSA_INSB_IiEEEEZNS1_13binary_searchIS3_S5_SD_SD_SF_NS1_21upper_bound_search_opENS9_16wrapped_functionINS0_4lessIvEEbEEEE10hipError_tPvRmT1_T2_T3_mmT4_T5_P12ihipStream_tbEUlRKtE_EESM_SQ_SR_mSS_SV_bEUlT_E_NS1_11comp_targetILNS1_3genE10ELNS1_11target_archE1201ELNS1_3gpuE5ELNS1_3repE0EEENS1_30default_config_static_selectorELNS0_4arch9wavefront6targetE0EEEvSP_,@function
_ZN7rocprim17ROCPRIM_400000_NS6detail17trampoline_kernelINS0_14default_configENS1_27upper_bound_config_selectorItiEEZNS1_14transform_implILb0ES3_S5_N6thrust23THRUST_200600_302600_NS6detail15normal_iteratorINS8_10device_ptrItEEEENSA_INSB_IiEEEEZNS1_13binary_searchIS3_S5_SD_SD_SF_NS1_21upper_bound_search_opENS9_16wrapped_functionINS0_4lessIvEEbEEEE10hipError_tPvRmT1_T2_T3_mmT4_T5_P12ihipStream_tbEUlRKtE_EESM_SQ_SR_mSS_SV_bEUlT_E_NS1_11comp_targetILNS1_3genE10ELNS1_11target_archE1201ELNS1_3gpuE5ELNS1_3repE0EEENS1_30default_config_static_selectorELNS0_4arch9wavefront6targetE0EEEvSP_: ; @_ZN7rocprim17ROCPRIM_400000_NS6detail17trampoline_kernelINS0_14default_configENS1_27upper_bound_config_selectorItiEEZNS1_14transform_implILb0ES3_S5_N6thrust23THRUST_200600_302600_NS6detail15normal_iteratorINS8_10device_ptrItEEEENSA_INSB_IiEEEEZNS1_13binary_searchIS3_S5_SD_SD_SF_NS1_21upper_bound_search_opENS9_16wrapped_functionINS0_4lessIvEEbEEEE10hipError_tPvRmT1_T2_T3_mmT4_T5_P12ihipStream_tbEUlRKtE_EESM_SQ_SR_mSS_SV_bEUlT_E_NS1_11comp_targetILNS1_3genE10ELNS1_11target_archE1201ELNS1_3gpuE5ELNS1_3repE0EEENS1_30default_config_static_selectorELNS0_4arch9wavefront6targetE0EEEvSP_
; %bb.0:
	.section	.rodata,"a",@progbits
	.p2align	6, 0x0
	.amdhsa_kernel _ZN7rocprim17ROCPRIM_400000_NS6detail17trampoline_kernelINS0_14default_configENS1_27upper_bound_config_selectorItiEEZNS1_14transform_implILb0ES3_S5_N6thrust23THRUST_200600_302600_NS6detail15normal_iteratorINS8_10device_ptrItEEEENSA_INSB_IiEEEEZNS1_13binary_searchIS3_S5_SD_SD_SF_NS1_21upper_bound_search_opENS9_16wrapped_functionINS0_4lessIvEEbEEEE10hipError_tPvRmT1_T2_T3_mmT4_T5_P12ihipStream_tbEUlRKtE_EESM_SQ_SR_mSS_SV_bEUlT_E_NS1_11comp_targetILNS1_3genE10ELNS1_11target_archE1201ELNS1_3gpuE5ELNS1_3repE0EEENS1_30default_config_static_selectorELNS0_4arch9wavefront6targetE0EEEvSP_
		.amdhsa_group_segment_fixed_size 0
		.amdhsa_private_segment_fixed_size 0
		.amdhsa_kernarg_size 56
		.amdhsa_user_sgpr_count 15
		.amdhsa_user_sgpr_dispatch_ptr 0
		.amdhsa_user_sgpr_queue_ptr 0
		.amdhsa_user_sgpr_kernarg_segment_ptr 1
		.amdhsa_user_sgpr_dispatch_id 0
		.amdhsa_user_sgpr_private_segment_size 0
		.amdhsa_wavefront_size32 1
		.amdhsa_uses_dynamic_stack 0
		.amdhsa_enable_private_segment 0
		.amdhsa_system_sgpr_workgroup_id_x 1
		.amdhsa_system_sgpr_workgroup_id_y 0
		.amdhsa_system_sgpr_workgroup_id_z 0
		.amdhsa_system_sgpr_workgroup_info 0
		.amdhsa_system_vgpr_workitem_id 0
		.amdhsa_next_free_vgpr 1
		.amdhsa_next_free_sgpr 1
		.amdhsa_reserve_vcc 0
		.amdhsa_float_round_mode_32 0
		.amdhsa_float_round_mode_16_64 0
		.amdhsa_float_denorm_mode_32 3
		.amdhsa_float_denorm_mode_16_64 3
		.amdhsa_dx10_clamp 1
		.amdhsa_ieee_mode 1
		.amdhsa_fp16_overflow 0
		.amdhsa_workgroup_processor_mode 1
		.amdhsa_memory_ordered 1
		.amdhsa_forward_progress 0
		.amdhsa_shared_vgpr_count 0
		.amdhsa_exception_fp_ieee_invalid_op 0
		.amdhsa_exception_fp_denorm_src 0
		.amdhsa_exception_fp_ieee_div_zero 0
		.amdhsa_exception_fp_ieee_overflow 0
		.amdhsa_exception_fp_ieee_underflow 0
		.amdhsa_exception_fp_ieee_inexact 0
		.amdhsa_exception_int_div_zero 0
	.end_amdhsa_kernel
	.section	.text._ZN7rocprim17ROCPRIM_400000_NS6detail17trampoline_kernelINS0_14default_configENS1_27upper_bound_config_selectorItiEEZNS1_14transform_implILb0ES3_S5_N6thrust23THRUST_200600_302600_NS6detail15normal_iteratorINS8_10device_ptrItEEEENSA_INSB_IiEEEEZNS1_13binary_searchIS3_S5_SD_SD_SF_NS1_21upper_bound_search_opENS9_16wrapped_functionINS0_4lessIvEEbEEEE10hipError_tPvRmT1_T2_T3_mmT4_T5_P12ihipStream_tbEUlRKtE_EESM_SQ_SR_mSS_SV_bEUlT_E_NS1_11comp_targetILNS1_3genE10ELNS1_11target_archE1201ELNS1_3gpuE5ELNS1_3repE0EEENS1_30default_config_static_selectorELNS0_4arch9wavefront6targetE0EEEvSP_,"axG",@progbits,_ZN7rocprim17ROCPRIM_400000_NS6detail17trampoline_kernelINS0_14default_configENS1_27upper_bound_config_selectorItiEEZNS1_14transform_implILb0ES3_S5_N6thrust23THRUST_200600_302600_NS6detail15normal_iteratorINS8_10device_ptrItEEEENSA_INSB_IiEEEEZNS1_13binary_searchIS3_S5_SD_SD_SF_NS1_21upper_bound_search_opENS9_16wrapped_functionINS0_4lessIvEEbEEEE10hipError_tPvRmT1_T2_T3_mmT4_T5_P12ihipStream_tbEUlRKtE_EESM_SQ_SR_mSS_SV_bEUlT_E_NS1_11comp_targetILNS1_3genE10ELNS1_11target_archE1201ELNS1_3gpuE5ELNS1_3repE0EEENS1_30default_config_static_selectorELNS0_4arch9wavefront6targetE0EEEvSP_,comdat
.Lfunc_end371:
	.size	_ZN7rocprim17ROCPRIM_400000_NS6detail17trampoline_kernelINS0_14default_configENS1_27upper_bound_config_selectorItiEEZNS1_14transform_implILb0ES3_S5_N6thrust23THRUST_200600_302600_NS6detail15normal_iteratorINS8_10device_ptrItEEEENSA_INSB_IiEEEEZNS1_13binary_searchIS3_S5_SD_SD_SF_NS1_21upper_bound_search_opENS9_16wrapped_functionINS0_4lessIvEEbEEEE10hipError_tPvRmT1_T2_T3_mmT4_T5_P12ihipStream_tbEUlRKtE_EESM_SQ_SR_mSS_SV_bEUlT_E_NS1_11comp_targetILNS1_3genE10ELNS1_11target_archE1201ELNS1_3gpuE5ELNS1_3repE0EEENS1_30default_config_static_selectorELNS0_4arch9wavefront6targetE0EEEvSP_, .Lfunc_end371-_ZN7rocprim17ROCPRIM_400000_NS6detail17trampoline_kernelINS0_14default_configENS1_27upper_bound_config_selectorItiEEZNS1_14transform_implILb0ES3_S5_N6thrust23THRUST_200600_302600_NS6detail15normal_iteratorINS8_10device_ptrItEEEENSA_INSB_IiEEEEZNS1_13binary_searchIS3_S5_SD_SD_SF_NS1_21upper_bound_search_opENS9_16wrapped_functionINS0_4lessIvEEbEEEE10hipError_tPvRmT1_T2_T3_mmT4_T5_P12ihipStream_tbEUlRKtE_EESM_SQ_SR_mSS_SV_bEUlT_E_NS1_11comp_targetILNS1_3genE10ELNS1_11target_archE1201ELNS1_3gpuE5ELNS1_3repE0EEENS1_30default_config_static_selectorELNS0_4arch9wavefront6targetE0EEEvSP_
                                        ; -- End function
	.section	.AMDGPU.csdata,"",@progbits
; Kernel info:
; codeLenInByte = 0
; NumSgprs: 0
; NumVgprs: 0
; ScratchSize: 0
; MemoryBound: 0
; FloatMode: 240
; IeeeMode: 1
; LDSByteSize: 0 bytes/workgroup (compile time only)
; SGPRBlocks: 0
; VGPRBlocks: 0
; NumSGPRsForWavesPerEU: 1
; NumVGPRsForWavesPerEU: 1
; Occupancy: 16
; WaveLimiterHint : 0
; COMPUTE_PGM_RSRC2:SCRATCH_EN: 0
; COMPUTE_PGM_RSRC2:USER_SGPR: 15
; COMPUTE_PGM_RSRC2:TRAP_HANDLER: 0
; COMPUTE_PGM_RSRC2:TGID_X_EN: 1
; COMPUTE_PGM_RSRC2:TGID_Y_EN: 0
; COMPUTE_PGM_RSRC2:TGID_Z_EN: 0
; COMPUTE_PGM_RSRC2:TIDIG_COMP_CNT: 0
	.section	.text._ZN7rocprim17ROCPRIM_400000_NS6detail17trampoline_kernelINS0_14default_configENS1_27upper_bound_config_selectorItiEEZNS1_14transform_implILb0ES3_S5_N6thrust23THRUST_200600_302600_NS6detail15normal_iteratorINS8_10device_ptrItEEEENSA_INSB_IiEEEEZNS1_13binary_searchIS3_S5_SD_SD_SF_NS1_21upper_bound_search_opENS9_16wrapped_functionINS0_4lessIvEEbEEEE10hipError_tPvRmT1_T2_T3_mmT4_T5_P12ihipStream_tbEUlRKtE_EESM_SQ_SR_mSS_SV_bEUlT_E_NS1_11comp_targetILNS1_3genE10ELNS1_11target_archE1200ELNS1_3gpuE4ELNS1_3repE0EEENS1_30default_config_static_selectorELNS0_4arch9wavefront6targetE0EEEvSP_,"axG",@progbits,_ZN7rocprim17ROCPRIM_400000_NS6detail17trampoline_kernelINS0_14default_configENS1_27upper_bound_config_selectorItiEEZNS1_14transform_implILb0ES3_S5_N6thrust23THRUST_200600_302600_NS6detail15normal_iteratorINS8_10device_ptrItEEEENSA_INSB_IiEEEEZNS1_13binary_searchIS3_S5_SD_SD_SF_NS1_21upper_bound_search_opENS9_16wrapped_functionINS0_4lessIvEEbEEEE10hipError_tPvRmT1_T2_T3_mmT4_T5_P12ihipStream_tbEUlRKtE_EESM_SQ_SR_mSS_SV_bEUlT_E_NS1_11comp_targetILNS1_3genE10ELNS1_11target_archE1200ELNS1_3gpuE4ELNS1_3repE0EEENS1_30default_config_static_selectorELNS0_4arch9wavefront6targetE0EEEvSP_,comdat
	.protected	_ZN7rocprim17ROCPRIM_400000_NS6detail17trampoline_kernelINS0_14default_configENS1_27upper_bound_config_selectorItiEEZNS1_14transform_implILb0ES3_S5_N6thrust23THRUST_200600_302600_NS6detail15normal_iteratorINS8_10device_ptrItEEEENSA_INSB_IiEEEEZNS1_13binary_searchIS3_S5_SD_SD_SF_NS1_21upper_bound_search_opENS9_16wrapped_functionINS0_4lessIvEEbEEEE10hipError_tPvRmT1_T2_T3_mmT4_T5_P12ihipStream_tbEUlRKtE_EESM_SQ_SR_mSS_SV_bEUlT_E_NS1_11comp_targetILNS1_3genE10ELNS1_11target_archE1200ELNS1_3gpuE4ELNS1_3repE0EEENS1_30default_config_static_selectorELNS0_4arch9wavefront6targetE0EEEvSP_ ; -- Begin function _ZN7rocprim17ROCPRIM_400000_NS6detail17trampoline_kernelINS0_14default_configENS1_27upper_bound_config_selectorItiEEZNS1_14transform_implILb0ES3_S5_N6thrust23THRUST_200600_302600_NS6detail15normal_iteratorINS8_10device_ptrItEEEENSA_INSB_IiEEEEZNS1_13binary_searchIS3_S5_SD_SD_SF_NS1_21upper_bound_search_opENS9_16wrapped_functionINS0_4lessIvEEbEEEE10hipError_tPvRmT1_T2_T3_mmT4_T5_P12ihipStream_tbEUlRKtE_EESM_SQ_SR_mSS_SV_bEUlT_E_NS1_11comp_targetILNS1_3genE10ELNS1_11target_archE1200ELNS1_3gpuE4ELNS1_3repE0EEENS1_30default_config_static_selectorELNS0_4arch9wavefront6targetE0EEEvSP_
	.globl	_ZN7rocprim17ROCPRIM_400000_NS6detail17trampoline_kernelINS0_14default_configENS1_27upper_bound_config_selectorItiEEZNS1_14transform_implILb0ES3_S5_N6thrust23THRUST_200600_302600_NS6detail15normal_iteratorINS8_10device_ptrItEEEENSA_INSB_IiEEEEZNS1_13binary_searchIS3_S5_SD_SD_SF_NS1_21upper_bound_search_opENS9_16wrapped_functionINS0_4lessIvEEbEEEE10hipError_tPvRmT1_T2_T3_mmT4_T5_P12ihipStream_tbEUlRKtE_EESM_SQ_SR_mSS_SV_bEUlT_E_NS1_11comp_targetILNS1_3genE10ELNS1_11target_archE1200ELNS1_3gpuE4ELNS1_3repE0EEENS1_30default_config_static_selectorELNS0_4arch9wavefront6targetE0EEEvSP_
	.p2align	8
	.type	_ZN7rocprim17ROCPRIM_400000_NS6detail17trampoline_kernelINS0_14default_configENS1_27upper_bound_config_selectorItiEEZNS1_14transform_implILb0ES3_S5_N6thrust23THRUST_200600_302600_NS6detail15normal_iteratorINS8_10device_ptrItEEEENSA_INSB_IiEEEEZNS1_13binary_searchIS3_S5_SD_SD_SF_NS1_21upper_bound_search_opENS9_16wrapped_functionINS0_4lessIvEEbEEEE10hipError_tPvRmT1_T2_T3_mmT4_T5_P12ihipStream_tbEUlRKtE_EESM_SQ_SR_mSS_SV_bEUlT_E_NS1_11comp_targetILNS1_3genE10ELNS1_11target_archE1200ELNS1_3gpuE4ELNS1_3repE0EEENS1_30default_config_static_selectorELNS0_4arch9wavefront6targetE0EEEvSP_,@function
_ZN7rocprim17ROCPRIM_400000_NS6detail17trampoline_kernelINS0_14default_configENS1_27upper_bound_config_selectorItiEEZNS1_14transform_implILb0ES3_S5_N6thrust23THRUST_200600_302600_NS6detail15normal_iteratorINS8_10device_ptrItEEEENSA_INSB_IiEEEEZNS1_13binary_searchIS3_S5_SD_SD_SF_NS1_21upper_bound_search_opENS9_16wrapped_functionINS0_4lessIvEEbEEEE10hipError_tPvRmT1_T2_T3_mmT4_T5_P12ihipStream_tbEUlRKtE_EESM_SQ_SR_mSS_SV_bEUlT_E_NS1_11comp_targetILNS1_3genE10ELNS1_11target_archE1200ELNS1_3gpuE4ELNS1_3repE0EEENS1_30default_config_static_selectorELNS0_4arch9wavefront6targetE0EEEvSP_: ; @_ZN7rocprim17ROCPRIM_400000_NS6detail17trampoline_kernelINS0_14default_configENS1_27upper_bound_config_selectorItiEEZNS1_14transform_implILb0ES3_S5_N6thrust23THRUST_200600_302600_NS6detail15normal_iteratorINS8_10device_ptrItEEEENSA_INSB_IiEEEEZNS1_13binary_searchIS3_S5_SD_SD_SF_NS1_21upper_bound_search_opENS9_16wrapped_functionINS0_4lessIvEEbEEEE10hipError_tPvRmT1_T2_T3_mmT4_T5_P12ihipStream_tbEUlRKtE_EESM_SQ_SR_mSS_SV_bEUlT_E_NS1_11comp_targetILNS1_3genE10ELNS1_11target_archE1200ELNS1_3gpuE4ELNS1_3repE0EEENS1_30default_config_static_selectorELNS0_4arch9wavefront6targetE0EEEvSP_
; %bb.0:
	.section	.rodata,"a",@progbits
	.p2align	6, 0x0
	.amdhsa_kernel _ZN7rocprim17ROCPRIM_400000_NS6detail17trampoline_kernelINS0_14default_configENS1_27upper_bound_config_selectorItiEEZNS1_14transform_implILb0ES3_S5_N6thrust23THRUST_200600_302600_NS6detail15normal_iteratorINS8_10device_ptrItEEEENSA_INSB_IiEEEEZNS1_13binary_searchIS3_S5_SD_SD_SF_NS1_21upper_bound_search_opENS9_16wrapped_functionINS0_4lessIvEEbEEEE10hipError_tPvRmT1_T2_T3_mmT4_T5_P12ihipStream_tbEUlRKtE_EESM_SQ_SR_mSS_SV_bEUlT_E_NS1_11comp_targetILNS1_3genE10ELNS1_11target_archE1200ELNS1_3gpuE4ELNS1_3repE0EEENS1_30default_config_static_selectorELNS0_4arch9wavefront6targetE0EEEvSP_
		.amdhsa_group_segment_fixed_size 0
		.amdhsa_private_segment_fixed_size 0
		.amdhsa_kernarg_size 56
		.amdhsa_user_sgpr_count 15
		.amdhsa_user_sgpr_dispatch_ptr 0
		.amdhsa_user_sgpr_queue_ptr 0
		.amdhsa_user_sgpr_kernarg_segment_ptr 1
		.amdhsa_user_sgpr_dispatch_id 0
		.amdhsa_user_sgpr_private_segment_size 0
		.amdhsa_wavefront_size32 1
		.amdhsa_uses_dynamic_stack 0
		.amdhsa_enable_private_segment 0
		.amdhsa_system_sgpr_workgroup_id_x 1
		.amdhsa_system_sgpr_workgroup_id_y 0
		.amdhsa_system_sgpr_workgroup_id_z 0
		.amdhsa_system_sgpr_workgroup_info 0
		.amdhsa_system_vgpr_workitem_id 0
		.amdhsa_next_free_vgpr 1
		.amdhsa_next_free_sgpr 1
		.amdhsa_reserve_vcc 0
		.amdhsa_float_round_mode_32 0
		.amdhsa_float_round_mode_16_64 0
		.amdhsa_float_denorm_mode_32 3
		.amdhsa_float_denorm_mode_16_64 3
		.amdhsa_dx10_clamp 1
		.amdhsa_ieee_mode 1
		.amdhsa_fp16_overflow 0
		.amdhsa_workgroup_processor_mode 1
		.amdhsa_memory_ordered 1
		.amdhsa_forward_progress 0
		.amdhsa_shared_vgpr_count 0
		.amdhsa_exception_fp_ieee_invalid_op 0
		.amdhsa_exception_fp_denorm_src 0
		.amdhsa_exception_fp_ieee_div_zero 0
		.amdhsa_exception_fp_ieee_overflow 0
		.amdhsa_exception_fp_ieee_underflow 0
		.amdhsa_exception_fp_ieee_inexact 0
		.amdhsa_exception_int_div_zero 0
	.end_amdhsa_kernel
	.section	.text._ZN7rocprim17ROCPRIM_400000_NS6detail17trampoline_kernelINS0_14default_configENS1_27upper_bound_config_selectorItiEEZNS1_14transform_implILb0ES3_S5_N6thrust23THRUST_200600_302600_NS6detail15normal_iteratorINS8_10device_ptrItEEEENSA_INSB_IiEEEEZNS1_13binary_searchIS3_S5_SD_SD_SF_NS1_21upper_bound_search_opENS9_16wrapped_functionINS0_4lessIvEEbEEEE10hipError_tPvRmT1_T2_T3_mmT4_T5_P12ihipStream_tbEUlRKtE_EESM_SQ_SR_mSS_SV_bEUlT_E_NS1_11comp_targetILNS1_3genE10ELNS1_11target_archE1200ELNS1_3gpuE4ELNS1_3repE0EEENS1_30default_config_static_selectorELNS0_4arch9wavefront6targetE0EEEvSP_,"axG",@progbits,_ZN7rocprim17ROCPRIM_400000_NS6detail17trampoline_kernelINS0_14default_configENS1_27upper_bound_config_selectorItiEEZNS1_14transform_implILb0ES3_S5_N6thrust23THRUST_200600_302600_NS6detail15normal_iteratorINS8_10device_ptrItEEEENSA_INSB_IiEEEEZNS1_13binary_searchIS3_S5_SD_SD_SF_NS1_21upper_bound_search_opENS9_16wrapped_functionINS0_4lessIvEEbEEEE10hipError_tPvRmT1_T2_T3_mmT4_T5_P12ihipStream_tbEUlRKtE_EESM_SQ_SR_mSS_SV_bEUlT_E_NS1_11comp_targetILNS1_3genE10ELNS1_11target_archE1200ELNS1_3gpuE4ELNS1_3repE0EEENS1_30default_config_static_selectorELNS0_4arch9wavefront6targetE0EEEvSP_,comdat
.Lfunc_end372:
	.size	_ZN7rocprim17ROCPRIM_400000_NS6detail17trampoline_kernelINS0_14default_configENS1_27upper_bound_config_selectorItiEEZNS1_14transform_implILb0ES3_S5_N6thrust23THRUST_200600_302600_NS6detail15normal_iteratorINS8_10device_ptrItEEEENSA_INSB_IiEEEEZNS1_13binary_searchIS3_S5_SD_SD_SF_NS1_21upper_bound_search_opENS9_16wrapped_functionINS0_4lessIvEEbEEEE10hipError_tPvRmT1_T2_T3_mmT4_T5_P12ihipStream_tbEUlRKtE_EESM_SQ_SR_mSS_SV_bEUlT_E_NS1_11comp_targetILNS1_3genE10ELNS1_11target_archE1200ELNS1_3gpuE4ELNS1_3repE0EEENS1_30default_config_static_selectorELNS0_4arch9wavefront6targetE0EEEvSP_, .Lfunc_end372-_ZN7rocprim17ROCPRIM_400000_NS6detail17trampoline_kernelINS0_14default_configENS1_27upper_bound_config_selectorItiEEZNS1_14transform_implILb0ES3_S5_N6thrust23THRUST_200600_302600_NS6detail15normal_iteratorINS8_10device_ptrItEEEENSA_INSB_IiEEEEZNS1_13binary_searchIS3_S5_SD_SD_SF_NS1_21upper_bound_search_opENS9_16wrapped_functionINS0_4lessIvEEbEEEE10hipError_tPvRmT1_T2_T3_mmT4_T5_P12ihipStream_tbEUlRKtE_EESM_SQ_SR_mSS_SV_bEUlT_E_NS1_11comp_targetILNS1_3genE10ELNS1_11target_archE1200ELNS1_3gpuE4ELNS1_3repE0EEENS1_30default_config_static_selectorELNS0_4arch9wavefront6targetE0EEEvSP_
                                        ; -- End function
	.section	.AMDGPU.csdata,"",@progbits
; Kernel info:
; codeLenInByte = 0
; NumSgprs: 0
; NumVgprs: 0
; ScratchSize: 0
; MemoryBound: 0
; FloatMode: 240
; IeeeMode: 1
; LDSByteSize: 0 bytes/workgroup (compile time only)
; SGPRBlocks: 0
; VGPRBlocks: 0
; NumSGPRsForWavesPerEU: 1
; NumVGPRsForWavesPerEU: 1
; Occupancy: 16
; WaveLimiterHint : 0
; COMPUTE_PGM_RSRC2:SCRATCH_EN: 0
; COMPUTE_PGM_RSRC2:USER_SGPR: 15
; COMPUTE_PGM_RSRC2:TRAP_HANDLER: 0
; COMPUTE_PGM_RSRC2:TGID_X_EN: 1
; COMPUTE_PGM_RSRC2:TGID_Y_EN: 0
; COMPUTE_PGM_RSRC2:TGID_Z_EN: 0
; COMPUTE_PGM_RSRC2:TIDIG_COMP_CNT: 0
	.section	.text._ZN7rocprim17ROCPRIM_400000_NS6detail17trampoline_kernelINS0_14default_configENS1_27upper_bound_config_selectorItiEEZNS1_14transform_implILb0ES3_S5_N6thrust23THRUST_200600_302600_NS6detail15normal_iteratorINS8_10device_ptrItEEEENSA_INSB_IiEEEEZNS1_13binary_searchIS3_S5_SD_SD_SF_NS1_21upper_bound_search_opENS9_16wrapped_functionINS0_4lessIvEEbEEEE10hipError_tPvRmT1_T2_T3_mmT4_T5_P12ihipStream_tbEUlRKtE_EESM_SQ_SR_mSS_SV_bEUlT_E_NS1_11comp_targetILNS1_3genE9ELNS1_11target_archE1100ELNS1_3gpuE3ELNS1_3repE0EEENS1_30default_config_static_selectorELNS0_4arch9wavefront6targetE0EEEvSP_,"axG",@progbits,_ZN7rocprim17ROCPRIM_400000_NS6detail17trampoline_kernelINS0_14default_configENS1_27upper_bound_config_selectorItiEEZNS1_14transform_implILb0ES3_S5_N6thrust23THRUST_200600_302600_NS6detail15normal_iteratorINS8_10device_ptrItEEEENSA_INSB_IiEEEEZNS1_13binary_searchIS3_S5_SD_SD_SF_NS1_21upper_bound_search_opENS9_16wrapped_functionINS0_4lessIvEEbEEEE10hipError_tPvRmT1_T2_T3_mmT4_T5_P12ihipStream_tbEUlRKtE_EESM_SQ_SR_mSS_SV_bEUlT_E_NS1_11comp_targetILNS1_3genE9ELNS1_11target_archE1100ELNS1_3gpuE3ELNS1_3repE0EEENS1_30default_config_static_selectorELNS0_4arch9wavefront6targetE0EEEvSP_,comdat
	.protected	_ZN7rocprim17ROCPRIM_400000_NS6detail17trampoline_kernelINS0_14default_configENS1_27upper_bound_config_selectorItiEEZNS1_14transform_implILb0ES3_S5_N6thrust23THRUST_200600_302600_NS6detail15normal_iteratorINS8_10device_ptrItEEEENSA_INSB_IiEEEEZNS1_13binary_searchIS3_S5_SD_SD_SF_NS1_21upper_bound_search_opENS9_16wrapped_functionINS0_4lessIvEEbEEEE10hipError_tPvRmT1_T2_T3_mmT4_T5_P12ihipStream_tbEUlRKtE_EESM_SQ_SR_mSS_SV_bEUlT_E_NS1_11comp_targetILNS1_3genE9ELNS1_11target_archE1100ELNS1_3gpuE3ELNS1_3repE0EEENS1_30default_config_static_selectorELNS0_4arch9wavefront6targetE0EEEvSP_ ; -- Begin function _ZN7rocprim17ROCPRIM_400000_NS6detail17trampoline_kernelINS0_14default_configENS1_27upper_bound_config_selectorItiEEZNS1_14transform_implILb0ES3_S5_N6thrust23THRUST_200600_302600_NS6detail15normal_iteratorINS8_10device_ptrItEEEENSA_INSB_IiEEEEZNS1_13binary_searchIS3_S5_SD_SD_SF_NS1_21upper_bound_search_opENS9_16wrapped_functionINS0_4lessIvEEbEEEE10hipError_tPvRmT1_T2_T3_mmT4_T5_P12ihipStream_tbEUlRKtE_EESM_SQ_SR_mSS_SV_bEUlT_E_NS1_11comp_targetILNS1_3genE9ELNS1_11target_archE1100ELNS1_3gpuE3ELNS1_3repE0EEENS1_30default_config_static_selectorELNS0_4arch9wavefront6targetE0EEEvSP_
	.globl	_ZN7rocprim17ROCPRIM_400000_NS6detail17trampoline_kernelINS0_14default_configENS1_27upper_bound_config_selectorItiEEZNS1_14transform_implILb0ES3_S5_N6thrust23THRUST_200600_302600_NS6detail15normal_iteratorINS8_10device_ptrItEEEENSA_INSB_IiEEEEZNS1_13binary_searchIS3_S5_SD_SD_SF_NS1_21upper_bound_search_opENS9_16wrapped_functionINS0_4lessIvEEbEEEE10hipError_tPvRmT1_T2_T3_mmT4_T5_P12ihipStream_tbEUlRKtE_EESM_SQ_SR_mSS_SV_bEUlT_E_NS1_11comp_targetILNS1_3genE9ELNS1_11target_archE1100ELNS1_3gpuE3ELNS1_3repE0EEENS1_30default_config_static_selectorELNS0_4arch9wavefront6targetE0EEEvSP_
	.p2align	8
	.type	_ZN7rocprim17ROCPRIM_400000_NS6detail17trampoline_kernelINS0_14default_configENS1_27upper_bound_config_selectorItiEEZNS1_14transform_implILb0ES3_S5_N6thrust23THRUST_200600_302600_NS6detail15normal_iteratorINS8_10device_ptrItEEEENSA_INSB_IiEEEEZNS1_13binary_searchIS3_S5_SD_SD_SF_NS1_21upper_bound_search_opENS9_16wrapped_functionINS0_4lessIvEEbEEEE10hipError_tPvRmT1_T2_T3_mmT4_T5_P12ihipStream_tbEUlRKtE_EESM_SQ_SR_mSS_SV_bEUlT_E_NS1_11comp_targetILNS1_3genE9ELNS1_11target_archE1100ELNS1_3gpuE3ELNS1_3repE0EEENS1_30default_config_static_selectorELNS0_4arch9wavefront6targetE0EEEvSP_,@function
_ZN7rocprim17ROCPRIM_400000_NS6detail17trampoline_kernelINS0_14default_configENS1_27upper_bound_config_selectorItiEEZNS1_14transform_implILb0ES3_S5_N6thrust23THRUST_200600_302600_NS6detail15normal_iteratorINS8_10device_ptrItEEEENSA_INSB_IiEEEEZNS1_13binary_searchIS3_S5_SD_SD_SF_NS1_21upper_bound_search_opENS9_16wrapped_functionINS0_4lessIvEEbEEEE10hipError_tPvRmT1_T2_T3_mmT4_T5_P12ihipStream_tbEUlRKtE_EESM_SQ_SR_mSS_SV_bEUlT_E_NS1_11comp_targetILNS1_3genE9ELNS1_11target_archE1100ELNS1_3gpuE3ELNS1_3repE0EEENS1_30default_config_static_selectorELNS0_4arch9wavefront6targetE0EEEvSP_: ; @_ZN7rocprim17ROCPRIM_400000_NS6detail17trampoline_kernelINS0_14default_configENS1_27upper_bound_config_selectorItiEEZNS1_14transform_implILb0ES3_S5_N6thrust23THRUST_200600_302600_NS6detail15normal_iteratorINS8_10device_ptrItEEEENSA_INSB_IiEEEEZNS1_13binary_searchIS3_S5_SD_SD_SF_NS1_21upper_bound_search_opENS9_16wrapped_functionINS0_4lessIvEEbEEEE10hipError_tPvRmT1_T2_T3_mmT4_T5_P12ihipStream_tbEUlRKtE_EESM_SQ_SR_mSS_SV_bEUlT_E_NS1_11comp_targetILNS1_3genE9ELNS1_11target_archE1100ELNS1_3gpuE3ELNS1_3repE0EEENS1_30default_config_static_selectorELNS0_4arch9wavefront6targetE0EEEvSP_
; %bb.0:
	s_clause 0x2
	s_load_b256 s[4:11], s[0:1], 0x0
	s_load_b32 s2, s[0:1], 0x38
	s_load_b128 s[16:19], s[0:1], 0x20
	s_waitcnt lgkmcnt(0)
	s_lshl_b64 s[0:1], s[6:7], 1
	s_delay_alu instid0(SALU_CYCLE_1) | instskip(SKIP_2) | instid1(SALU_CYCLE_1)
	s_add_u32 s3, s4, s0
	s_addc_u32 s4, s5, s1
	s_lshl_b64 s[0:1], s[6:7], 2
	s_add_u32 s7, s10, s0
	s_addc_u32 s9, s11, s1
	s_lshl_b32 s10, s15, 11
	s_mov_b32 s11, 0
	s_add_i32 s2, s2, -1
	s_lshl_b64 s[0:1], s[10:11], 1
	s_delay_alu instid0(SALU_CYCLE_1)
	s_add_u32 s12, s3, s0
	s_addc_u32 s13, s4, s1
	s_cmp_lg_u32 s15, s2
	s_mov_b32 s0, -1
	s_cbranch_scc0 .LBB373_26
; %bb.1:
	v_lshlrev_b32_e32 v1, 1, v0
	s_cmp_lg_u64 s[18:19], 0
	s_mov_b32 s1, 0
	s_delay_alu instid0(VALU_DEP_1) | instskip(NEXT) | instid1(VALU_DEP_1)
	v_add_co_u32 v1, s0, s12, v1
	v_add_co_ci_u32_e64 v2, null, s13, 0, s0
	s_cselect_b32 s0, -1, 0
	s_cmp_eq_u64 s[18:19], 0
	s_clause 0x6
	flat_load_u16 v6, v[1:2] offset:512
	flat_load_u16 v7, v[1:2] offset:1024
	;; [unrolled: 1-line block ×7, first 2 shown]
	s_cbranch_scc1 .LBB373_27
; %bb.2:
	flat_load_u16 v5, v[1:2]
	v_mov_b32_e32 v1, 0
	v_dual_mov_b32 v2, 0 :: v_dual_mov_b32 v3, s18
	v_mov_b32_e32 v4, s19
	.p2align	6
.LBB373_3:                              ; =>This Inner Loop Header: Depth=1
	s_delay_alu instid0(VALU_DEP_2) | instskip(NEXT) | instid1(VALU_DEP_2)
	v_sub_co_u32 v14, vcc_lo, v3, v1
	v_sub_co_ci_u32_e32 v15, vcc_lo, v4, v2, vcc_lo
	s_delay_alu instid0(VALU_DEP_1) | instskip(SKIP_1) | instid1(VALU_DEP_2)
	v_lshrrev_b64 v[16:17], 1, v[14:15]
	v_lshrrev_b64 v[14:15], 6, v[14:15]
	v_add_co_u32 v12, vcc_lo, v16, v1
	s_delay_alu instid0(VALU_DEP_3) | instskip(NEXT) | instid1(VALU_DEP_2)
	v_add_co_ci_u32_e32 v16, vcc_lo, v17, v2, vcc_lo
	v_add_co_u32 v14, vcc_lo, v12, v14
	s_delay_alu instid0(VALU_DEP_2) | instskip(NEXT) | instid1(VALU_DEP_1)
	v_add_co_ci_u32_e32 v15, vcc_lo, v16, v15, vcc_lo
	v_lshlrev_b64 v[16:17], 1, v[14:15]
	s_delay_alu instid0(VALU_DEP_1) | instskip(NEXT) | instid1(VALU_DEP_2)
	v_add_co_u32 v16, vcc_lo, s16, v16
	v_add_co_ci_u32_e32 v17, vcc_lo, s17, v17, vcc_lo
	global_load_u16 v12, v[16:17], off
	v_add_co_u32 v16, vcc_lo, v14, 1
	v_add_co_ci_u32_e32 v17, vcc_lo, 0, v15, vcc_lo
	s_waitcnt vmcnt(0) lgkmcnt(0)
	v_cmp_gt_u16_e32 vcc_lo, v12, v5
	v_dual_cndmask_b32 v4, v4, v15 :: v_dual_cndmask_b32 v3, v3, v14
	s_delay_alu instid0(VALU_DEP_3) | instskip(NEXT) | instid1(VALU_DEP_1)
	v_dual_cndmask_b32 v2, v17, v2 :: v_dual_cndmask_b32 v1, v16, v1
	v_cmp_ge_u64_e32 vcc_lo, v[1:2], v[3:4]
	s_or_b32 s1, vcc_lo, s1
	s_delay_alu instid0(SALU_CYCLE_1)
	s_and_not1_b32 exec_lo, exec_lo, s1
	s_cbranch_execnz .LBB373_3
; %bb.4:
	s_or_b32 exec_lo, exec_lo, s1
	v_cndmask_b32_e64 v12, 0, 1, s0
	s_and_not1_b32 vcc_lo, exec_lo, s0
	s_cbranch_vccnz .LBB373_28
.LBB373_5:
	v_mov_b32_e32 v2, 0
	v_dual_mov_b32 v3, 0 :: v_dual_mov_b32 v4, s18
	v_mov_b32_e32 v5, s19
	s_mov_b32 s0, 0
	.p2align	6
.LBB373_6:                              ; =>This Inner Loop Header: Depth=1
	s_delay_alu instid0(VALU_DEP_2) | instskip(NEXT) | instid1(VALU_DEP_2)
	v_sub_co_u32 v14, vcc_lo, v4, v2
	v_sub_co_ci_u32_e32 v15, vcc_lo, v5, v3, vcc_lo
	s_delay_alu instid0(VALU_DEP_1) | instskip(SKIP_1) | instid1(VALU_DEP_2)
	v_lshrrev_b64 v[16:17], 1, v[14:15]
	v_lshrrev_b64 v[14:15], 6, v[14:15]
	v_add_co_u32 v16, vcc_lo, v16, v2
	s_delay_alu instid0(VALU_DEP_3) | instskip(NEXT) | instid1(VALU_DEP_2)
	v_add_co_ci_u32_e32 v17, vcc_lo, v17, v3, vcc_lo
	v_add_co_u32 v14, vcc_lo, v16, v14
	s_delay_alu instid0(VALU_DEP_2) | instskip(NEXT) | instid1(VALU_DEP_1)
	v_add_co_ci_u32_e32 v15, vcc_lo, v17, v15, vcc_lo
	v_lshlrev_b64 v[16:17], 1, v[14:15]
	s_delay_alu instid0(VALU_DEP_1) | instskip(NEXT) | instid1(VALU_DEP_2)
	v_add_co_u32 v16, vcc_lo, s16, v16
	v_add_co_ci_u32_e32 v17, vcc_lo, s17, v17, vcc_lo
	global_load_u16 v16, v[16:17], off
	v_add_co_u32 v17, vcc_lo, v14, 1
	v_add_co_ci_u32_e32 v18, vcc_lo, 0, v15, vcc_lo
	s_waitcnt vmcnt(0) lgkmcnt(6)
	v_cmp_gt_u16_e32 vcc_lo, v16, v6
	v_dual_cndmask_b32 v5, v5, v15 :: v_dual_cndmask_b32 v4, v4, v14
	s_delay_alu instid0(VALU_DEP_3) | instskip(NEXT) | instid1(VALU_DEP_1)
	v_dual_cndmask_b32 v3, v18, v3 :: v_dual_cndmask_b32 v2, v17, v2
	v_cmp_ge_u64_e32 vcc_lo, v[2:3], v[4:5]
	s_or_b32 s0, vcc_lo, s0
	s_delay_alu instid0(SALU_CYCLE_1)
	s_and_not1_b32 exec_lo, exec_lo, s0
	s_cbranch_execnz .LBB373_6
; %bb.7:
	s_or_b32 exec_lo, exec_lo, s0
	v_cmp_ne_u32_e32 vcc_lo, 1, v12
	s_cbranch_vccnz .LBB373_29
.LBB373_8:
	v_mov_b32_e32 v3, 0
	s_waitcnt vmcnt(6) lgkmcnt(6)
	v_dual_mov_b32 v4, 0 :: v_dual_mov_b32 v5, s18
	v_mov_b32_e32 v6, s19
	s_mov_b32 s0, 0
	.p2align	6
.LBB373_9:                              ; =>This Inner Loop Header: Depth=1
	s_delay_alu instid0(VALU_DEP_2) | instskip(NEXT) | instid1(VALU_DEP_2)
	v_sub_co_u32 v14, vcc_lo, v5, v3
	v_sub_co_ci_u32_e32 v15, vcc_lo, v6, v4, vcc_lo
	s_delay_alu instid0(VALU_DEP_1) | instskip(SKIP_1) | instid1(VALU_DEP_2)
	v_lshrrev_b64 v[16:17], 1, v[14:15]
	v_lshrrev_b64 v[14:15], 6, v[14:15]
	v_add_co_u32 v16, vcc_lo, v16, v3
	s_delay_alu instid0(VALU_DEP_3) | instskip(NEXT) | instid1(VALU_DEP_2)
	v_add_co_ci_u32_e32 v17, vcc_lo, v17, v4, vcc_lo
	v_add_co_u32 v14, vcc_lo, v16, v14
	s_delay_alu instid0(VALU_DEP_2) | instskip(NEXT) | instid1(VALU_DEP_1)
	v_add_co_ci_u32_e32 v15, vcc_lo, v17, v15, vcc_lo
	v_lshlrev_b64 v[16:17], 1, v[14:15]
	s_delay_alu instid0(VALU_DEP_1) | instskip(NEXT) | instid1(VALU_DEP_2)
	v_add_co_u32 v16, vcc_lo, s16, v16
	v_add_co_ci_u32_e32 v17, vcc_lo, s17, v17, vcc_lo
	global_load_u16 v16, v[16:17], off
	v_add_co_u32 v17, vcc_lo, v14, 1
	v_add_co_ci_u32_e32 v18, vcc_lo, 0, v15, vcc_lo
	s_waitcnt vmcnt(0) lgkmcnt(5)
	v_cmp_gt_u16_e32 vcc_lo, v16, v7
	v_dual_cndmask_b32 v6, v6, v15 :: v_dual_cndmask_b32 v5, v5, v14
	s_delay_alu instid0(VALU_DEP_3) | instskip(NEXT) | instid1(VALU_DEP_1)
	v_dual_cndmask_b32 v4, v18, v4 :: v_dual_cndmask_b32 v3, v17, v3
	v_cmp_ge_u64_e32 vcc_lo, v[3:4], v[5:6]
	s_or_b32 s0, vcc_lo, s0
	s_delay_alu instid0(SALU_CYCLE_1)
	s_and_not1_b32 exec_lo, exec_lo, s0
	s_cbranch_execnz .LBB373_9
; %bb.10:
	s_or_b32 exec_lo, exec_lo, s0
	v_cmp_ne_u32_e32 vcc_lo, 1, v12
	s_cbranch_vccnz .LBB373_30
.LBB373_11:
	v_mov_b32_e32 v4, 0
	s_waitcnt vmcnt(5) lgkmcnt(5)
	v_dual_mov_b32 v5, 0 :: v_dual_mov_b32 v6, s18
	v_mov_b32_e32 v7, s19
	s_mov_b32 s0, 0
	.p2align	6
.LBB373_12:                             ; =>This Inner Loop Header: Depth=1
	s_delay_alu instid0(VALU_DEP_2) | instskip(NEXT) | instid1(VALU_DEP_2)
	v_sub_co_u32 v14, vcc_lo, v6, v4
	v_sub_co_ci_u32_e32 v15, vcc_lo, v7, v5, vcc_lo
	s_delay_alu instid0(VALU_DEP_1) | instskip(SKIP_1) | instid1(VALU_DEP_2)
	v_lshrrev_b64 v[16:17], 1, v[14:15]
	v_lshrrev_b64 v[14:15], 6, v[14:15]
	v_add_co_u32 v16, vcc_lo, v16, v4
	s_delay_alu instid0(VALU_DEP_3) | instskip(NEXT) | instid1(VALU_DEP_2)
	v_add_co_ci_u32_e32 v17, vcc_lo, v17, v5, vcc_lo
	v_add_co_u32 v14, vcc_lo, v16, v14
	s_delay_alu instid0(VALU_DEP_2) | instskip(NEXT) | instid1(VALU_DEP_1)
	v_add_co_ci_u32_e32 v15, vcc_lo, v17, v15, vcc_lo
	v_lshlrev_b64 v[16:17], 1, v[14:15]
	s_delay_alu instid0(VALU_DEP_1) | instskip(NEXT) | instid1(VALU_DEP_2)
	v_add_co_u32 v16, vcc_lo, s16, v16
	v_add_co_ci_u32_e32 v17, vcc_lo, s17, v17, vcc_lo
	global_load_u16 v16, v[16:17], off
	v_add_co_u32 v17, vcc_lo, v14, 1
	v_add_co_ci_u32_e32 v18, vcc_lo, 0, v15, vcc_lo
	s_waitcnt vmcnt(0) lgkmcnt(4)
	v_cmp_gt_u16_e32 vcc_lo, v16, v8
	v_dual_cndmask_b32 v7, v7, v15 :: v_dual_cndmask_b32 v6, v6, v14
	s_delay_alu instid0(VALU_DEP_3) | instskip(NEXT) | instid1(VALU_DEP_1)
	v_dual_cndmask_b32 v5, v18, v5 :: v_dual_cndmask_b32 v4, v17, v4
	v_cmp_ge_u64_e32 vcc_lo, v[4:5], v[6:7]
	s_or_b32 s0, vcc_lo, s0
	s_delay_alu instid0(SALU_CYCLE_1)
	s_and_not1_b32 exec_lo, exec_lo, s0
	s_cbranch_execnz .LBB373_12
; %bb.13:
	s_or_b32 exec_lo, exec_lo, s0
	v_cmp_ne_u32_e32 vcc_lo, 1, v12
	s_cbranch_vccnz .LBB373_31
.LBB373_14:
	s_waitcnt vmcnt(6) lgkmcnt(6)
	v_mov_b32_e32 v5, 0
	s_waitcnt vmcnt(4) lgkmcnt(4)
	v_dual_mov_b32 v6, 0 :: v_dual_mov_b32 v7, s18
	v_mov_b32_e32 v8, s19
	s_mov_b32 s0, 0
	.p2align	6
.LBB373_15:                             ; =>This Inner Loop Header: Depth=1
	s_delay_alu instid0(VALU_DEP_2) | instskip(NEXT) | instid1(VALU_DEP_2)
	v_sub_co_u32 v14, vcc_lo, v7, v5
	v_sub_co_ci_u32_e32 v15, vcc_lo, v8, v6, vcc_lo
	s_delay_alu instid0(VALU_DEP_1) | instskip(SKIP_1) | instid1(VALU_DEP_2)
	v_lshrrev_b64 v[16:17], 1, v[14:15]
	v_lshrrev_b64 v[14:15], 6, v[14:15]
	v_add_co_u32 v16, vcc_lo, v16, v5
	s_delay_alu instid0(VALU_DEP_3) | instskip(NEXT) | instid1(VALU_DEP_2)
	v_add_co_ci_u32_e32 v17, vcc_lo, v17, v6, vcc_lo
	v_add_co_u32 v14, vcc_lo, v16, v14
	s_delay_alu instid0(VALU_DEP_2) | instskip(NEXT) | instid1(VALU_DEP_1)
	v_add_co_ci_u32_e32 v15, vcc_lo, v17, v15, vcc_lo
	v_lshlrev_b64 v[16:17], 1, v[14:15]
	s_delay_alu instid0(VALU_DEP_1) | instskip(NEXT) | instid1(VALU_DEP_2)
	v_add_co_u32 v16, vcc_lo, s16, v16
	v_add_co_ci_u32_e32 v17, vcc_lo, s17, v17, vcc_lo
	global_load_u16 v16, v[16:17], off
	v_add_co_u32 v17, vcc_lo, v14, 1
	v_add_co_ci_u32_e32 v18, vcc_lo, 0, v15, vcc_lo
	s_waitcnt vmcnt(0) lgkmcnt(3)
	v_cmp_gt_u16_e32 vcc_lo, v16, v9
	v_dual_cndmask_b32 v8, v8, v15 :: v_dual_cndmask_b32 v7, v7, v14
	s_delay_alu instid0(VALU_DEP_3) | instskip(NEXT) | instid1(VALU_DEP_1)
	v_dual_cndmask_b32 v6, v18, v6 :: v_dual_cndmask_b32 v5, v17, v5
	v_cmp_ge_u64_e32 vcc_lo, v[5:6], v[7:8]
	s_or_b32 s0, vcc_lo, s0
	s_delay_alu instid0(SALU_CYCLE_1)
	s_and_not1_b32 exec_lo, exec_lo, s0
	s_cbranch_execnz .LBB373_15
; %bb.16:
	s_or_b32 exec_lo, exec_lo, s0
	v_cmp_ne_u32_e32 vcc_lo, 1, v12
	s_cbranch_vccnz .LBB373_32
.LBB373_17:
	s_waitcnt vmcnt(5) lgkmcnt(5)
	v_mov_b32_e32 v6, 0
	s_waitcnt vmcnt(3) lgkmcnt(3)
	v_dual_mov_b32 v7, 0 :: v_dual_mov_b32 v8, s18
	v_mov_b32_e32 v9, s19
	s_mov_b32 s0, 0
	.p2align	6
.LBB373_18:                             ; =>This Inner Loop Header: Depth=1
	s_delay_alu instid0(VALU_DEP_2) | instskip(NEXT) | instid1(VALU_DEP_2)
	v_sub_co_u32 v14, vcc_lo, v8, v6
	v_sub_co_ci_u32_e32 v15, vcc_lo, v9, v7, vcc_lo
	s_delay_alu instid0(VALU_DEP_1) | instskip(SKIP_1) | instid1(VALU_DEP_2)
	v_lshrrev_b64 v[16:17], 1, v[14:15]
	v_lshrrev_b64 v[14:15], 6, v[14:15]
	v_add_co_u32 v16, vcc_lo, v16, v6
	s_delay_alu instid0(VALU_DEP_3) | instskip(NEXT) | instid1(VALU_DEP_2)
	v_add_co_ci_u32_e32 v17, vcc_lo, v17, v7, vcc_lo
	v_add_co_u32 v14, vcc_lo, v16, v14
	s_delay_alu instid0(VALU_DEP_2) | instskip(NEXT) | instid1(VALU_DEP_1)
	v_add_co_ci_u32_e32 v15, vcc_lo, v17, v15, vcc_lo
	v_lshlrev_b64 v[16:17], 1, v[14:15]
	s_delay_alu instid0(VALU_DEP_1) | instskip(NEXT) | instid1(VALU_DEP_2)
	v_add_co_u32 v16, vcc_lo, s16, v16
	v_add_co_ci_u32_e32 v17, vcc_lo, s17, v17, vcc_lo
	global_load_u16 v16, v[16:17], off
	v_add_co_u32 v17, vcc_lo, v14, 1
	v_add_co_ci_u32_e32 v18, vcc_lo, 0, v15, vcc_lo
	s_waitcnt vmcnt(0) lgkmcnt(2)
	v_cmp_gt_u16_e32 vcc_lo, v16, v10
	v_dual_cndmask_b32 v9, v9, v15 :: v_dual_cndmask_b32 v8, v8, v14
	s_delay_alu instid0(VALU_DEP_3) | instskip(NEXT) | instid1(VALU_DEP_1)
	v_dual_cndmask_b32 v7, v18, v7 :: v_dual_cndmask_b32 v6, v17, v6
	v_cmp_ge_u64_e32 vcc_lo, v[6:7], v[8:9]
	s_or_b32 s0, vcc_lo, s0
	s_delay_alu instid0(SALU_CYCLE_1)
	s_and_not1_b32 exec_lo, exec_lo, s0
	s_cbranch_execnz .LBB373_18
; %bb.19:
	s_or_b32 exec_lo, exec_lo, s0
	v_cmp_ne_u32_e32 vcc_lo, 1, v12
	s_cbranch_vccnz .LBB373_33
.LBB373_20:
	s_waitcnt vmcnt(4) lgkmcnt(4)
	v_mov_b32_e32 v7, 0
	s_waitcnt vmcnt(2) lgkmcnt(2)
	v_dual_mov_b32 v8, 0 :: v_dual_mov_b32 v9, s18
	v_mov_b32_e32 v10, s19
	s_mov_b32 s0, 0
	.p2align	6
.LBB373_21:                             ; =>This Inner Loop Header: Depth=1
	s_delay_alu instid0(VALU_DEP_2) | instskip(NEXT) | instid1(VALU_DEP_2)
	v_sub_co_u32 v14, vcc_lo, v9, v7
	v_sub_co_ci_u32_e32 v15, vcc_lo, v10, v8, vcc_lo
	s_delay_alu instid0(VALU_DEP_1) | instskip(SKIP_1) | instid1(VALU_DEP_2)
	v_lshrrev_b64 v[16:17], 1, v[14:15]
	v_lshrrev_b64 v[14:15], 6, v[14:15]
	v_add_co_u32 v16, vcc_lo, v16, v7
	s_delay_alu instid0(VALU_DEP_3) | instskip(NEXT) | instid1(VALU_DEP_2)
	v_add_co_ci_u32_e32 v17, vcc_lo, v17, v8, vcc_lo
	v_add_co_u32 v14, vcc_lo, v16, v14
	s_delay_alu instid0(VALU_DEP_2) | instskip(NEXT) | instid1(VALU_DEP_1)
	v_add_co_ci_u32_e32 v15, vcc_lo, v17, v15, vcc_lo
	v_lshlrev_b64 v[16:17], 1, v[14:15]
	s_delay_alu instid0(VALU_DEP_1) | instskip(NEXT) | instid1(VALU_DEP_2)
	v_add_co_u32 v16, vcc_lo, s16, v16
	v_add_co_ci_u32_e32 v17, vcc_lo, s17, v17, vcc_lo
	global_load_u16 v16, v[16:17], off
	v_add_co_u32 v17, vcc_lo, v14, 1
	v_add_co_ci_u32_e32 v18, vcc_lo, 0, v15, vcc_lo
	s_waitcnt vmcnt(0) lgkmcnt(1)
	v_cmp_gt_u16_e32 vcc_lo, v16, v11
	v_dual_cndmask_b32 v10, v10, v15 :: v_dual_cndmask_b32 v9, v9, v14
	s_delay_alu instid0(VALU_DEP_3) | instskip(NEXT) | instid1(VALU_DEP_1)
	v_dual_cndmask_b32 v8, v18, v8 :: v_dual_cndmask_b32 v7, v17, v7
	v_cmp_ge_u64_e32 vcc_lo, v[7:8], v[9:10]
	s_or_b32 s0, vcc_lo, s0
	s_delay_alu instid0(SALU_CYCLE_1)
	s_and_not1_b32 exec_lo, exec_lo, s0
	s_cbranch_execnz .LBB373_21
; %bb.22:
	s_or_b32 exec_lo, exec_lo, s0
	v_cmp_ne_u32_e32 vcc_lo, 1, v12
	s_cbranch_vccnz .LBB373_34
.LBB373_23:
	s_waitcnt vmcnt(2) lgkmcnt(2)
	v_mov_b32_e32 v9, 0
	s_waitcnt vmcnt(1) lgkmcnt(1)
	v_dual_mov_b32 v10, 0 :: v_dual_mov_b32 v11, s18
	v_mov_b32_e32 v12, s19
	s_mov_b32 s0, 0
	.p2align	6
.LBB373_24:                             ; =>This Inner Loop Header: Depth=1
	s_delay_alu instid0(VALU_DEP_2) | instskip(NEXT) | instid1(VALU_DEP_2)
	v_sub_co_u32 v14, vcc_lo, v11, v9
	v_sub_co_ci_u32_e32 v15, vcc_lo, v12, v10, vcc_lo
	s_delay_alu instid0(VALU_DEP_1) | instskip(SKIP_1) | instid1(VALU_DEP_2)
	v_lshrrev_b64 v[16:17], 1, v[14:15]
	v_lshrrev_b64 v[14:15], 6, v[14:15]
	v_add_co_u32 v8, vcc_lo, v16, v9
	s_delay_alu instid0(VALU_DEP_3) | instskip(NEXT) | instid1(VALU_DEP_2)
	v_add_co_ci_u32_e32 v16, vcc_lo, v17, v10, vcc_lo
	v_add_co_u32 v14, vcc_lo, v8, v14
	s_delay_alu instid0(VALU_DEP_2) | instskip(NEXT) | instid1(VALU_DEP_1)
	v_add_co_ci_u32_e32 v15, vcc_lo, v16, v15, vcc_lo
	v_lshlrev_b64 v[16:17], 1, v[14:15]
	s_delay_alu instid0(VALU_DEP_1) | instskip(NEXT) | instid1(VALU_DEP_2)
	v_add_co_u32 v16, vcc_lo, s16, v16
	v_add_co_ci_u32_e32 v17, vcc_lo, s17, v17, vcc_lo
	global_load_u16 v8, v[16:17], off
	v_add_co_u32 v16, vcc_lo, v14, 1
	v_add_co_ci_u32_e32 v17, vcc_lo, 0, v15, vcc_lo
	s_waitcnt vmcnt(0) lgkmcnt(0)
	v_cmp_gt_u16_e32 vcc_lo, v8, v13
	v_dual_cndmask_b32 v12, v12, v15 :: v_dual_cndmask_b32 v11, v11, v14
	s_delay_alu instid0(VALU_DEP_3) | instskip(NEXT) | instid1(VALU_DEP_1)
	v_dual_cndmask_b32 v10, v17, v10 :: v_dual_cndmask_b32 v9, v16, v9
	v_cmp_ge_u64_e32 vcc_lo, v[9:10], v[11:12]
	s_or_b32 s0, vcc_lo, s0
	s_delay_alu instid0(SALU_CYCLE_1)
	s_and_not1_b32 exec_lo, exec_lo, s0
	s_cbranch_execnz .LBB373_24
; %bb.25:
	s_or_b32 exec_lo, exec_lo, s0
	s_branch .LBB373_35
.LBB373_26:
	s_mov_b32 s14, s11
                                        ; implicit-def: $vgpr9
                                        ; implicit-def: $vgpr12_vgpr13
	s_and_b32 vcc_lo, exec_lo, s0
	s_cbranch_vccnz .LBB373_36
	s_branch .LBB373_107
.LBB373_27:
	v_mov_b32_e32 v1, 0
	v_cndmask_b32_e64 v12, 0, 1, s0
	s_and_not1_b32 vcc_lo, exec_lo, s0
	s_cbranch_vccz .LBB373_5
.LBB373_28:
	v_mov_b32_e32 v2, 0
	s_delay_alu instid0(VALU_DEP_2)
	v_cmp_ne_u32_e32 vcc_lo, 1, v12
	s_cbranch_vccz .LBB373_8
.LBB373_29:
	v_mov_b32_e32 v3, 0
	v_cmp_ne_u32_e32 vcc_lo, 1, v12
	s_cbranch_vccz .LBB373_11
.LBB373_30:
	v_mov_b32_e32 v4, 0
	v_cmp_ne_u32_e32 vcc_lo, 1, v12
	s_cbranch_vccz .LBB373_14
.LBB373_31:
	v_mov_b32_e32 v5, 0
	v_cmp_ne_u32_e32 vcc_lo, 1, v12
	s_cbranch_vccz .LBB373_17
.LBB373_32:
	s_waitcnt vmcnt(6) lgkmcnt(6)
	v_mov_b32_e32 v6, 0
	v_cmp_ne_u32_e32 vcc_lo, 1, v12
	s_cbranch_vccz .LBB373_20
.LBB373_33:
	s_waitcnt vmcnt(5) lgkmcnt(5)
	v_mov_b32_e32 v7, 0
	v_cmp_ne_u32_e32 vcc_lo, 1, v12
	s_cbranch_vccz .LBB373_23
.LBB373_34:
	s_waitcnt vmcnt(3) lgkmcnt(3)
	v_mov_b32_e32 v9, 0
.LBB373_35:
	v_lshlrev_b32_e32 v8, 2, v0
	s_lshl_b64 s[0:1], s[10:11], 2
	s_mov_b32 s14, -1
	s_add_u32 s0, s7, s0
	s_addc_u32 s1, s9, s1
	v_add_co_u32 v12, s0, s0, v8
	s_waitcnt vmcnt(0) lgkmcnt(0)
	v_add_co_ci_u32_e64 v13, null, s1, 0, s0
	s_delay_alu instid0(VALU_DEP_2) | instskip(NEXT) | instid1(VALU_DEP_2)
	v_add_co_u32 v10, vcc_lo, 0x1000, v12
	v_add_co_ci_u32_e32 v11, vcc_lo, 0, v13, vcc_lo
	s_clause 0x6
	flat_store_b32 v[12:13], v2 offset:1024
	flat_store_b32 v[12:13], v3 offset:2048
	;; [unrolled: 1-line block ×3, first 2 shown]
	flat_store_b32 v[10:11], v5
	flat_store_b32 v[10:11], v6 offset:1024
	flat_store_b32 v[12:13], v1
	flat_store_b32 v[10:11], v7 offset:2048
	s_branch .LBB373_107
.LBB373_36:
	s_sub_i32 s8, s8, s10
                                        ; implicit-def: $vgpr1_vgpr2_vgpr3_vgpr4
	s_delay_alu instid0(SALU_CYCLE_1) | instskip(NEXT) | instid1(VALU_DEP_1)
	v_cmp_gt_u32_e64 s0, s8, v0
	s_and_saveexec_b32 s1, s0
	s_cbranch_execz .LBB373_38
; %bb.37:
	v_lshlrev_b32_e32 v1, 1, v0
	s_delay_alu instid0(VALU_DEP_1) | instskip(NEXT) | instid1(VALU_DEP_1)
	v_add_co_u32 v1, s2, s12, v1
	v_add_co_ci_u32_e64 v2, null, s13, 0, s2
	flat_load_d16_b16 v1, v[1:2]
.LBB373_38:
	s_or_b32 exec_lo, exec_lo, s1
	v_or_b32_e32 v5, 0x100, v0
	s_delay_alu instid0(VALU_DEP_1) | instskip(NEXT) | instid1(VALU_DEP_1)
	v_cmp_gt_u32_e64 s1, s8, v5
	s_and_saveexec_b32 s2, s1
	s_cbranch_execz .LBB373_40
; %bb.39:
	v_lshlrev_b32_e32 v5, 1, v0
	s_delay_alu instid0(VALU_DEP_1) | instskip(NEXT) | instid1(VALU_DEP_1)
	v_add_co_u32 v5, s3, s12, v5
	v_add_co_ci_u32_e64 v6, null, s13, 0, s3
	s_waitcnt vmcnt(0) lgkmcnt(0)
	flat_load_d16_hi_b16 v1, v[5:6] offset:512
.LBB373_40:
	s_or_b32 exec_lo, exec_lo, s2
	v_or_b32_e32 v5, 0x200, v0
	s_delay_alu instid0(VALU_DEP_1) | instskip(NEXT) | instid1(VALU_DEP_1)
	v_cmp_gt_u32_e64 s2, s8, v5
	s_and_saveexec_b32 s3, s2
	s_cbranch_execz .LBB373_42
; %bb.41:
	v_lshlrev_b32_e32 v5, 1, v0
	s_delay_alu instid0(VALU_DEP_1) | instskip(NEXT) | instid1(VALU_DEP_1)
	v_add_co_u32 v5, s4, s12, v5
	v_add_co_ci_u32_e64 v6, null, s13, 0, s4
	flat_load_d16_b16 v2, v[5:6] offset:1024
.LBB373_42:
	s_or_b32 exec_lo, exec_lo, s3
	v_or_b32_e32 v5, 0x300, v0
	s_delay_alu instid0(VALU_DEP_1) | instskip(NEXT) | instid1(VALU_DEP_1)
	v_cmp_gt_u32_e64 s3, s8, v5
	s_and_saveexec_b32 s4, s3
	s_cbranch_execz .LBB373_44
; %bb.43:
	v_lshlrev_b32_e32 v5, 1, v0
	s_delay_alu instid0(VALU_DEP_1) | instskip(NEXT) | instid1(VALU_DEP_1)
	v_add_co_u32 v5, s5, s12, v5
	v_add_co_ci_u32_e64 v6, null, s13, 0, s5
	s_waitcnt vmcnt(0) lgkmcnt(0)
	flat_load_d16_hi_b16 v2, v[5:6] offset:1536
.LBB373_44:
	s_or_b32 exec_lo, exec_lo, s4
	v_or_b32_e32 v5, 0x400, v0
	s_delay_alu instid0(VALU_DEP_1) | instskip(NEXT) | instid1(VALU_DEP_1)
	v_cmp_gt_u32_e64 s4, s8, v5
	s_and_saveexec_b32 s5, s4
	s_cbranch_execz .LBB373_46
; %bb.45:
	v_lshlrev_b32_e32 v5, 1, v0
	s_delay_alu instid0(VALU_DEP_1) | instskip(NEXT) | instid1(VALU_DEP_1)
	v_add_co_u32 v5, s6, s12, v5
	v_add_co_ci_u32_e64 v6, null, s13, 0, s6
	flat_load_d16_b16 v3, v[5:6] offset:2048
.LBB373_46:
	;; [unrolled: 27-line block ×3, first 2 shown]
	s_or_b32 exec_lo, exec_lo, s14
	v_or_b32_e32 v5, 0x700, v0
	s_delay_alu instid0(VALU_DEP_1) | instskip(NEXT) | instid1(VALU_DEP_1)
	v_cmp_gt_u32_e64 s14, s8, v5
	s_and_saveexec_b32 s8, s14
	s_cbranch_execz .LBB373_52
; %bb.51:
	v_lshlrev_b32_e32 v5, 1, v0
	s_delay_alu instid0(VALU_DEP_1) | instskip(NEXT) | instid1(VALU_DEP_1)
	v_add_co_u32 v5, s12, s12, v5
	v_add_co_ci_u32_e64 v6, null, s13, 0, s12
	s_waitcnt vmcnt(0) lgkmcnt(0)
	flat_load_d16_hi_b16 v4, v[5:6] offset:3584
.LBB373_52:
	s_or_b32 exec_lo, exec_lo, s8
	s_cmp_lg_u64 s[18:19], 0
                                        ; implicit-def: $vgpr5
	s_cselect_b32 s8, -1, 0
	s_and_saveexec_b32 s12, s0
	s_cbranch_execz .LBB373_57
; %bb.53:
	v_mov_b32_e32 v5, 0
	v_mov_b32_e32 v6, 0
	s_and_not1_b32 vcc_lo, exec_lo, s8
	s_cbranch_vccnz .LBB373_57
; %bb.54:
	v_dual_mov_b32 v7, s18 :: v_dual_mov_b32 v8, s19
	s_mov_b32 s13, 0
	.p2align	6
.LBB373_55:                             ; =>This Inner Loop Header: Depth=1
	s_delay_alu instid0(VALU_DEP_1) | instskip(NEXT) | instid1(VALU_DEP_2)
	v_sub_co_u32 v9, vcc_lo, v7, v5
	v_sub_co_ci_u32_e32 v10, vcc_lo, v8, v6, vcc_lo
	s_delay_alu instid0(VALU_DEP_1) | instskip(SKIP_1) | instid1(VALU_DEP_2)
	v_lshrrev_b64 v[11:12], 1, v[9:10]
	v_lshrrev_b64 v[9:10], 6, v[9:10]
	v_add_co_u32 v11, vcc_lo, v11, v5
	s_delay_alu instid0(VALU_DEP_3) | instskip(NEXT) | instid1(VALU_DEP_2)
	v_add_co_ci_u32_e32 v12, vcc_lo, v12, v6, vcc_lo
	v_add_co_u32 v9, vcc_lo, v11, v9
	s_delay_alu instid0(VALU_DEP_2) | instskip(NEXT) | instid1(VALU_DEP_1)
	v_add_co_ci_u32_e32 v10, vcc_lo, v12, v10, vcc_lo
	v_lshlrev_b64 v[11:12], 1, v[9:10]
	s_delay_alu instid0(VALU_DEP_1) | instskip(NEXT) | instid1(VALU_DEP_2)
	v_add_co_u32 v11, vcc_lo, s16, v11
	v_add_co_ci_u32_e32 v12, vcc_lo, s17, v12, vcc_lo
	global_load_u16 v11, v[11:12], off
	v_add_co_u32 v12, vcc_lo, v9, 1
	v_add_co_ci_u32_e32 v13, vcc_lo, 0, v10, vcc_lo
	s_waitcnt vmcnt(0) lgkmcnt(0)
	v_cmp_gt_u16_e32 vcc_lo, v11, v1
	v_dual_cndmask_b32 v8, v8, v10 :: v_dual_cndmask_b32 v7, v7, v9
	s_delay_alu instid0(VALU_DEP_3) | instskip(NEXT) | instid1(VALU_DEP_1)
	v_dual_cndmask_b32 v6, v13, v6 :: v_dual_cndmask_b32 v5, v12, v5
	v_cmp_ge_u64_e32 vcc_lo, v[5:6], v[7:8]
	s_or_b32 s13, vcc_lo, s13
	s_delay_alu instid0(SALU_CYCLE_1)
	s_and_not1_b32 exec_lo, exec_lo, s13
	s_cbranch_execnz .LBB373_55
; %bb.56:
	s_or_b32 exec_lo, exec_lo, s13
.LBB373_57:
	s_delay_alu instid0(SALU_CYCLE_1)
	s_or_b32 exec_lo, exec_lo, s12
                                        ; implicit-def: $vgpr6
	s_and_saveexec_b32 s12, s1
	s_cbranch_execz .LBB373_62
; %bb.58:
	s_and_not1_b32 vcc_lo, exec_lo, s8
	s_cbranch_vccnz .LBB373_67
; %bb.59:
	v_mov_b32_e32 v6, 0
	v_dual_mov_b32 v7, 0 :: v_dual_mov_b32 v8, s18
	s_waitcnt vmcnt(0) lgkmcnt(0)
	v_lshrrev_b32_e32 v1, 16, v1
	v_mov_b32_e32 v9, s19
	s_mov_b32 s13, 0
	.p2align	6
.LBB373_60:                             ; =>This Inner Loop Header: Depth=1
	v_sub_co_u32 v10, vcc_lo, v8, v6
	s_delay_alu instid0(VALU_DEP_2) | instskip(NEXT) | instid1(VALU_DEP_1)
	v_sub_co_ci_u32_e32 v11, vcc_lo, v9, v7, vcc_lo
	v_lshrrev_b64 v[12:13], 1, v[10:11]
	v_lshrrev_b64 v[10:11], 6, v[10:11]
	s_delay_alu instid0(VALU_DEP_2) | instskip(NEXT) | instid1(VALU_DEP_3)
	v_add_co_u32 v12, vcc_lo, v12, v6
	v_add_co_ci_u32_e32 v13, vcc_lo, v13, v7, vcc_lo
	s_delay_alu instid0(VALU_DEP_2) | instskip(NEXT) | instid1(VALU_DEP_2)
	v_add_co_u32 v10, vcc_lo, v12, v10
	v_add_co_ci_u32_e32 v11, vcc_lo, v13, v11, vcc_lo
	s_delay_alu instid0(VALU_DEP_1) | instskip(NEXT) | instid1(VALU_DEP_1)
	v_lshlrev_b64 v[12:13], 1, v[10:11]
	v_add_co_u32 v12, vcc_lo, s16, v12
	s_delay_alu instid0(VALU_DEP_2)
	v_add_co_ci_u32_e32 v13, vcc_lo, s17, v13, vcc_lo
	global_load_u16 v12, v[12:13], off
	v_add_co_u32 v13, vcc_lo, v10, 1
	v_add_co_ci_u32_e32 v14, vcc_lo, 0, v11, vcc_lo
	s_waitcnt vmcnt(0)
	v_cmp_gt_u16_e32 vcc_lo, v12, v1
	v_dual_cndmask_b32 v9, v9, v11 :: v_dual_cndmask_b32 v8, v8, v10
	s_delay_alu instid0(VALU_DEP_3) | instskip(NEXT) | instid1(VALU_DEP_1)
	v_dual_cndmask_b32 v7, v14, v7 :: v_dual_cndmask_b32 v6, v13, v6
	v_cmp_ge_u64_e32 vcc_lo, v[6:7], v[8:9]
	s_or_b32 s13, vcc_lo, s13
	s_delay_alu instid0(SALU_CYCLE_1)
	s_and_not1_b32 exec_lo, exec_lo, s13
	s_cbranch_execnz .LBB373_60
; %bb.61:
	s_or_b32 exec_lo, exec_lo, s13
.LBB373_62:
	s_delay_alu instid0(SALU_CYCLE_1)
	s_or_b32 exec_lo, exec_lo, s12
                                        ; implicit-def: $vgpr7
	s_and_saveexec_b32 s12, s2
	s_cbranch_execz .LBB373_68
.LBB373_63:
	v_mov_b32_e32 v7, 0
	v_mov_b32_e32 v8, 0
	s_and_not1_b32 vcc_lo, exec_lo, s8
	s_cbranch_vccnz .LBB373_68
; %bb.64:
	v_dual_mov_b32 v9, s18 :: v_dual_mov_b32 v10, s19
	s_mov_b32 s13, 0
	.p2align	6
.LBB373_65:                             ; =>This Inner Loop Header: Depth=1
	s_delay_alu instid0(VALU_DEP_1) | instskip(NEXT) | instid1(VALU_DEP_2)
	v_sub_co_u32 v11, vcc_lo, v9, v7
	v_sub_co_ci_u32_e32 v12, vcc_lo, v10, v8, vcc_lo
	s_delay_alu instid0(VALU_DEP_1) | instskip(SKIP_2) | instid1(VALU_DEP_2)
	v_lshrrev_b64 v[13:14], 1, v[11:12]
	v_lshrrev_b64 v[11:12], 6, v[11:12]
	s_waitcnt vmcnt(0) lgkmcnt(0)
	v_add_co_u32 v1, vcc_lo, v13, v7
	s_delay_alu instid0(VALU_DEP_3) | instskip(NEXT) | instid1(VALU_DEP_2)
	v_add_co_ci_u32_e32 v13, vcc_lo, v14, v8, vcc_lo
	v_add_co_u32 v11, vcc_lo, v1, v11
	s_delay_alu instid0(VALU_DEP_2) | instskip(NEXT) | instid1(VALU_DEP_1)
	v_add_co_ci_u32_e32 v12, vcc_lo, v13, v12, vcc_lo
	v_lshlrev_b64 v[13:14], 1, v[11:12]
	s_delay_alu instid0(VALU_DEP_1) | instskip(NEXT) | instid1(VALU_DEP_2)
	v_add_co_u32 v13, vcc_lo, s16, v13
	v_add_co_ci_u32_e32 v14, vcc_lo, s17, v14, vcc_lo
	global_load_u16 v1, v[13:14], off
	v_add_co_u32 v13, vcc_lo, v11, 1
	v_add_co_ci_u32_e32 v14, vcc_lo, 0, v12, vcc_lo
	s_waitcnt vmcnt(0)
	v_cmp_gt_u16_e32 vcc_lo, v1, v2
	v_dual_cndmask_b32 v10, v10, v12 :: v_dual_cndmask_b32 v9, v9, v11
	s_delay_alu instid0(VALU_DEP_3) | instskip(NEXT) | instid1(VALU_DEP_1)
	v_dual_cndmask_b32 v8, v14, v8 :: v_dual_cndmask_b32 v7, v13, v7
	v_cmp_ge_u64_e32 vcc_lo, v[7:8], v[9:10]
	s_or_b32 s13, vcc_lo, s13
	s_delay_alu instid0(SALU_CYCLE_1)
	s_and_not1_b32 exec_lo, exec_lo, s13
	s_cbranch_execnz .LBB373_65
; %bb.66:
	s_or_b32 exec_lo, exec_lo, s13
	s_branch .LBB373_68
.LBB373_67:
	v_mov_b32_e32 v6, 0
	v_mov_b32_e32 v7, 0
	s_or_b32 exec_lo, exec_lo, s12
                                        ; implicit-def: $vgpr7
	s_and_saveexec_b32 s12, s2
	s_cbranch_execnz .LBB373_63
.LBB373_68:
	s_or_b32 exec_lo, exec_lo, s12
                                        ; implicit-def: $vgpr1
	s_and_saveexec_b32 s12, s3
	s_cbranch_execz .LBB373_73
; %bb.69:
	s_and_not1_b32 vcc_lo, exec_lo, s8
	s_cbranch_vccnz .LBB373_78
; %bb.70:
	s_waitcnt vmcnt(0) lgkmcnt(0)
	v_lshrrev_b32_e32 v10, 16, v2
	v_dual_mov_b32 v1, 0 :: v_dual_mov_b32 v8, s18
	v_dual_mov_b32 v2, 0 :: v_dual_mov_b32 v9, s19
	s_mov_b32 s13, 0
	.p2align	6
.LBB373_71:                             ; =>This Inner Loop Header: Depth=1
	s_delay_alu instid0(VALU_DEP_2) | instskip(NEXT) | instid1(VALU_DEP_2)
	v_sub_co_u32 v11, vcc_lo, v8, v1
	v_sub_co_ci_u32_e32 v12, vcc_lo, v9, v2, vcc_lo
	s_delay_alu instid0(VALU_DEP_1) | instskip(SKIP_1) | instid1(VALU_DEP_2)
	v_lshrrev_b64 v[13:14], 1, v[11:12]
	v_lshrrev_b64 v[11:12], 6, v[11:12]
	v_add_co_u32 v13, vcc_lo, v13, v1
	s_delay_alu instid0(VALU_DEP_3) | instskip(NEXT) | instid1(VALU_DEP_2)
	v_add_co_ci_u32_e32 v14, vcc_lo, v14, v2, vcc_lo
	v_add_co_u32 v11, vcc_lo, v13, v11
	s_delay_alu instid0(VALU_DEP_2) | instskip(NEXT) | instid1(VALU_DEP_1)
	v_add_co_ci_u32_e32 v12, vcc_lo, v14, v12, vcc_lo
	v_lshlrev_b64 v[13:14], 1, v[11:12]
	s_delay_alu instid0(VALU_DEP_1) | instskip(NEXT) | instid1(VALU_DEP_2)
	v_add_co_u32 v13, vcc_lo, s16, v13
	v_add_co_ci_u32_e32 v14, vcc_lo, s17, v14, vcc_lo
	global_load_u16 v13, v[13:14], off
	v_add_co_u32 v14, vcc_lo, v11, 1
	v_add_co_ci_u32_e32 v15, vcc_lo, 0, v12, vcc_lo
	s_waitcnt vmcnt(0)
	v_cmp_gt_u16_e32 vcc_lo, v13, v10
	v_dual_cndmask_b32 v9, v9, v12 :: v_dual_cndmask_b32 v8, v8, v11
	s_delay_alu instid0(VALU_DEP_3) | instskip(NEXT) | instid1(VALU_DEP_1)
	v_dual_cndmask_b32 v2, v15, v2 :: v_dual_cndmask_b32 v1, v14, v1
	v_cmp_ge_u64_e32 vcc_lo, v[1:2], v[8:9]
	s_or_b32 s13, vcc_lo, s13
	s_delay_alu instid0(SALU_CYCLE_1)
	s_and_not1_b32 exec_lo, exec_lo, s13
	s_cbranch_execnz .LBB373_71
; %bb.72:
	s_or_b32 exec_lo, exec_lo, s13
.LBB373_73:
	s_delay_alu instid0(SALU_CYCLE_1)
	s_or_b32 exec_lo, exec_lo, s12
                                        ; implicit-def: $vgpr8
	s_and_saveexec_b32 s12, s4
	s_cbranch_execz .LBB373_79
.LBB373_74:
	v_mov_b32_e32 v8, 0
	v_mov_b32_e32 v9, 0
	s_and_not1_b32 vcc_lo, exec_lo, s8
	s_cbranch_vccnz .LBB373_79
; %bb.75:
	v_dual_mov_b32 v10, s18 :: v_dual_mov_b32 v11, s19
	s_mov_b32 s13, 0
	.p2align	6
.LBB373_76:                             ; =>This Inner Loop Header: Depth=1
	s_delay_alu instid0(VALU_DEP_1) | instskip(NEXT) | instid1(VALU_DEP_2)
	v_sub_co_u32 v12, vcc_lo, v10, v8
	v_sub_co_ci_u32_e32 v13, vcc_lo, v11, v9, vcc_lo
	s_delay_alu instid0(VALU_DEP_1) | instskip(SKIP_2) | instid1(VALU_DEP_2)
	v_lshrrev_b64 v[14:15], 1, v[12:13]
	v_lshrrev_b64 v[12:13], 6, v[12:13]
	s_waitcnt vmcnt(0) lgkmcnt(0)
	v_add_co_u32 v2, vcc_lo, v14, v8
	s_delay_alu instid0(VALU_DEP_3) | instskip(NEXT) | instid1(VALU_DEP_2)
	v_add_co_ci_u32_e32 v14, vcc_lo, v15, v9, vcc_lo
	v_add_co_u32 v12, vcc_lo, v2, v12
	s_delay_alu instid0(VALU_DEP_2) | instskip(NEXT) | instid1(VALU_DEP_1)
	v_add_co_ci_u32_e32 v13, vcc_lo, v14, v13, vcc_lo
	v_lshlrev_b64 v[14:15], 1, v[12:13]
	s_delay_alu instid0(VALU_DEP_1) | instskip(NEXT) | instid1(VALU_DEP_2)
	v_add_co_u32 v14, vcc_lo, s16, v14
	v_add_co_ci_u32_e32 v15, vcc_lo, s17, v15, vcc_lo
	global_load_u16 v2, v[14:15], off
	v_add_co_u32 v14, vcc_lo, v12, 1
	v_add_co_ci_u32_e32 v15, vcc_lo, 0, v13, vcc_lo
	s_waitcnt vmcnt(0)
	v_cmp_gt_u16_e32 vcc_lo, v2, v3
	v_dual_cndmask_b32 v11, v11, v13 :: v_dual_cndmask_b32 v10, v10, v12
	s_delay_alu instid0(VALU_DEP_3) | instskip(NEXT) | instid1(VALU_DEP_1)
	v_dual_cndmask_b32 v9, v15, v9 :: v_dual_cndmask_b32 v8, v14, v8
	v_cmp_ge_u64_e32 vcc_lo, v[8:9], v[10:11]
	s_or_b32 s13, vcc_lo, s13
	s_delay_alu instid0(SALU_CYCLE_1)
	s_and_not1_b32 exec_lo, exec_lo, s13
	s_cbranch_execnz .LBB373_76
; %bb.77:
	s_or_b32 exec_lo, exec_lo, s13
	s_branch .LBB373_79
.LBB373_78:
	s_waitcnt vmcnt(0) lgkmcnt(0)
	v_mov_b32_e32 v1, 0
	v_mov_b32_e32 v2, 0
	s_or_b32 exec_lo, exec_lo, s12
                                        ; implicit-def: $vgpr8
	s_and_saveexec_b32 s12, s4
	s_cbranch_execnz .LBB373_74
.LBB373_79:
	s_or_b32 exec_lo, exec_lo, s12
                                        ; implicit-def: $vgpr2
	s_and_saveexec_b32 s12, s5
	s_cbranch_execnz .LBB373_82
; %bb.80:
	s_or_b32 exec_lo, exec_lo, s12
                                        ; implicit-def: $vgpr11
	s_and_saveexec_b32 s12, s6
	s_cbranch_execnz .LBB373_87
.LBB373_81:
	s_or_b32 exec_lo, exec_lo, s12
                                        ; implicit-def: $vgpr9
	s_and_saveexec_b32 s12, s14
	s_cbranch_execnz .LBB373_92
	s_branch .LBB373_97
.LBB373_82:
	s_and_not1_b32 vcc_lo, exec_lo, s8
	s_cbranch_vccnz .LBB373_86
; %bb.83:
	s_waitcnt vmcnt(0) lgkmcnt(0)
	v_lshrrev_b32_e32 v11, 16, v3
	v_dual_mov_b32 v2, 0 :: v_dual_mov_b32 v9, s18
	v_dual_mov_b32 v3, 0 :: v_dual_mov_b32 v10, s19
	s_mov_b32 s13, 0
	.p2align	6
.LBB373_84:                             ; =>This Inner Loop Header: Depth=1
	s_delay_alu instid0(VALU_DEP_2) | instskip(NEXT) | instid1(VALU_DEP_2)
	v_sub_co_u32 v12, vcc_lo, v9, v2
	v_sub_co_ci_u32_e32 v13, vcc_lo, v10, v3, vcc_lo
	s_delay_alu instid0(VALU_DEP_1) | instskip(SKIP_1) | instid1(VALU_DEP_2)
	v_lshrrev_b64 v[14:15], 1, v[12:13]
	v_lshrrev_b64 v[12:13], 6, v[12:13]
	v_add_co_u32 v14, vcc_lo, v14, v2
	s_delay_alu instid0(VALU_DEP_3) | instskip(NEXT) | instid1(VALU_DEP_2)
	v_add_co_ci_u32_e32 v15, vcc_lo, v15, v3, vcc_lo
	v_add_co_u32 v12, vcc_lo, v14, v12
	s_delay_alu instid0(VALU_DEP_2) | instskip(NEXT) | instid1(VALU_DEP_1)
	v_add_co_ci_u32_e32 v13, vcc_lo, v15, v13, vcc_lo
	v_lshlrev_b64 v[14:15], 1, v[12:13]
	s_delay_alu instid0(VALU_DEP_1) | instskip(NEXT) | instid1(VALU_DEP_2)
	v_add_co_u32 v14, vcc_lo, s16, v14
	v_add_co_ci_u32_e32 v15, vcc_lo, s17, v15, vcc_lo
	global_load_u16 v14, v[14:15], off
	v_add_co_u32 v15, vcc_lo, v12, 1
	v_add_co_ci_u32_e32 v16, vcc_lo, 0, v13, vcc_lo
	s_waitcnt vmcnt(0)
	v_cmp_gt_u16_e32 vcc_lo, v14, v11
	v_dual_cndmask_b32 v10, v10, v13 :: v_dual_cndmask_b32 v9, v9, v12
	s_delay_alu instid0(VALU_DEP_3) | instskip(NEXT) | instid1(VALU_DEP_1)
	v_dual_cndmask_b32 v3, v16, v3 :: v_dual_cndmask_b32 v2, v15, v2
	v_cmp_ge_u64_e32 vcc_lo, v[2:3], v[9:10]
	s_or_b32 s13, vcc_lo, s13
	s_delay_alu instid0(SALU_CYCLE_1)
	s_and_not1_b32 exec_lo, exec_lo, s13
	s_cbranch_execnz .LBB373_84
; %bb.85:
	s_or_b32 exec_lo, exec_lo, s13
	s_delay_alu instid0(SALU_CYCLE_1)
	s_or_b32 exec_lo, exec_lo, s12
                                        ; implicit-def: $vgpr11
	s_and_saveexec_b32 s12, s6
	s_cbranch_execz .LBB373_81
	s_branch .LBB373_87
.LBB373_86:
	s_waitcnt vmcnt(0) lgkmcnt(0)
	v_mov_b32_e32 v2, 0
	s_or_b32 exec_lo, exec_lo, s12
                                        ; implicit-def: $vgpr11
	s_and_saveexec_b32 s12, s6
	s_cbranch_execz .LBB373_81
.LBB373_87:
	s_and_not1_b32 vcc_lo, exec_lo, s8
	s_cbranch_vccnz .LBB373_91
; %bb.88:
	v_mov_b32_e32 v11, 0
	v_dual_mov_b32 v12, 0 :: v_dual_mov_b32 v9, s18
	v_mov_b32_e32 v10, s19
	s_mov_b32 s13, 0
	.p2align	6
.LBB373_89:                             ; =>This Inner Loop Header: Depth=1
	s_delay_alu instid0(VALU_DEP_2) | instskip(NEXT) | instid1(VALU_DEP_2)
	v_sub_co_u32 v13, vcc_lo, v9, v11
	v_sub_co_ci_u32_e32 v14, vcc_lo, v10, v12, vcc_lo
	s_delay_alu instid0(VALU_DEP_1) | instskip(SKIP_2) | instid1(VALU_DEP_2)
	v_lshrrev_b64 v[15:16], 1, v[13:14]
	v_lshrrev_b64 v[13:14], 6, v[13:14]
	s_waitcnt vmcnt(0) lgkmcnt(0)
	v_add_co_u32 v3, vcc_lo, v15, v11
	s_delay_alu instid0(VALU_DEP_3) | instskip(NEXT) | instid1(VALU_DEP_2)
	v_add_co_ci_u32_e32 v15, vcc_lo, v16, v12, vcc_lo
	v_add_co_u32 v13, vcc_lo, v3, v13
	s_delay_alu instid0(VALU_DEP_2) | instskip(NEXT) | instid1(VALU_DEP_1)
	v_add_co_ci_u32_e32 v14, vcc_lo, v15, v14, vcc_lo
	v_lshlrev_b64 v[15:16], 1, v[13:14]
	s_delay_alu instid0(VALU_DEP_1) | instskip(NEXT) | instid1(VALU_DEP_2)
	v_add_co_u32 v15, vcc_lo, s16, v15
	v_add_co_ci_u32_e32 v16, vcc_lo, s17, v16, vcc_lo
	global_load_u16 v3, v[15:16], off
	v_add_co_u32 v15, vcc_lo, v13, 1
	v_add_co_ci_u32_e32 v16, vcc_lo, 0, v14, vcc_lo
	s_waitcnt vmcnt(0)
	v_cmp_gt_u16_e32 vcc_lo, v3, v4
	v_dual_cndmask_b32 v10, v10, v14 :: v_dual_cndmask_b32 v9, v9, v13
	s_delay_alu instid0(VALU_DEP_3) | instskip(NEXT) | instid1(VALU_DEP_1)
	v_dual_cndmask_b32 v12, v16, v12 :: v_dual_cndmask_b32 v11, v15, v11
	v_cmp_ge_u64_e32 vcc_lo, v[11:12], v[9:10]
	s_or_b32 s13, vcc_lo, s13
	s_delay_alu instid0(SALU_CYCLE_1)
	s_and_not1_b32 exec_lo, exec_lo, s13
	s_cbranch_execnz .LBB373_89
; %bb.90:
	s_or_b32 exec_lo, exec_lo, s13
	s_delay_alu instid0(SALU_CYCLE_1)
	s_or_b32 exec_lo, exec_lo, s12
                                        ; implicit-def: $vgpr9
	s_and_saveexec_b32 s12, s14
	s_cbranch_execnz .LBB373_92
	s_branch .LBB373_97
.LBB373_91:
	v_mov_b32_e32 v11, 0
	s_or_b32 exec_lo, exec_lo, s12
                                        ; implicit-def: $vgpr9
	s_and_saveexec_b32 s12, s14
	s_cbranch_execz .LBB373_97
.LBB373_92:
	s_and_not1_b32 vcc_lo, exec_lo, s8
	s_cbranch_vccnz .LBB373_96
; %bb.93:
	v_mov_b32_e32 v9, 0
	s_waitcnt vmcnt(0) lgkmcnt(0)
	v_lshrrev_b32_e32 v12, 16, v4
	v_dual_mov_b32 v10, 0 :: v_dual_mov_b32 v3, s18
	v_mov_b32_e32 v4, s19
	s_mov_b32 s8, 0
	.p2align	6
.LBB373_94:                             ; =>This Inner Loop Header: Depth=1
	s_delay_alu instid0(VALU_DEP_2) | instskip(NEXT) | instid1(VALU_DEP_2)
	v_sub_co_u32 v13, vcc_lo, v3, v9
	v_sub_co_ci_u32_e32 v14, vcc_lo, v4, v10, vcc_lo
	s_delay_alu instid0(VALU_DEP_1) | instskip(SKIP_1) | instid1(VALU_DEP_2)
	v_lshrrev_b64 v[15:16], 1, v[13:14]
	v_lshrrev_b64 v[13:14], 6, v[13:14]
	v_add_co_u32 v15, vcc_lo, v15, v9
	s_delay_alu instid0(VALU_DEP_3) | instskip(NEXT) | instid1(VALU_DEP_2)
	v_add_co_ci_u32_e32 v16, vcc_lo, v16, v10, vcc_lo
	v_add_co_u32 v13, vcc_lo, v15, v13
	s_delay_alu instid0(VALU_DEP_2) | instskip(NEXT) | instid1(VALU_DEP_1)
	v_add_co_ci_u32_e32 v14, vcc_lo, v16, v14, vcc_lo
	v_lshlrev_b64 v[15:16], 1, v[13:14]
	s_delay_alu instid0(VALU_DEP_1) | instskip(NEXT) | instid1(VALU_DEP_2)
	v_add_co_u32 v15, vcc_lo, s16, v15
	v_add_co_ci_u32_e32 v16, vcc_lo, s17, v16, vcc_lo
	global_load_u16 v15, v[15:16], off
	v_add_co_u32 v16, vcc_lo, v13, 1
	v_add_co_ci_u32_e32 v17, vcc_lo, 0, v14, vcc_lo
	s_waitcnt vmcnt(0)
	v_cmp_gt_u16_e32 vcc_lo, v15, v12
	v_dual_cndmask_b32 v4, v4, v14 :: v_dual_cndmask_b32 v3, v3, v13
	s_delay_alu instid0(VALU_DEP_3) | instskip(NEXT) | instid1(VALU_DEP_1)
	v_dual_cndmask_b32 v10, v17, v10 :: v_dual_cndmask_b32 v9, v16, v9
	v_cmp_ge_u64_e32 vcc_lo, v[9:10], v[3:4]
	s_or_b32 s8, vcc_lo, s8
	s_delay_alu instid0(SALU_CYCLE_1)
	s_and_not1_b32 exec_lo, exec_lo, s8
	s_cbranch_execnz .LBB373_94
; %bb.95:
	s_or_b32 exec_lo, exec_lo, s8
	s_branch .LBB373_97
.LBB373_96:
	v_mov_b32_e32 v9, 0
.LBB373_97:
	s_or_b32 exec_lo, exec_lo, s12
	v_lshlrev_b32_e32 v0, 2, v0
	s_lshl_b64 s[10:11], s[10:11], 2
	s_delay_alu instid0(SALU_CYCLE_1) | instskip(SKIP_1) | instid1(VALU_DEP_1)
	s_add_u32 s7, s7, s10
	s_addc_u32 s8, s9, s11
	v_add_co_u32 v12, s7, s7, v0
	s_delay_alu instid0(VALU_DEP_1) | instskip(SKIP_1) | instid1(SALU_CYCLE_1)
	v_add_co_ci_u32_e64 v13, null, s8, 0, s7
	s_and_saveexec_b32 s7, s0
	s_xor_b32 s0, exec_lo, s7
	s_cbranch_execz .LBB373_99
; %bb.98:
	flat_store_b32 v[12:13], v5
.LBB373_99:
	s_or_b32 exec_lo, exec_lo, s0
	s_and_saveexec_b32 s0, s1
	s_cbranch_execnz .LBB373_110
; %bb.100:
	s_or_b32 exec_lo, exec_lo, s0
	s_and_saveexec_b32 s0, s2
	s_cbranch_execnz .LBB373_111
.LBB373_101:
	s_or_b32 exec_lo, exec_lo, s0
	s_and_saveexec_b32 s0, s3
	s_cbranch_execnz .LBB373_112
.LBB373_102:
	s_or_b32 exec_lo, exec_lo, s0
	s_and_saveexec_b32 s0, s4
	s_cbranch_execnz .LBB373_113
.LBB373_103:
	s_or_b32 exec_lo, exec_lo, s0
	s_and_saveexec_b32 s0, s5
	s_cbranch_execnz .LBB373_114
.LBB373_104:
	s_or_b32 exec_lo, exec_lo, s0
	s_and_saveexec_b32 s0, s6
	s_cbranch_execz .LBB373_106
.LBB373_105:
	v_add_co_u32 v0, vcc_lo, 0x1000, v12
	s_waitcnt vmcnt(0) lgkmcnt(0)
	v_add_co_ci_u32_e32 v1, vcc_lo, 0, v13, vcc_lo
	flat_store_b32 v[0:1], v11 offset:2048
.LBB373_106:
	s_or_b32 exec_lo, exec_lo, s0
.LBB373_107:
	s_and_saveexec_b32 s0, s14
	s_cbranch_execnz .LBB373_109
; %bb.108:
	s_endpgm
.LBB373_109:
	v_add_co_u32 v0, vcc_lo, 0x1000, v12
	s_waitcnt vmcnt(0) lgkmcnt(0)
	v_add_co_ci_u32_e32 v1, vcc_lo, 0, v13, vcc_lo
	flat_store_b32 v[0:1], v9 offset:3072
	s_endpgm
.LBB373_110:
	flat_store_b32 v[12:13], v6 offset:1024
	s_or_b32 exec_lo, exec_lo, s0
	s_and_saveexec_b32 s0, s2
	s_cbranch_execz .LBB373_101
.LBB373_111:
	flat_store_b32 v[12:13], v7 offset:2048
	s_or_b32 exec_lo, exec_lo, s0
	s_and_saveexec_b32 s0, s3
	s_cbranch_execz .LBB373_102
.LBB373_112:
	s_waitcnt vmcnt(0) lgkmcnt(0)
	flat_store_b32 v[12:13], v1 offset:3072
	s_or_b32 exec_lo, exec_lo, s0
	s_and_saveexec_b32 s0, s4
	s_cbranch_execz .LBB373_103
.LBB373_113:
	v_add_co_u32 v0, vcc_lo, 0x1000, v12
	s_waitcnt vmcnt(0) lgkmcnt(0)
	v_add_co_ci_u32_e32 v1, vcc_lo, 0, v13, vcc_lo
	flat_store_b32 v[0:1], v8
	s_or_b32 exec_lo, exec_lo, s0
	s_and_saveexec_b32 s0, s5
	s_cbranch_execz .LBB373_104
.LBB373_114:
	v_add_co_u32 v0, vcc_lo, 0x1000, v12
	s_waitcnt vmcnt(0) lgkmcnt(0)
	v_add_co_ci_u32_e32 v1, vcc_lo, 0, v13, vcc_lo
	flat_store_b32 v[0:1], v2 offset:1024
	s_or_b32 exec_lo, exec_lo, s0
	s_and_saveexec_b32 s0, s6
	s_cbranch_execnz .LBB373_105
	s_branch .LBB373_106
	.section	.rodata,"a",@progbits
	.p2align	6, 0x0
	.amdhsa_kernel _ZN7rocprim17ROCPRIM_400000_NS6detail17trampoline_kernelINS0_14default_configENS1_27upper_bound_config_selectorItiEEZNS1_14transform_implILb0ES3_S5_N6thrust23THRUST_200600_302600_NS6detail15normal_iteratorINS8_10device_ptrItEEEENSA_INSB_IiEEEEZNS1_13binary_searchIS3_S5_SD_SD_SF_NS1_21upper_bound_search_opENS9_16wrapped_functionINS0_4lessIvEEbEEEE10hipError_tPvRmT1_T2_T3_mmT4_T5_P12ihipStream_tbEUlRKtE_EESM_SQ_SR_mSS_SV_bEUlT_E_NS1_11comp_targetILNS1_3genE9ELNS1_11target_archE1100ELNS1_3gpuE3ELNS1_3repE0EEENS1_30default_config_static_selectorELNS0_4arch9wavefront6targetE0EEEvSP_
		.amdhsa_group_segment_fixed_size 0
		.amdhsa_private_segment_fixed_size 0
		.amdhsa_kernarg_size 312
		.amdhsa_user_sgpr_count 15
		.amdhsa_user_sgpr_dispatch_ptr 0
		.amdhsa_user_sgpr_queue_ptr 0
		.amdhsa_user_sgpr_kernarg_segment_ptr 1
		.amdhsa_user_sgpr_dispatch_id 0
		.amdhsa_user_sgpr_private_segment_size 0
		.amdhsa_wavefront_size32 1
		.amdhsa_uses_dynamic_stack 0
		.amdhsa_enable_private_segment 0
		.amdhsa_system_sgpr_workgroup_id_x 1
		.amdhsa_system_sgpr_workgroup_id_y 0
		.amdhsa_system_sgpr_workgroup_id_z 0
		.amdhsa_system_sgpr_workgroup_info 0
		.amdhsa_system_vgpr_workitem_id 0
		.amdhsa_next_free_vgpr 19
		.amdhsa_next_free_sgpr 20
		.amdhsa_reserve_vcc 1
		.amdhsa_float_round_mode_32 0
		.amdhsa_float_round_mode_16_64 0
		.amdhsa_float_denorm_mode_32 3
		.amdhsa_float_denorm_mode_16_64 3
		.amdhsa_dx10_clamp 1
		.amdhsa_ieee_mode 1
		.amdhsa_fp16_overflow 0
		.amdhsa_workgroup_processor_mode 1
		.amdhsa_memory_ordered 1
		.amdhsa_forward_progress 0
		.amdhsa_shared_vgpr_count 0
		.amdhsa_exception_fp_ieee_invalid_op 0
		.amdhsa_exception_fp_denorm_src 0
		.amdhsa_exception_fp_ieee_div_zero 0
		.amdhsa_exception_fp_ieee_overflow 0
		.amdhsa_exception_fp_ieee_underflow 0
		.amdhsa_exception_fp_ieee_inexact 0
		.amdhsa_exception_int_div_zero 0
	.end_amdhsa_kernel
	.section	.text._ZN7rocprim17ROCPRIM_400000_NS6detail17trampoline_kernelINS0_14default_configENS1_27upper_bound_config_selectorItiEEZNS1_14transform_implILb0ES3_S5_N6thrust23THRUST_200600_302600_NS6detail15normal_iteratorINS8_10device_ptrItEEEENSA_INSB_IiEEEEZNS1_13binary_searchIS3_S5_SD_SD_SF_NS1_21upper_bound_search_opENS9_16wrapped_functionINS0_4lessIvEEbEEEE10hipError_tPvRmT1_T2_T3_mmT4_T5_P12ihipStream_tbEUlRKtE_EESM_SQ_SR_mSS_SV_bEUlT_E_NS1_11comp_targetILNS1_3genE9ELNS1_11target_archE1100ELNS1_3gpuE3ELNS1_3repE0EEENS1_30default_config_static_selectorELNS0_4arch9wavefront6targetE0EEEvSP_,"axG",@progbits,_ZN7rocprim17ROCPRIM_400000_NS6detail17trampoline_kernelINS0_14default_configENS1_27upper_bound_config_selectorItiEEZNS1_14transform_implILb0ES3_S5_N6thrust23THRUST_200600_302600_NS6detail15normal_iteratorINS8_10device_ptrItEEEENSA_INSB_IiEEEEZNS1_13binary_searchIS3_S5_SD_SD_SF_NS1_21upper_bound_search_opENS9_16wrapped_functionINS0_4lessIvEEbEEEE10hipError_tPvRmT1_T2_T3_mmT4_T5_P12ihipStream_tbEUlRKtE_EESM_SQ_SR_mSS_SV_bEUlT_E_NS1_11comp_targetILNS1_3genE9ELNS1_11target_archE1100ELNS1_3gpuE3ELNS1_3repE0EEENS1_30default_config_static_selectorELNS0_4arch9wavefront6targetE0EEEvSP_,comdat
.Lfunc_end373:
	.size	_ZN7rocprim17ROCPRIM_400000_NS6detail17trampoline_kernelINS0_14default_configENS1_27upper_bound_config_selectorItiEEZNS1_14transform_implILb0ES3_S5_N6thrust23THRUST_200600_302600_NS6detail15normal_iteratorINS8_10device_ptrItEEEENSA_INSB_IiEEEEZNS1_13binary_searchIS3_S5_SD_SD_SF_NS1_21upper_bound_search_opENS9_16wrapped_functionINS0_4lessIvEEbEEEE10hipError_tPvRmT1_T2_T3_mmT4_T5_P12ihipStream_tbEUlRKtE_EESM_SQ_SR_mSS_SV_bEUlT_E_NS1_11comp_targetILNS1_3genE9ELNS1_11target_archE1100ELNS1_3gpuE3ELNS1_3repE0EEENS1_30default_config_static_selectorELNS0_4arch9wavefront6targetE0EEEvSP_, .Lfunc_end373-_ZN7rocprim17ROCPRIM_400000_NS6detail17trampoline_kernelINS0_14default_configENS1_27upper_bound_config_selectorItiEEZNS1_14transform_implILb0ES3_S5_N6thrust23THRUST_200600_302600_NS6detail15normal_iteratorINS8_10device_ptrItEEEENSA_INSB_IiEEEEZNS1_13binary_searchIS3_S5_SD_SD_SF_NS1_21upper_bound_search_opENS9_16wrapped_functionINS0_4lessIvEEbEEEE10hipError_tPvRmT1_T2_T3_mmT4_T5_P12ihipStream_tbEUlRKtE_EESM_SQ_SR_mSS_SV_bEUlT_E_NS1_11comp_targetILNS1_3genE9ELNS1_11target_archE1100ELNS1_3gpuE3ELNS1_3repE0EEENS1_30default_config_static_selectorELNS0_4arch9wavefront6targetE0EEEvSP_
                                        ; -- End function
	.section	.AMDGPU.csdata,"",@progbits
; Kernel info:
; codeLenInByte = 4756
; NumSgprs: 22
; NumVgprs: 19
; ScratchSize: 0
; MemoryBound: 0
; FloatMode: 240
; IeeeMode: 1
; LDSByteSize: 0 bytes/workgroup (compile time only)
; SGPRBlocks: 2
; VGPRBlocks: 2
; NumSGPRsForWavesPerEU: 22
; NumVGPRsForWavesPerEU: 19
; Occupancy: 16
; WaveLimiterHint : 1
; COMPUTE_PGM_RSRC2:SCRATCH_EN: 0
; COMPUTE_PGM_RSRC2:USER_SGPR: 15
; COMPUTE_PGM_RSRC2:TRAP_HANDLER: 0
; COMPUTE_PGM_RSRC2:TGID_X_EN: 1
; COMPUTE_PGM_RSRC2:TGID_Y_EN: 0
; COMPUTE_PGM_RSRC2:TGID_Z_EN: 0
; COMPUTE_PGM_RSRC2:TIDIG_COMP_CNT: 0
	.section	.text._ZN7rocprim17ROCPRIM_400000_NS6detail17trampoline_kernelINS0_14default_configENS1_27upper_bound_config_selectorItiEEZNS1_14transform_implILb0ES3_S5_N6thrust23THRUST_200600_302600_NS6detail15normal_iteratorINS8_10device_ptrItEEEENSA_INSB_IiEEEEZNS1_13binary_searchIS3_S5_SD_SD_SF_NS1_21upper_bound_search_opENS9_16wrapped_functionINS0_4lessIvEEbEEEE10hipError_tPvRmT1_T2_T3_mmT4_T5_P12ihipStream_tbEUlRKtE_EESM_SQ_SR_mSS_SV_bEUlT_E_NS1_11comp_targetILNS1_3genE8ELNS1_11target_archE1030ELNS1_3gpuE2ELNS1_3repE0EEENS1_30default_config_static_selectorELNS0_4arch9wavefront6targetE0EEEvSP_,"axG",@progbits,_ZN7rocprim17ROCPRIM_400000_NS6detail17trampoline_kernelINS0_14default_configENS1_27upper_bound_config_selectorItiEEZNS1_14transform_implILb0ES3_S5_N6thrust23THRUST_200600_302600_NS6detail15normal_iteratorINS8_10device_ptrItEEEENSA_INSB_IiEEEEZNS1_13binary_searchIS3_S5_SD_SD_SF_NS1_21upper_bound_search_opENS9_16wrapped_functionINS0_4lessIvEEbEEEE10hipError_tPvRmT1_T2_T3_mmT4_T5_P12ihipStream_tbEUlRKtE_EESM_SQ_SR_mSS_SV_bEUlT_E_NS1_11comp_targetILNS1_3genE8ELNS1_11target_archE1030ELNS1_3gpuE2ELNS1_3repE0EEENS1_30default_config_static_selectorELNS0_4arch9wavefront6targetE0EEEvSP_,comdat
	.protected	_ZN7rocprim17ROCPRIM_400000_NS6detail17trampoline_kernelINS0_14default_configENS1_27upper_bound_config_selectorItiEEZNS1_14transform_implILb0ES3_S5_N6thrust23THRUST_200600_302600_NS6detail15normal_iteratorINS8_10device_ptrItEEEENSA_INSB_IiEEEEZNS1_13binary_searchIS3_S5_SD_SD_SF_NS1_21upper_bound_search_opENS9_16wrapped_functionINS0_4lessIvEEbEEEE10hipError_tPvRmT1_T2_T3_mmT4_T5_P12ihipStream_tbEUlRKtE_EESM_SQ_SR_mSS_SV_bEUlT_E_NS1_11comp_targetILNS1_3genE8ELNS1_11target_archE1030ELNS1_3gpuE2ELNS1_3repE0EEENS1_30default_config_static_selectorELNS0_4arch9wavefront6targetE0EEEvSP_ ; -- Begin function _ZN7rocprim17ROCPRIM_400000_NS6detail17trampoline_kernelINS0_14default_configENS1_27upper_bound_config_selectorItiEEZNS1_14transform_implILb0ES3_S5_N6thrust23THRUST_200600_302600_NS6detail15normal_iteratorINS8_10device_ptrItEEEENSA_INSB_IiEEEEZNS1_13binary_searchIS3_S5_SD_SD_SF_NS1_21upper_bound_search_opENS9_16wrapped_functionINS0_4lessIvEEbEEEE10hipError_tPvRmT1_T2_T3_mmT4_T5_P12ihipStream_tbEUlRKtE_EESM_SQ_SR_mSS_SV_bEUlT_E_NS1_11comp_targetILNS1_3genE8ELNS1_11target_archE1030ELNS1_3gpuE2ELNS1_3repE0EEENS1_30default_config_static_selectorELNS0_4arch9wavefront6targetE0EEEvSP_
	.globl	_ZN7rocprim17ROCPRIM_400000_NS6detail17trampoline_kernelINS0_14default_configENS1_27upper_bound_config_selectorItiEEZNS1_14transform_implILb0ES3_S5_N6thrust23THRUST_200600_302600_NS6detail15normal_iteratorINS8_10device_ptrItEEEENSA_INSB_IiEEEEZNS1_13binary_searchIS3_S5_SD_SD_SF_NS1_21upper_bound_search_opENS9_16wrapped_functionINS0_4lessIvEEbEEEE10hipError_tPvRmT1_T2_T3_mmT4_T5_P12ihipStream_tbEUlRKtE_EESM_SQ_SR_mSS_SV_bEUlT_E_NS1_11comp_targetILNS1_3genE8ELNS1_11target_archE1030ELNS1_3gpuE2ELNS1_3repE0EEENS1_30default_config_static_selectorELNS0_4arch9wavefront6targetE0EEEvSP_
	.p2align	8
	.type	_ZN7rocprim17ROCPRIM_400000_NS6detail17trampoline_kernelINS0_14default_configENS1_27upper_bound_config_selectorItiEEZNS1_14transform_implILb0ES3_S5_N6thrust23THRUST_200600_302600_NS6detail15normal_iteratorINS8_10device_ptrItEEEENSA_INSB_IiEEEEZNS1_13binary_searchIS3_S5_SD_SD_SF_NS1_21upper_bound_search_opENS9_16wrapped_functionINS0_4lessIvEEbEEEE10hipError_tPvRmT1_T2_T3_mmT4_T5_P12ihipStream_tbEUlRKtE_EESM_SQ_SR_mSS_SV_bEUlT_E_NS1_11comp_targetILNS1_3genE8ELNS1_11target_archE1030ELNS1_3gpuE2ELNS1_3repE0EEENS1_30default_config_static_selectorELNS0_4arch9wavefront6targetE0EEEvSP_,@function
_ZN7rocprim17ROCPRIM_400000_NS6detail17trampoline_kernelINS0_14default_configENS1_27upper_bound_config_selectorItiEEZNS1_14transform_implILb0ES3_S5_N6thrust23THRUST_200600_302600_NS6detail15normal_iteratorINS8_10device_ptrItEEEENSA_INSB_IiEEEEZNS1_13binary_searchIS3_S5_SD_SD_SF_NS1_21upper_bound_search_opENS9_16wrapped_functionINS0_4lessIvEEbEEEE10hipError_tPvRmT1_T2_T3_mmT4_T5_P12ihipStream_tbEUlRKtE_EESM_SQ_SR_mSS_SV_bEUlT_E_NS1_11comp_targetILNS1_3genE8ELNS1_11target_archE1030ELNS1_3gpuE2ELNS1_3repE0EEENS1_30default_config_static_selectorELNS0_4arch9wavefront6targetE0EEEvSP_: ; @_ZN7rocprim17ROCPRIM_400000_NS6detail17trampoline_kernelINS0_14default_configENS1_27upper_bound_config_selectorItiEEZNS1_14transform_implILb0ES3_S5_N6thrust23THRUST_200600_302600_NS6detail15normal_iteratorINS8_10device_ptrItEEEENSA_INSB_IiEEEEZNS1_13binary_searchIS3_S5_SD_SD_SF_NS1_21upper_bound_search_opENS9_16wrapped_functionINS0_4lessIvEEbEEEE10hipError_tPvRmT1_T2_T3_mmT4_T5_P12ihipStream_tbEUlRKtE_EESM_SQ_SR_mSS_SV_bEUlT_E_NS1_11comp_targetILNS1_3genE8ELNS1_11target_archE1030ELNS1_3gpuE2ELNS1_3repE0EEENS1_30default_config_static_selectorELNS0_4arch9wavefront6targetE0EEEvSP_
; %bb.0:
	.section	.rodata,"a",@progbits
	.p2align	6, 0x0
	.amdhsa_kernel _ZN7rocprim17ROCPRIM_400000_NS6detail17trampoline_kernelINS0_14default_configENS1_27upper_bound_config_selectorItiEEZNS1_14transform_implILb0ES3_S5_N6thrust23THRUST_200600_302600_NS6detail15normal_iteratorINS8_10device_ptrItEEEENSA_INSB_IiEEEEZNS1_13binary_searchIS3_S5_SD_SD_SF_NS1_21upper_bound_search_opENS9_16wrapped_functionINS0_4lessIvEEbEEEE10hipError_tPvRmT1_T2_T3_mmT4_T5_P12ihipStream_tbEUlRKtE_EESM_SQ_SR_mSS_SV_bEUlT_E_NS1_11comp_targetILNS1_3genE8ELNS1_11target_archE1030ELNS1_3gpuE2ELNS1_3repE0EEENS1_30default_config_static_selectorELNS0_4arch9wavefront6targetE0EEEvSP_
		.amdhsa_group_segment_fixed_size 0
		.amdhsa_private_segment_fixed_size 0
		.amdhsa_kernarg_size 56
		.amdhsa_user_sgpr_count 15
		.amdhsa_user_sgpr_dispatch_ptr 0
		.amdhsa_user_sgpr_queue_ptr 0
		.amdhsa_user_sgpr_kernarg_segment_ptr 1
		.amdhsa_user_sgpr_dispatch_id 0
		.amdhsa_user_sgpr_private_segment_size 0
		.amdhsa_wavefront_size32 1
		.amdhsa_uses_dynamic_stack 0
		.amdhsa_enable_private_segment 0
		.amdhsa_system_sgpr_workgroup_id_x 1
		.amdhsa_system_sgpr_workgroup_id_y 0
		.amdhsa_system_sgpr_workgroup_id_z 0
		.amdhsa_system_sgpr_workgroup_info 0
		.amdhsa_system_vgpr_workitem_id 0
		.amdhsa_next_free_vgpr 1
		.amdhsa_next_free_sgpr 1
		.amdhsa_reserve_vcc 0
		.amdhsa_float_round_mode_32 0
		.amdhsa_float_round_mode_16_64 0
		.amdhsa_float_denorm_mode_32 3
		.amdhsa_float_denorm_mode_16_64 3
		.amdhsa_dx10_clamp 1
		.amdhsa_ieee_mode 1
		.amdhsa_fp16_overflow 0
		.amdhsa_workgroup_processor_mode 1
		.amdhsa_memory_ordered 1
		.amdhsa_forward_progress 0
		.amdhsa_shared_vgpr_count 0
		.amdhsa_exception_fp_ieee_invalid_op 0
		.amdhsa_exception_fp_denorm_src 0
		.amdhsa_exception_fp_ieee_div_zero 0
		.amdhsa_exception_fp_ieee_overflow 0
		.amdhsa_exception_fp_ieee_underflow 0
		.amdhsa_exception_fp_ieee_inexact 0
		.amdhsa_exception_int_div_zero 0
	.end_amdhsa_kernel
	.section	.text._ZN7rocprim17ROCPRIM_400000_NS6detail17trampoline_kernelINS0_14default_configENS1_27upper_bound_config_selectorItiEEZNS1_14transform_implILb0ES3_S5_N6thrust23THRUST_200600_302600_NS6detail15normal_iteratorINS8_10device_ptrItEEEENSA_INSB_IiEEEEZNS1_13binary_searchIS3_S5_SD_SD_SF_NS1_21upper_bound_search_opENS9_16wrapped_functionINS0_4lessIvEEbEEEE10hipError_tPvRmT1_T2_T3_mmT4_T5_P12ihipStream_tbEUlRKtE_EESM_SQ_SR_mSS_SV_bEUlT_E_NS1_11comp_targetILNS1_3genE8ELNS1_11target_archE1030ELNS1_3gpuE2ELNS1_3repE0EEENS1_30default_config_static_selectorELNS0_4arch9wavefront6targetE0EEEvSP_,"axG",@progbits,_ZN7rocprim17ROCPRIM_400000_NS6detail17trampoline_kernelINS0_14default_configENS1_27upper_bound_config_selectorItiEEZNS1_14transform_implILb0ES3_S5_N6thrust23THRUST_200600_302600_NS6detail15normal_iteratorINS8_10device_ptrItEEEENSA_INSB_IiEEEEZNS1_13binary_searchIS3_S5_SD_SD_SF_NS1_21upper_bound_search_opENS9_16wrapped_functionINS0_4lessIvEEbEEEE10hipError_tPvRmT1_T2_T3_mmT4_T5_P12ihipStream_tbEUlRKtE_EESM_SQ_SR_mSS_SV_bEUlT_E_NS1_11comp_targetILNS1_3genE8ELNS1_11target_archE1030ELNS1_3gpuE2ELNS1_3repE0EEENS1_30default_config_static_selectorELNS0_4arch9wavefront6targetE0EEEvSP_,comdat
.Lfunc_end374:
	.size	_ZN7rocprim17ROCPRIM_400000_NS6detail17trampoline_kernelINS0_14default_configENS1_27upper_bound_config_selectorItiEEZNS1_14transform_implILb0ES3_S5_N6thrust23THRUST_200600_302600_NS6detail15normal_iteratorINS8_10device_ptrItEEEENSA_INSB_IiEEEEZNS1_13binary_searchIS3_S5_SD_SD_SF_NS1_21upper_bound_search_opENS9_16wrapped_functionINS0_4lessIvEEbEEEE10hipError_tPvRmT1_T2_T3_mmT4_T5_P12ihipStream_tbEUlRKtE_EESM_SQ_SR_mSS_SV_bEUlT_E_NS1_11comp_targetILNS1_3genE8ELNS1_11target_archE1030ELNS1_3gpuE2ELNS1_3repE0EEENS1_30default_config_static_selectorELNS0_4arch9wavefront6targetE0EEEvSP_, .Lfunc_end374-_ZN7rocprim17ROCPRIM_400000_NS6detail17trampoline_kernelINS0_14default_configENS1_27upper_bound_config_selectorItiEEZNS1_14transform_implILb0ES3_S5_N6thrust23THRUST_200600_302600_NS6detail15normal_iteratorINS8_10device_ptrItEEEENSA_INSB_IiEEEEZNS1_13binary_searchIS3_S5_SD_SD_SF_NS1_21upper_bound_search_opENS9_16wrapped_functionINS0_4lessIvEEbEEEE10hipError_tPvRmT1_T2_T3_mmT4_T5_P12ihipStream_tbEUlRKtE_EESM_SQ_SR_mSS_SV_bEUlT_E_NS1_11comp_targetILNS1_3genE8ELNS1_11target_archE1030ELNS1_3gpuE2ELNS1_3repE0EEENS1_30default_config_static_selectorELNS0_4arch9wavefront6targetE0EEEvSP_
                                        ; -- End function
	.section	.AMDGPU.csdata,"",@progbits
; Kernel info:
; codeLenInByte = 0
; NumSgprs: 0
; NumVgprs: 0
; ScratchSize: 0
; MemoryBound: 0
; FloatMode: 240
; IeeeMode: 1
; LDSByteSize: 0 bytes/workgroup (compile time only)
; SGPRBlocks: 0
; VGPRBlocks: 0
; NumSGPRsForWavesPerEU: 1
; NumVGPRsForWavesPerEU: 1
; Occupancy: 16
; WaveLimiterHint : 0
; COMPUTE_PGM_RSRC2:SCRATCH_EN: 0
; COMPUTE_PGM_RSRC2:USER_SGPR: 15
; COMPUTE_PGM_RSRC2:TRAP_HANDLER: 0
; COMPUTE_PGM_RSRC2:TGID_X_EN: 1
; COMPUTE_PGM_RSRC2:TGID_Y_EN: 0
; COMPUTE_PGM_RSRC2:TGID_Z_EN: 0
; COMPUTE_PGM_RSRC2:TIDIG_COMP_CNT: 0
	.section	.text._ZN7rocprim17ROCPRIM_400000_NS6detail17trampoline_kernelINS0_14default_configENS1_27upper_bound_config_selectorIxiEEZNS1_14transform_implILb0ES3_S5_N6thrust23THRUST_200600_302600_NS6detail15normal_iteratorINS8_10device_ptrIxEEEENSA_INSB_IiEEEEZNS1_13binary_searchIS3_S5_SD_SD_SF_NS1_21upper_bound_search_opENS9_16wrapped_functionINS0_4lessIvEEbEEEE10hipError_tPvRmT1_T2_T3_mmT4_T5_P12ihipStream_tbEUlRKxE_EESM_SQ_SR_mSS_SV_bEUlT_E_NS1_11comp_targetILNS1_3genE0ELNS1_11target_archE4294967295ELNS1_3gpuE0ELNS1_3repE0EEENS1_30default_config_static_selectorELNS0_4arch9wavefront6targetE0EEEvSP_,"axG",@progbits,_ZN7rocprim17ROCPRIM_400000_NS6detail17trampoline_kernelINS0_14default_configENS1_27upper_bound_config_selectorIxiEEZNS1_14transform_implILb0ES3_S5_N6thrust23THRUST_200600_302600_NS6detail15normal_iteratorINS8_10device_ptrIxEEEENSA_INSB_IiEEEEZNS1_13binary_searchIS3_S5_SD_SD_SF_NS1_21upper_bound_search_opENS9_16wrapped_functionINS0_4lessIvEEbEEEE10hipError_tPvRmT1_T2_T3_mmT4_T5_P12ihipStream_tbEUlRKxE_EESM_SQ_SR_mSS_SV_bEUlT_E_NS1_11comp_targetILNS1_3genE0ELNS1_11target_archE4294967295ELNS1_3gpuE0ELNS1_3repE0EEENS1_30default_config_static_selectorELNS0_4arch9wavefront6targetE0EEEvSP_,comdat
	.protected	_ZN7rocprim17ROCPRIM_400000_NS6detail17trampoline_kernelINS0_14default_configENS1_27upper_bound_config_selectorIxiEEZNS1_14transform_implILb0ES3_S5_N6thrust23THRUST_200600_302600_NS6detail15normal_iteratorINS8_10device_ptrIxEEEENSA_INSB_IiEEEEZNS1_13binary_searchIS3_S5_SD_SD_SF_NS1_21upper_bound_search_opENS9_16wrapped_functionINS0_4lessIvEEbEEEE10hipError_tPvRmT1_T2_T3_mmT4_T5_P12ihipStream_tbEUlRKxE_EESM_SQ_SR_mSS_SV_bEUlT_E_NS1_11comp_targetILNS1_3genE0ELNS1_11target_archE4294967295ELNS1_3gpuE0ELNS1_3repE0EEENS1_30default_config_static_selectorELNS0_4arch9wavefront6targetE0EEEvSP_ ; -- Begin function _ZN7rocprim17ROCPRIM_400000_NS6detail17trampoline_kernelINS0_14default_configENS1_27upper_bound_config_selectorIxiEEZNS1_14transform_implILb0ES3_S5_N6thrust23THRUST_200600_302600_NS6detail15normal_iteratorINS8_10device_ptrIxEEEENSA_INSB_IiEEEEZNS1_13binary_searchIS3_S5_SD_SD_SF_NS1_21upper_bound_search_opENS9_16wrapped_functionINS0_4lessIvEEbEEEE10hipError_tPvRmT1_T2_T3_mmT4_T5_P12ihipStream_tbEUlRKxE_EESM_SQ_SR_mSS_SV_bEUlT_E_NS1_11comp_targetILNS1_3genE0ELNS1_11target_archE4294967295ELNS1_3gpuE0ELNS1_3repE0EEENS1_30default_config_static_selectorELNS0_4arch9wavefront6targetE0EEEvSP_
	.globl	_ZN7rocprim17ROCPRIM_400000_NS6detail17trampoline_kernelINS0_14default_configENS1_27upper_bound_config_selectorIxiEEZNS1_14transform_implILb0ES3_S5_N6thrust23THRUST_200600_302600_NS6detail15normal_iteratorINS8_10device_ptrIxEEEENSA_INSB_IiEEEEZNS1_13binary_searchIS3_S5_SD_SD_SF_NS1_21upper_bound_search_opENS9_16wrapped_functionINS0_4lessIvEEbEEEE10hipError_tPvRmT1_T2_T3_mmT4_T5_P12ihipStream_tbEUlRKxE_EESM_SQ_SR_mSS_SV_bEUlT_E_NS1_11comp_targetILNS1_3genE0ELNS1_11target_archE4294967295ELNS1_3gpuE0ELNS1_3repE0EEENS1_30default_config_static_selectorELNS0_4arch9wavefront6targetE0EEEvSP_
	.p2align	8
	.type	_ZN7rocprim17ROCPRIM_400000_NS6detail17trampoline_kernelINS0_14default_configENS1_27upper_bound_config_selectorIxiEEZNS1_14transform_implILb0ES3_S5_N6thrust23THRUST_200600_302600_NS6detail15normal_iteratorINS8_10device_ptrIxEEEENSA_INSB_IiEEEEZNS1_13binary_searchIS3_S5_SD_SD_SF_NS1_21upper_bound_search_opENS9_16wrapped_functionINS0_4lessIvEEbEEEE10hipError_tPvRmT1_T2_T3_mmT4_T5_P12ihipStream_tbEUlRKxE_EESM_SQ_SR_mSS_SV_bEUlT_E_NS1_11comp_targetILNS1_3genE0ELNS1_11target_archE4294967295ELNS1_3gpuE0ELNS1_3repE0EEENS1_30default_config_static_selectorELNS0_4arch9wavefront6targetE0EEEvSP_,@function
_ZN7rocprim17ROCPRIM_400000_NS6detail17trampoline_kernelINS0_14default_configENS1_27upper_bound_config_selectorIxiEEZNS1_14transform_implILb0ES3_S5_N6thrust23THRUST_200600_302600_NS6detail15normal_iteratorINS8_10device_ptrIxEEEENSA_INSB_IiEEEEZNS1_13binary_searchIS3_S5_SD_SD_SF_NS1_21upper_bound_search_opENS9_16wrapped_functionINS0_4lessIvEEbEEEE10hipError_tPvRmT1_T2_T3_mmT4_T5_P12ihipStream_tbEUlRKxE_EESM_SQ_SR_mSS_SV_bEUlT_E_NS1_11comp_targetILNS1_3genE0ELNS1_11target_archE4294967295ELNS1_3gpuE0ELNS1_3repE0EEENS1_30default_config_static_selectorELNS0_4arch9wavefront6targetE0EEEvSP_: ; @_ZN7rocprim17ROCPRIM_400000_NS6detail17trampoline_kernelINS0_14default_configENS1_27upper_bound_config_selectorIxiEEZNS1_14transform_implILb0ES3_S5_N6thrust23THRUST_200600_302600_NS6detail15normal_iteratorINS8_10device_ptrIxEEEENSA_INSB_IiEEEEZNS1_13binary_searchIS3_S5_SD_SD_SF_NS1_21upper_bound_search_opENS9_16wrapped_functionINS0_4lessIvEEbEEEE10hipError_tPvRmT1_T2_T3_mmT4_T5_P12ihipStream_tbEUlRKxE_EESM_SQ_SR_mSS_SV_bEUlT_E_NS1_11comp_targetILNS1_3genE0ELNS1_11target_archE4294967295ELNS1_3gpuE0ELNS1_3repE0EEENS1_30default_config_static_selectorELNS0_4arch9wavefront6targetE0EEEvSP_
; %bb.0:
	.section	.rodata,"a",@progbits
	.p2align	6, 0x0
	.amdhsa_kernel _ZN7rocprim17ROCPRIM_400000_NS6detail17trampoline_kernelINS0_14default_configENS1_27upper_bound_config_selectorIxiEEZNS1_14transform_implILb0ES3_S5_N6thrust23THRUST_200600_302600_NS6detail15normal_iteratorINS8_10device_ptrIxEEEENSA_INSB_IiEEEEZNS1_13binary_searchIS3_S5_SD_SD_SF_NS1_21upper_bound_search_opENS9_16wrapped_functionINS0_4lessIvEEbEEEE10hipError_tPvRmT1_T2_T3_mmT4_T5_P12ihipStream_tbEUlRKxE_EESM_SQ_SR_mSS_SV_bEUlT_E_NS1_11comp_targetILNS1_3genE0ELNS1_11target_archE4294967295ELNS1_3gpuE0ELNS1_3repE0EEENS1_30default_config_static_selectorELNS0_4arch9wavefront6targetE0EEEvSP_
		.amdhsa_group_segment_fixed_size 0
		.amdhsa_private_segment_fixed_size 0
		.amdhsa_kernarg_size 56
		.amdhsa_user_sgpr_count 15
		.amdhsa_user_sgpr_dispatch_ptr 0
		.amdhsa_user_sgpr_queue_ptr 0
		.amdhsa_user_sgpr_kernarg_segment_ptr 1
		.amdhsa_user_sgpr_dispatch_id 0
		.amdhsa_user_sgpr_private_segment_size 0
		.amdhsa_wavefront_size32 1
		.amdhsa_uses_dynamic_stack 0
		.amdhsa_enable_private_segment 0
		.amdhsa_system_sgpr_workgroup_id_x 1
		.amdhsa_system_sgpr_workgroup_id_y 0
		.amdhsa_system_sgpr_workgroup_id_z 0
		.amdhsa_system_sgpr_workgroup_info 0
		.amdhsa_system_vgpr_workitem_id 0
		.amdhsa_next_free_vgpr 1
		.amdhsa_next_free_sgpr 1
		.amdhsa_reserve_vcc 0
		.amdhsa_float_round_mode_32 0
		.amdhsa_float_round_mode_16_64 0
		.amdhsa_float_denorm_mode_32 3
		.amdhsa_float_denorm_mode_16_64 3
		.amdhsa_dx10_clamp 1
		.amdhsa_ieee_mode 1
		.amdhsa_fp16_overflow 0
		.amdhsa_workgroup_processor_mode 1
		.amdhsa_memory_ordered 1
		.amdhsa_forward_progress 0
		.amdhsa_shared_vgpr_count 0
		.amdhsa_exception_fp_ieee_invalid_op 0
		.amdhsa_exception_fp_denorm_src 0
		.amdhsa_exception_fp_ieee_div_zero 0
		.amdhsa_exception_fp_ieee_overflow 0
		.amdhsa_exception_fp_ieee_underflow 0
		.amdhsa_exception_fp_ieee_inexact 0
		.amdhsa_exception_int_div_zero 0
	.end_amdhsa_kernel
	.section	.text._ZN7rocprim17ROCPRIM_400000_NS6detail17trampoline_kernelINS0_14default_configENS1_27upper_bound_config_selectorIxiEEZNS1_14transform_implILb0ES3_S5_N6thrust23THRUST_200600_302600_NS6detail15normal_iteratorINS8_10device_ptrIxEEEENSA_INSB_IiEEEEZNS1_13binary_searchIS3_S5_SD_SD_SF_NS1_21upper_bound_search_opENS9_16wrapped_functionINS0_4lessIvEEbEEEE10hipError_tPvRmT1_T2_T3_mmT4_T5_P12ihipStream_tbEUlRKxE_EESM_SQ_SR_mSS_SV_bEUlT_E_NS1_11comp_targetILNS1_3genE0ELNS1_11target_archE4294967295ELNS1_3gpuE0ELNS1_3repE0EEENS1_30default_config_static_selectorELNS0_4arch9wavefront6targetE0EEEvSP_,"axG",@progbits,_ZN7rocprim17ROCPRIM_400000_NS6detail17trampoline_kernelINS0_14default_configENS1_27upper_bound_config_selectorIxiEEZNS1_14transform_implILb0ES3_S5_N6thrust23THRUST_200600_302600_NS6detail15normal_iteratorINS8_10device_ptrIxEEEENSA_INSB_IiEEEEZNS1_13binary_searchIS3_S5_SD_SD_SF_NS1_21upper_bound_search_opENS9_16wrapped_functionINS0_4lessIvEEbEEEE10hipError_tPvRmT1_T2_T3_mmT4_T5_P12ihipStream_tbEUlRKxE_EESM_SQ_SR_mSS_SV_bEUlT_E_NS1_11comp_targetILNS1_3genE0ELNS1_11target_archE4294967295ELNS1_3gpuE0ELNS1_3repE0EEENS1_30default_config_static_selectorELNS0_4arch9wavefront6targetE0EEEvSP_,comdat
.Lfunc_end375:
	.size	_ZN7rocprim17ROCPRIM_400000_NS6detail17trampoline_kernelINS0_14default_configENS1_27upper_bound_config_selectorIxiEEZNS1_14transform_implILb0ES3_S5_N6thrust23THRUST_200600_302600_NS6detail15normal_iteratorINS8_10device_ptrIxEEEENSA_INSB_IiEEEEZNS1_13binary_searchIS3_S5_SD_SD_SF_NS1_21upper_bound_search_opENS9_16wrapped_functionINS0_4lessIvEEbEEEE10hipError_tPvRmT1_T2_T3_mmT4_T5_P12ihipStream_tbEUlRKxE_EESM_SQ_SR_mSS_SV_bEUlT_E_NS1_11comp_targetILNS1_3genE0ELNS1_11target_archE4294967295ELNS1_3gpuE0ELNS1_3repE0EEENS1_30default_config_static_selectorELNS0_4arch9wavefront6targetE0EEEvSP_, .Lfunc_end375-_ZN7rocprim17ROCPRIM_400000_NS6detail17trampoline_kernelINS0_14default_configENS1_27upper_bound_config_selectorIxiEEZNS1_14transform_implILb0ES3_S5_N6thrust23THRUST_200600_302600_NS6detail15normal_iteratorINS8_10device_ptrIxEEEENSA_INSB_IiEEEEZNS1_13binary_searchIS3_S5_SD_SD_SF_NS1_21upper_bound_search_opENS9_16wrapped_functionINS0_4lessIvEEbEEEE10hipError_tPvRmT1_T2_T3_mmT4_T5_P12ihipStream_tbEUlRKxE_EESM_SQ_SR_mSS_SV_bEUlT_E_NS1_11comp_targetILNS1_3genE0ELNS1_11target_archE4294967295ELNS1_3gpuE0ELNS1_3repE0EEENS1_30default_config_static_selectorELNS0_4arch9wavefront6targetE0EEEvSP_
                                        ; -- End function
	.section	.AMDGPU.csdata,"",@progbits
; Kernel info:
; codeLenInByte = 0
; NumSgprs: 0
; NumVgprs: 0
; ScratchSize: 0
; MemoryBound: 0
; FloatMode: 240
; IeeeMode: 1
; LDSByteSize: 0 bytes/workgroup (compile time only)
; SGPRBlocks: 0
; VGPRBlocks: 0
; NumSGPRsForWavesPerEU: 1
; NumVGPRsForWavesPerEU: 1
; Occupancy: 16
; WaveLimiterHint : 0
; COMPUTE_PGM_RSRC2:SCRATCH_EN: 0
; COMPUTE_PGM_RSRC2:USER_SGPR: 15
; COMPUTE_PGM_RSRC2:TRAP_HANDLER: 0
; COMPUTE_PGM_RSRC2:TGID_X_EN: 1
; COMPUTE_PGM_RSRC2:TGID_Y_EN: 0
; COMPUTE_PGM_RSRC2:TGID_Z_EN: 0
; COMPUTE_PGM_RSRC2:TIDIG_COMP_CNT: 0
	.section	.text._ZN7rocprim17ROCPRIM_400000_NS6detail17trampoline_kernelINS0_14default_configENS1_27upper_bound_config_selectorIxiEEZNS1_14transform_implILb0ES3_S5_N6thrust23THRUST_200600_302600_NS6detail15normal_iteratorINS8_10device_ptrIxEEEENSA_INSB_IiEEEEZNS1_13binary_searchIS3_S5_SD_SD_SF_NS1_21upper_bound_search_opENS9_16wrapped_functionINS0_4lessIvEEbEEEE10hipError_tPvRmT1_T2_T3_mmT4_T5_P12ihipStream_tbEUlRKxE_EESM_SQ_SR_mSS_SV_bEUlT_E_NS1_11comp_targetILNS1_3genE5ELNS1_11target_archE942ELNS1_3gpuE9ELNS1_3repE0EEENS1_30default_config_static_selectorELNS0_4arch9wavefront6targetE0EEEvSP_,"axG",@progbits,_ZN7rocprim17ROCPRIM_400000_NS6detail17trampoline_kernelINS0_14default_configENS1_27upper_bound_config_selectorIxiEEZNS1_14transform_implILb0ES3_S5_N6thrust23THRUST_200600_302600_NS6detail15normal_iteratorINS8_10device_ptrIxEEEENSA_INSB_IiEEEEZNS1_13binary_searchIS3_S5_SD_SD_SF_NS1_21upper_bound_search_opENS9_16wrapped_functionINS0_4lessIvEEbEEEE10hipError_tPvRmT1_T2_T3_mmT4_T5_P12ihipStream_tbEUlRKxE_EESM_SQ_SR_mSS_SV_bEUlT_E_NS1_11comp_targetILNS1_3genE5ELNS1_11target_archE942ELNS1_3gpuE9ELNS1_3repE0EEENS1_30default_config_static_selectorELNS0_4arch9wavefront6targetE0EEEvSP_,comdat
	.protected	_ZN7rocprim17ROCPRIM_400000_NS6detail17trampoline_kernelINS0_14default_configENS1_27upper_bound_config_selectorIxiEEZNS1_14transform_implILb0ES3_S5_N6thrust23THRUST_200600_302600_NS6detail15normal_iteratorINS8_10device_ptrIxEEEENSA_INSB_IiEEEEZNS1_13binary_searchIS3_S5_SD_SD_SF_NS1_21upper_bound_search_opENS9_16wrapped_functionINS0_4lessIvEEbEEEE10hipError_tPvRmT1_T2_T3_mmT4_T5_P12ihipStream_tbEUlRKxE_EESM_SQ_SR_mSS_SV_bEUlT_E_NS1_11comp_targetILNS1_3genE5ELNS1_11target_archE942ELNS1_3gpuE9ELNS1_3repE0EEENS1_30default_config_static_selectorELNS0_4arch9wavefront6targetE0EEEvSP_ ; -- Begin function _ZN7rocprim17ROCPRIM_400000_NS6detail17trampoline_kernelINS0_14default_configENS1_27upper_bound_config_selectorIxiEEZNS1_14transform_implILb0ES3_S5_N6thrust23THRUST_200600_302600_NS6detail15normal_iteratorINS8_10device_ptrIxEEEENSA_INSB_IiEEEEZNS1_13binary_searchIS3_S5_SD_SD_SF_NS1_21upper_bound_search_opENS9_16wrapped_functionINS0_4lessIvEEbEEEE10hipError_tPvRmT1_T2_T3_mmT4_T5_P12ihipStream_tbEUlRKxE_EESM_SQ_SR_mSS_SV_bEUlT_E_NS1_11comp_targetILNS1_3genE5ELNS1_11target_archE942ELNS1_3gpuE9ELNS1_3repE0EEENS1_30default_config_static_selectorELNS0_4arch9wavefront6targetE0EEEvSP_
	.globl	_ZN7rocprim17ROCPRIM_400000_NS6detail17trampoline_kernelINS0_14default_configENS1_27upper_bound_config_selectorIxiEEZNS1_14transform_implILb0ES3_S5_N6thrust23THRUST_200600_302600_NS6detail15normal_iteratorINS8_10device_ptrIxEEEENSA_INSB_IiEEEEZNS1_13binary_searchIS3_S5_SD_SD_SF_NS1_21upper_bound_search_opENS9_16wrapped_functionINS0_4lessIvEEbEEEE10hipError_tPvRmT1_T2_T3_mmT4_T5_P12ihipStream_tbEUlRKxE_EESM_SQ_SR_mSS_SV_bEUlT_E_NS1_11comp_targetILNS1_3genE5ELNS1_11target_archE942ELNS1_3gpuE9ELNS1_3repE0EEENS1_30default_config_static_selectorELNS0_4arch9wavefront6targetE0EEEvSP_
	.p2align	8
	.type	_ZN7rocprim17ROCPRIM_400000_NS6detail17trampoline_kernelINS0_14default_configENS1_27upper_bound_config_selectorIxiEEZNS1_14transform_implILb0ES3_S5_N6thrust23THRUST_200600_302600_NS6detail15normal_iteratorINS8_10device_ptrIxEEEENSA_INSB_IiEEEEZNS1_13binary_searchIS3_S5_SD_SD_SF_NS1_21upper_bound_search_opENS9_16wrapped_functionINS0_4lessIvEEbEEEE10hipError_tPvRmT1_T2_T3_mmT4_T5_P12ihipStream_tbEUlRKxE_EESM_SQ_SR_mSS_SV_bEUlT_E_NS1_11comp_targetILNS1_3genE5ELNS1_11target_archE942ELNS1_3gpuE9ELNS1_3repE0EEENS1_30default_config_static_selectorELNS0_4arch9wavefront6targetE0EEEvSP_,@function
_ZN7rocprim17ROCPRIM_400000_NS6detail17trampoline_kernelINS0_14default_configENS1_27upper_bound_config_selectorIxiEEZNS1_14transform_implILb0ES3_S5_N6thrust23THRUST_200600_302600_NS6detail15normal_iteratorINS8_10device_ptrIxEEEENSA_INSB_IiEEEEZNS1_13binary_searchIS3_S5_SD_SD_SF_NS1_21upper_bound_search_opENS9_16wrapped_functionINS0_4lessIvEEbEEEE10hipError_tPvRmT1_T2_T3_mmT4_T5_P12ihipStream_tbEUlRKxE_EESM_SQ_SR_mSS_SV_bEUlT_E_NS1_11comp_targetILNS1_3genE5ELNS1_11target_archE942ELNS1_3gpuE9ELNS1_3repE0EEENS1_30default_config_static_selectorELNS0_4arch9wavefront6targetE0EEEvSP_: ; @_ZN7rocprim17ROCPRIM_400000_NS6detail17trampoline_kernelINS0_14default_configENS1_27upper_bound_config_selectorIxiEEZNS1_14transform_implILb0ES3_S5_N6thrust23THRUST_200600_302600_NS6detail15normal_iteratorINS8_10device_ptrIxEEEENSA_INSB_IiEEEEZNS1_13binary_searchIS3_S5_SD_SD_SF_NS1_21upper_bound_search_opENS9_16wrapped_functionINS0_4lessIvEEbEEEE10hipError_tPvRmT1_T2_T3_mmT4_T5_P12ihipStream_tbEUlRKxE_EESM_SQ_SR_mSS_SV_bEUlT_E_NS1_11comp_targetILNS1_3genE5ELNS1_11target_archE942ELNS1_3gpuE9ELNS1_3repE0EEENS1_30default_config_static_selectorELNS0_4arch9wavefront6targetE0EEEvSP_
; %bb.0:
	.section	.rodata,"a",@progbits
	.p2align	6, 0x0
	.amdhsa_kernel _ZN7rocprim17ROCPRIM_400000_NS6detail17trampoline_kernelINS0_14default_configENS1_27upper_bound_config_selectorIxiEEZNS1_14transform_implILb0ES3_S5_N6thrust23THRUST_200600_302600_NS6detail15normal_iteratorINS8_10device_ptrIxEEEENSA_INSB_IiEEEEZNS1_13binary_searchIS3_S5_SD_SD_SF_NS1_21upper_bound_search_opENS9_16wrapped_functionINS0_4lessIvEEbEEEE10hipError_tPvRmT1_T2_T3_mmT4_T5_P12ihipStream_tbEUlRKxE_EESM_SQ_SR_mSS_SV_bEUlT_E_NS1_11comp_targetILNS1_3genE5ELNS1_11target_archE942ELNS1_3gpuE9ELNS1_3repE0EEENS1_30default_config_static_selectorELNS0_4arch9wavefront6targetE0EEEvSP_
		.amdhsa_group_segment_fixed_size 0
		.amdhsa_private_segment_fixed_size 0
		.amdhsa_kernarg_size 56
		.amdhsa_user_sgpr_count 15
		.amdhsa_user_sgpr_dispatch_ptr 0
		.amdhsa_user_sgpr_queue_ptr 0
		.amdhsa_user_sgpr_kernarg_segment_ptr 1
		.amdhsa_user_sgpr_dispatch_id 0
		.amdhsa_user_sgpr_private_segment_size 0
		.amdhsa_wavefront_size32 1
		.amdhsa_uses_dynamic_stack 0
		.amdhsa_enable_private_segment 0
		.amdhsa_system_sgpr_workgroup_id_x 1
		.amdhsa_system_sgpr_workgroup_id_y 0
		.amdhsa_system_sgpr_workgroup_id_z 0
		.amdhsa_system_sgpr_workgroup_info 0
		.amdhsa_system_vgpr_workitem_id 0
		.amdhsa_next_free_vgpr 1
		.amdhsa_next_free_sgpr 1
		.amdhsa_reserve_vcc 0
		.amdhsa_float_round_mode_32 0
		.amdhsa_float_round_mode_16_64 0
		.amdhsa_float_denorm_mode_32 3
		.amdhsa_float_denorm_mode_16_64 3
		.amdhsa_dx10_clamp 1
		.amdhsa_ieee_mode 1
		.amdhsa_fp16_overflow 0
		.amdhsa_workgroup_processor_mode 1
		.amdhsa_memory_ordered 1
		.amdhsa_forward_progress 0
		.amdhsa_shared_vgpr_count 0
		.amdhsa_exception_fp_ieee_invalid_op 0
		.amdhsa_exception_fp_denorm_src 0
		.amdhsa_exception_fp_ieee_div_zero 0
		.amdhsa_exception_fp_ieee_overflow 0
		.amdhsa_exception_fp_ieee_underflow 0
		.amdhsa_exception_fp_ieee_inexact 0
		.amdhsa_exception_int_div_zero 0
	.end_amdhsa_kernel
	.section	.text._ZN7rocprim17ROCPRIM_400000_NS6detail17trampoline_kernelINS0_14default_configENS1_27upper_bound_config_selectorIxiEEZNS1_14transform_implILb0ES3_S5_N6thrust23THRUST_200600_302600_NS6detail15normal_iteratorINS8_10device_ptrIxEEEENSA_INSB_IiEEEEZNS1_13binary_searchIS3_S5_SD_SD_SF_NS1_21upper_bound_search_opENS9_16wrapped_functionINS0_4lessIvEEbEEEE10hipError_tPvRmT1_T2_T3_mmT4_T5_P12ihipStream_tbEUlRKxE_EESM_SQ_SR_mSS_SV_bEUlT_E_NS1_11comp_targetILNS1_3genE5ELNS1_11target_archE942ELNS1_3gpuE9ELNS1_3repE0EEENS1_30default_config_static_selectorELNS0_4arch9wavefront6targetE0EEEvSP_,"axG",@progbits,_ZN7rocprim17ROCPRIM_400000_NS6detail17trampoline_kernelINS0_14default_configENS1_27upper_bound_config_selectorIxiEEZNS1_14transform_implILb0ES3_S5_N6thrust23THRUST_200600_302600_NS6detail15normal_iteratorINS8_10device_ptrIxEEEENSA_INSB_IiEEEEZNS1_13binary_searchIS3_S5_SD_SD_SF_NS1_21upper_bound_search_opENS9_16wrapped_functionINS0_4lessIvEEbEEEE10hipError_tPvRmT1_T2_T3_mmT4_T5_P12ihipStream_tbEUlRKxE_EESM_SQ_SR_mSS_SV_bEUlT_E_NS1_11comp_targetILNS1_3genE5ELNS1_11target_archE942ELNS1_3gpuE9ELNS1_3repE0EEENS1_30default_config_static_selectorELNS0_4arch9wavefront6targetE0EEEvSP_,comdat
.Lfunc_end376:
	.size	_ZN7rocprim17ROCPRIM_400000_NS6detail17trampoline_kernelINS0_14default_configENS1_27upper_bound_config_selectorIxiEEZNS1_14transform_implILb0ES3_S5_N6thrust23THRUST_200600_302600_NS6detail15normal_iteratorINS8_10device_ptrIxEEEENSA_INSB_IiEEEEZNS1_13binary_searchIS3_S5_SD_SD_SF_NS1_21upper_bound_search_opENS9_16wrapped_functionINS0_4lessIvEEbEEEE10hipError_tPvRmT1_T2_T3_mmT4_T5_P12ihipStream_tbEUlRKxE_EESM_SQ_SR_mSS_SV_bEUlT_E_NS1_11comp_targetILNS1_3genE5ELNS1_11target_archE942ELNS1_3gpuE9ELNS1_3repE0EEENS1_30default_config_static_selectorELNS0_4arch9wavefront6targetE0EEEvSP_, .Lfunc_end376-_ZN7rocprim17ROCPRIM_400000_NS6detail17trampoline_kernelINS0_14default_configENS1_27upper_bound_config_selectorIxiEEZNS1_14transform_implILb0ES3_S5_N6thrust23THRUST_200600_302600_NS6detail15normal_iteratorINS8_10device_ptrIxEEEENSA_INSB_IiEEEEZNS1_13binary_searchIS3_S5_SD_SD_SF_NS1_21upper_bound_search_opENS9_16wrapped_functionINS0_4lessIvEEbEEEE10hipError_tPvRmT1_T2_T3_mmT4_T5_P12ihipStream_tbEUlRKxE_EESM_SQ_SR_mSS_SV_bEUlT_E_NS1_11comp_targetILNS1_3genE5ELNS1_11target_archE942ELNS1_3gpuE9ELNS1_3repE0EEENS1_30default_config_static_selectorELNS0_4arch9wavefront6targetE0EEEvSP_
                                        ; -- End function
	.section	.AMDGPU.csdata,"",@progbits
; Kernel info:
; codeLenInByte = 0
; NumSgprs: 0
; NumVgprs: 0
; ScratchSize: 0
; MemoryBound: 0
; FloatMode: 240
; IeeeMode: 1
; LDSByteSize: 0 bytes/workgroup (compile time only)
; SGPRBlocks: 0
; VGPRBlocks: 0
; NumSGPRsForWavesPerEU: 1
; NumVGPRsForWavesPerEU: 1
; Occupancy: 16
; WaveLimiterHint : 0
; COMPUTE_PGM_RSRC2:SCRATCH_EN: 0
; COMPUTE_PGM_RSRC2:USER_SGPR: 15
; COMPUTE_PGM_RSRC2:TRAP_HANDLER: 0
; COMPUTE_PGM_RSRC2:TGID_X_EN: 1
; COMPUTE_PGM_RSRC2:TGID_Y_EN: 0
; COMPUTE_PGM_RSRC2:TGID_Z_EN: 0
; COMPUTE_PGM_RSRC2:TIDIG_COMP_CNT: 0
	.section	.text._ZN7rocprim17ROCPRIM_400000_NS6detail17trampoline_kernelINS0_14default_configENS1_27upper_bound_config_selectorIxiEEZNS1_14transform_implILb0ES3_S5_N6thrust23THRUST_200600_302600_NS6detail15normal_iteratorINS8_10device_ptrIxEEEENSA_INSB_IiEEEEZNS1_13binary_searchIS3_S5_SD_SD_SF_NS1_21upper_bound_search_opENS9_16wrapped_functionINS0_4lessIvEEbEEEE10hipError_tPvRmT1_T2_T3_mmT4_T5_P12ihipStream_tbEUlRKxE_EESM_SQ_SR_mSS_SV_bEUlT_E_NS1_11comp_targetILNS1_3genE4ELNS1_11target_archE910ELNS1_3gpuE8ELNS1_3repE0EEENS1_30default_config_static_selectorELNS0_4arch9wavefront6targetE0EEEvSP_,"axG",@progbits,_ZN7rocprim17ROCPRIM_400000_NS6detail17trampoline_kernelINS0_14default_configENS1_27upper_bound_config_selectorIxiEEZNS1_14transform_implILb0ES3_S5_N6thrust23THRUST_200600_302600_NS6detail15normal_iteratorINS8_10device_ptrIxEEEENSA_INSB_IiEEEEZNS1_13binary_searchIS3_S5_SD_SD_SF_NS1_21upper_bound_search_opENS9_16wrapped_functionINS0_4lessIvEEbEEEE10hipError_tPvRmT1_T2_T3_mmT4_T5_P12ihipStream_tbEUlRKxE_EESM_SQ_SR_mSS_SV_bEUlT_E_NS1_11comp_targetILNS1_3genE4ELNS1_11target_archE910ELNS1_3gpuE8ELNS1_3repE0EEENS1_30default_config_static_selectorELNS0_4arch9wavefront6targetE0EEEvSP_,comdat
	.protected	_ZN7rocprim17ROCPRIM_400000_NS6detail17trampoline_kernelINS0_14default_configENS1_27upper_bound_config_selectorIxiEEZNS1_14transform_implILb0ES3_S5_N6thrust23THRUST_200600_302600_NS6detail15normal_iteratorINS8_10device_ptrIxEEEENSA_INSB_IiEEEEZNS1_13binary_searchIS3_S5_SD_SD_SF_NS1_21upper_bound_search_opENS9_16wrapped_functionINS0_4lessIvEEbEEEE10hipError_tPvRmT1_T2_T3_mmT4_T5_P12ihipStream_tbEUlRKxE_EESM_SQ_SR_mSS_SV_bEUlT_E_NS1_11comp_targetILNS1_3genE4ELNS1_11target_archE910ELNS1_3gpuE8ELNS1_3repE0EEENS1_30default_config_static_selectorELNS0_4arch9wavefront6targetE0EEEvSP_ ; -- Begin function _ZN7rocprim17ROCPRIM_400000_NS6detail17trampoline_kernelINS0_14default_configENS1_27upper_bound_config_selectorIxiEEZNS1_14transform_implILb0ES3_S5_N6thrust23THRUST_200600_302600_NS6detail15normal_iteratorINS8_10device_ptrIxEEEENSA_INSB_IiEEEEZNS1_13binary_searchIS3_S5_SD_SD_SF_NS1_21upper_bound_search_opENS9_16wrapped_functionINS0_4lessIvEEbEEEE10hipError_tPvRmT1_T2_T3_mmT4_T5_P12ihipStream_tbEUlRKxE_EESM_SQ_SR_mSS_SV_bEUlT_E_NS1_11comp_targetILNS1_3genE4ELNS1_11target_archE910ELNS1_3gpuE8ELNS1_3repE0EEENS1_30default_config_static_selectorELNS0_4arch9wavefront6targetE0EEEvSP_
	.globl	_ZN7rocprim17ROCPRIM_400000_NS6detail17trampoline_kernelINS0_14default_configENS1_27upper_bound_config_selectorIxiEEZNS1_14transform_implILb0ES3_S5_N6thrust23THRUST_200600_302600_NS6detail15normal_iteratorINS8_10device_ptrIxEEEENSA_INSB_IiEEEEZNS1_13binary_searchIS3_S5_SD_SD_SF_NS1_21upper_bound_search_opENS9_16wrapped_functionINS0_4lessIvEEbEEEE10hipError_tPvRmT1_T2_T3_mmT4_T5_P12ihipStream_tbEUlRKxE_EESM_SQ_SR_mSS_SV_bEUlT_E_NS1_11comp_targetILNS1_3genE4ELNS1_11target_archE910ELNS1_3gpuE8ELNS1_3repE0EEENS1_30default_config_static_selectorELNS0_4arch9wavefront6targetE0EEEvSP_
	.p2align	8
	.type	_ZN7rocprim17ROCPRIM_400000_NS6detail17trampoline_kernelINS0_14default_configENS1_27upper_bound_config_selectorIxiEEZNS1_14transform_implILb0ES3_S5_N6thrust23THRUST_200600_302600_NS6detail15normal_iteratorINS8_10device_ptrIxEEEENSA_INSB_IiEEEEZNS1_13binary_searchIS3_S5_SD_SD_SF_NS1_21upper_bound_search_opENS9_16wrapped_functionINS0_4lessIvEEbEEEE10hipError_tPvRmT1_T2_T3_mmT4_T5_P12ihipStream_tbEUlRKxE_EESM_SQ_SR_mSS_SV_bEUlT_E_NS1_11comp_targetILNS1_3genE4ELNS1_11target_archE910ELNS1_3gpuE8ELNS1_3repE0EEENS1_30default_config_static_selectorELNS0_4arch9wavefront6targetE0EEEvSP_,@function
_ZN7rocprim17ROCPRIM_400000_NS6detail17trampoline_kernelINS0_14default_configENS1_27upper_bound_config_selectorIxiEEZNS1_14transform_implILb0ES3_S5_N6thrust23THRUST_200600_302600_NS6detail15normal_iteratorINS8_10device_ptrIxEEEENSA_INSB_IiEEEEZNS1_13binary_searchIS3_S5_SD_SD_SF_NS1_21upper_bound_search_opENS9_16wrapped_functionINS0_4lessIvEEbEEEE10hipError_tPvRmT1_T2_T3_mmT4_T5_P12ihipStream_tbEUlRKxE_EESM_SQ_SR_mSS_SV_bEUlT_E_NS1_11comp_targetILNS1_3genE4ELNS1_11target_archE910ELNS1_3gpuE8ELNS1_3repE0EEENS1_30default_config_static_selectorELNS0_4arch9wavefront6targetE0EEEvSP_: ; @_ZN7rocprim17ROCPRIM_400000_NS6detail17trampoline_kernelINS0_14default_configENS1_27upper_bound_config_selectorIxiEEZNS1_14transform_implILb0ES3_S5_N6thrust23THRUST_200600_302600_NS6detail15normal_iteratorINS8_10device_ptrIxEEEENSA_INSB_IiEEEEZNS1_13binary_searchIS3_S5_SD_SD_SF_NS1_21upper_bound_search_opENS9_16wrapped_functionINS0_4lessIvEEbEEEE10hipError_tPvRmT1_T2_T3_mmT4_T5_P12ihipStream_tbEUlRKxE_EESM_SQ_SR_mSS_SV_bEUlT_E_NS1_11comp_targetILNS1_3genE4ELNS1_11target_archE910ELNS1_3gpuE8ELNS1_3repE0EEENS1_30default_config_static_selectorELNS0_4arch9wavefront6targetE0EEEvSP_
; %bb.0:
	.section	.rodata,"a",@progbits
	.p2align	6, 0x0
	.amdhsa_kernel _ZN7rocprim17ROCPRIM_400000_NS6detail17trampoline_kernelINS0_14default_configENS1_27upper_bound_config_selectorIxiEEZNS1_14transform_implILb0ES3_S5_N6thrust23THRUST_200600_302600_NS6detail15normal_iteratorINS8_10device_ptrIxEEEENSA_INSB_IiEEEEZNS1_13binary_searchIS3_S5_SD_SD_SF_NS1_21upper_bound_search_opENS9_16wrapped_functionINS0_4lessIvEEbEEEE10hipError_tPvRmT1_T2_T3_mmT4_T5_P12ihipStream_tbEUlRKxE_EESM_SQ_SR_mSS_SV_bEUlT_E_NS1_11comp_targetILNS1_3genE4ELNS1_11target_archE910ELNS1_3gpuE8ELNS1_3repE0EEENS1_30default_config_static_selectorELNS0_4arch9wavefront6targetE0EEEvSP_
		.amdhsa_group_segment_fixed_size 0
		.amdhsa_private_segment_fixed_size 0
		.amdhsa_kernarg_size 56
		.amdhsa_user_sgpr_count 15
		.amdhsa_user_sgpr_dispatch_ptr 0
		.amdhsa_user_sgpr_queue_ptr 0
		.amdhsa_user_sgpr_kernarg_segment_ptr 1
		.amdhsa_user_sgpr_dispatch_id 0
		.amdhsa_user_sgpr_private_segment_size 0
		.amdhsa_wavefront_size32 1
		.amdhsa_uses_dynamic_stack 0
		.amdhsa_enable_private_segment 0
		.amdhsa_system_sgpr_workgroup_id_x 1
		.amdhsa_system_sgpr_workgroup_id_y 0
		.amdhsa_system_sgpr_workgroup_id_z 0
		.amdhsa_system_sgpr_workgroup_info 0
		.amdhsa_system_vgpr_workitem_id 0
		.amdhsa_next_free_vgpr 1
		.amdhsa_next_free_sgpr 1
		.amdhsa_reserve_vcc 0
		.amdhsa_float_round_mode_32 0
		.amdhsa_float_round_mode_16_64 0
		.amdhsa_float_denorm_mode_32 3
		.amdhsa_float_denorm_mode_16_64 3
		.amdhsa_dx10_clamp 1
		.amdhsa_ieee_mode 1
		.amdhsa_fp16_overflow 0
		.amdhsa_workgroup_processor_mode 1
		.amdhsa_memory_ordered 1
		.amdhsa_forward_progress 0
		.amdhsa_shared_vgpr_count 0
		.amdhsa_exception_fp_ieee_invalid_op 0
		.amdhsa_exception_fp_denorm_src 0
		.amdhsa_exception_fp_ieee_div_zero 0
		.amdhsa_exception_fp_ieee_overflow 0
		.amdhsa_exception_fp_ieee_underflow 0
		.amdhsa_exception_fp_ieee_inexact 0
		.amdhsa_exception_int_div_zero 0
	.end_amdhsa_kernel
	.section	.text._ZN7rocprim17ROCPRIM_400000_NS6detail17trampoline_kernelINS0_14default_configENS1_27upper_bound_config_selectorIxiEEZNS1_14transform_implILb0ES3_S5_N6thrust23THRUST_200600_302600_NS6detail15normal_iteratorINS8_10device_ptrIxEEEENSA_INSB_IiEEEEZNS1_13binary_searchIS3_S5_SD_SD_SF_NS1_21upper_bound_search_opENS9_16wrapped_functionINS0_4lessIvEEbEEEE10hipError_tPvRmT1_T2_T3_mmT4_T5_P12ihipStream_tbEUlRKxE_EESM_SQ_SR_mSS_SV_bEUlT_E_NS1_11comp_targetILNS1_3genE4ELNS1_11target_archE910ELNS1_3gpuE8ELNS1_3repE0EEENS1_30default_config_static_selectorELNS0_4arch9wavefront6targetE0EEEvSP_,"axG",@progbits,_ZN7rocprim17ROCPRIM_400000_NS6detail17trampoline_kernelINS0_14default_configENS1_27upper_bound_config_selectorIxiEEZNS1_14transform_implILb0ES3_S5_N6thrust23THRUST_200600_302600_NS6detail15normal_iteratorINS8_10device_ptrIxEEEENSA_INSB_IiEEEEZNS1_13binary_searchIS3_S5_SD_SD_SF_NS1_21upper_bound_search_opENS9_16wrapped_functionINS0_4lessIvEEbEEEE10hipError_tPvRmT1_T2_T3_mmT4_T5_P12ihipStream_tbEUlRKxE_EESM_SQ_SR_mSS_SV_bEUlT_E_NS1_11comp_targetILNS1_3genE4ELNS1_11target_archE910ELNS1_3gpuE8ELNS1_3repE0EEENS1_30default_config_static_selectorELNS0_4arch9wavefront6targetE0EEEvSP_,comdat
.Lfunc_end377:
	.size	_ZN7rocprim17ROCPRIM_400000_NS6detail17trampoline_kernelINS0_14default_configENS1_27upper_bound_config_selectorIxiEEZNS1_14transform_implILb0ES3_S5_N6thrust23THRUST_200600_302600_NS6detail15normal_iteratorINS8_10device_ptrIxEEEENSA_INSB_IiEEEEZNS1_13binary_searchIS3_S5_SD_SD_SF_NS1_21upper_bound_search_opENS9_16wrapped_functionINS0_4lessIvEEbEEEE10hipError_tPvRmT1_T2_T3_mmT4_T5_P12ihipStream_tbEUlRKxE_EESM_SQ_SR_mSS_SV_bEUlT_E_NS1_11comp_targetILNS1_3genE4ELNS1_11target_archE910ELNS1_3gpuE8ELNS1_3repE0EEENS1_30default_config_static_selectorELNS0_4arch9wavefront6targetE0EEEvSP_, .Lfunc_end377-_ZN7rocprim17ROCPRIM_400000_NS6detail17trampoline_kernelINS0_14default_configENS1_27upper_bound_config_selectorIxiEEZNS1_14transform_implILb0ES3_S5_N6thrust23THRUST_200600_302600_NS6detail15normal_iteratorINS8_10device_ptrIxEEEENSA_INSB_IiEEEEZNS1_13binary_searchIS3_S5_SD_SD_SF_NS1_21upper_bound_search_opENS9_16wrapped_functionINS0_4lessIvEEbEEEE10hipError_tPvRmT1_T2_T3_mmT4_T5_P12ihipStream_tbEUlRKxE_EESM_SQ_SR_mSS_SV_bEUlT_E_NS1_11comp_targetILNS1_3genE4ELNS1_11target_archE910ELNS1_3gpuE8ELNS1_3repE0EEENS1_30default_config_static_selectorELNS0_4arch9wavefront6targetE0EEEvSP_
                                        ; -- End function
	.section	.AMDGPU.csdata,"",@progbits
; Kernel info:
; codeLenInByte = 0
; NumSgprs: 0
; NumVgprs: 0
; ScratchSize: 0
; MemoryBound: 0
; FloatMode: 240
; IeeeMode: 1
; LDSByteSize: 0 bytes/workgroup (compile time only)
; SGPRBlocks: 0
; VGPRBlocks: 0
; NumSGPRsForWavesPerEU: 1
; NumVGPRsForWavesPerEU: 1
; Occupancy: 16
; WaveLimiterHint : 0
; COMPUTE_PGM_RSRC2:SCRATCH_EN: 0
; COMPUTE_PGM_RSRC2:USER_SGPR: 15
; COMPUTE_PGM_RSRC2:TRAP_HANDLER: 0
; COMPUTE_PGM_RSRC2:TGID_X_EN: 1
; COMPUTE_PGM_RSRC2:TGID_Y_EN: 0
; COMPUTE_PGM_RSRC2:TGID_Z_EN: 0
; COMPUTE_PGM_RSRC2:TIDIG_COMP_CNT: 0
	.section	.text._ZN7rocprim17ROCPRIM_400000_NS6detail17trampoline_kernelINS0_14default_configENS1_27upper_bound_config_selectorIxiEEZNS1_14transform_implILb0ES3_S5_N6thrust23THRUST_200600_302600_NS6detail15normal_iteratorINS8_10device_ptrIxEEEENSA_INSB_IiEEEEZNS1_13binary_searchIS3_S5_SD_SD_SF_NS1_21upper_bound_search_opENS9_16wrapped_functionINS0_4lessIvEEbEEEE10hipError_tPvRmT1_T2_T3_mmT4_T5_P12ihipStream_tbEUlRKxE_EESM_SQ_SR_mSS_SV_bEUlT_E_NS1_11comp_targetILNS1_3genE3ELNS1_11target_archE908ELNS1_3gpuE7ELNS1_3repE0EEENS1_30default_config_static_selectorELNS0_4arch9wavefront6targetE0EEEvSP_,"axG",@progbits,_ZN7rocprim17ROCPRIM_400000_NS6detail17trampoline_kernelINS0_14default_configENS1_27upper_bound_config_selectorIxiEEZNS1_14transform_implILb0ES3_S5_N6thrust23THRUST_200600_302600_NS6detail15normal_iteratorINS8_10device_ptrIxEEEENSA_INSB_IiEEEEZNS1_13binary_searchIS3_S5_SD_SD_SF_NS1_21upper_bound_search_opENS9_16wrapped_functionINS0_4lessIvEEbEEEE10hipError_tPvRmT1_T2_T3_mmT4_T5_P12ihipStream_tbEUlRKxE_EESM_SQ_SR_mSS_SV_bEUlT_E_NS1_11comp_targetILNS1_3genE3ELNS1_11target_archE908ELNS1_3gpuE7ELNS1_3repE0EEENS1_30default_config_static_selectorELNS0_4arch9wavefront6targetE0EEEvSP_,comdat
	.protected	_ZN7rocprim17ROCPRIM_400000_NS6detail17trampoline_kernelINS0_14default_configENS1_27upper_bound_config_selectorIxiEEZNS1_14transform_implILb0ES3_S5_N6thrust23THRUST_200600_302600_NS6detail15normal_iteratorINS8_10device_ptrIxEEEENSA_INSB_IiEEEEZNS1_13binary_searchIS3_S5_SD_SD_SF_NS1_21upper_bound_search_opENS9_16wrapped_functionINS0_4lessIvEEbEEEE10hipError_tPvRmT1_T2_T3_mmT4_T5_P12ihipStream_tbEUlRKxE_EESM_SQ_SR_mSS_SV_bEUlT_E_NS1_11comp_targetILNS1_3genE3ELNS1_11target_archE908ELNS1_3gpuE7ELNS1_3repE0EEENS1_30default_config_static_selectorELNS0_4arch9wavefront6targetE0EEEvSP_ ; -- Begin function _ZN7rocprim17ROCPRIM_400000_NS6detail17trampoline_kernelINS0_14default_configENS1_27upper_bound_config_selectorIxiEEZNS1_14transform_implILb0ES3_S5_N6thrust23THRUST_200600_302600_NS6detail15normal_iteratorINS8_10device_ptrIxEEEENSA_INSB_IiEEEEZNS1_13binary_searchIS3_S5_SD_SD_SF_NS1_21upper_bound_search_opENS9_16wrapped_functionINS0_4lessIvEEbEEEE10hipError_tPvRmT1_T2_T3_mmT4_T5_P12ihipStream_tbEUlRKxE_EESM_SQ_SR_mSS_SV_bEUlT_E_NS1_11comp_targetILNS1_3genE3ELNS1_11target_archE908ELNS1_3gpuE7ELNS1_3repE0EEENS1_30default_config_static_selectorELNS0_4arch9wavefront6targetE0EEEvSP_
	.globl	_ZN7rocprim17ROCPRIM_400000_NS6detail17trampoline_kernelINS0_14default_configENS1_27upper_bound_config_selectorIxiEEZNS1_14transform_implILb0ES3_S5_N6thrust23THRUST_200600_302600_NS6detail15normal_iteratorINS8_10device_ptrIxEEEENSA_INSB_IiEEEEZNS1_13binary_searchIS3_S5_SD_SD_SF_NS1_21upper_bound_search_opENS9_16wrapped_functionINS0_4lessIvEEbEEEE10hipError_tPvRmT1_T2_T3_mmT4_T5_P12ihipStream_tbEUlRKxE_EESM_SQ_SR_mSS_SV_bEUlT_E_NS1_11comp_targetILNS1_3genE3ELNS1_11target_archE908ELNS1_3gpuE7ELNS1_3repE0EEENS1_30default_config_static_selectorELNS0_4arch9wavefront6targetE0EEEvSP_
	.p2align	8
	.type	_ZN7rocprim17ROCPRIM_400000_NS6detail17trampoline_kernelINS0_14default_configENS1_27upper_bound_config_selectorIxiEEZNS1_14transform_implILb0ES3_S5_N6thrust23THRUST_200600_302600_NS6detail15normal_iteratorINS8_10device_ptrIxEEEENSA_INSB_IiEEEEZNS1_13binary_searchIS3_S5_SD_SD_SF_NS1_21upper_bound_search_opENS9_16wrapped_functionINS0_4lessIvEEbEEEE10hipError_tPvRmT1_T2_T3_mmT4_T5_P12ihipStream_tbEUlRKxE_EESM_SQ_SR_mSS_SV_bEUlT_E_NS1_11comp_targetILNS1_3genE3ELNS1_11target_archE908ELNS1_3gpuE7ELNS1_3repE0EEENS1_30default_config_static_selectorELNS0_4arch9wavefront6targetE0EEEvSP_,@function
_ZN7rocprim17ROCPRIM_400000_NS6detail17trampoline_kernelINS0_14default_configENS1_27upper_bound_config_selectorIxiEEZNS1_14transform_implILb0ES3_S5_N6thrust23THRUST_200600_302600_NS6detail15normal_iteratorINS8_10device_ptrIxEEEENSA_INSB_IiEEEEZNS1_13binary_searchIS3_S5_SD_SD_SF_NS1_21upper_bound_search_opENS9_16wrapped_functionINS0_4lessIvEEbEEEE10hipError_tPvRmT1_T2_T3_mmT4_T5_P12ihipStream_tbEUlRKxE_EESM_SQ_SR_mSS_SV_bEUlT_E_NS1_11comp_targetILNS1_3genE3ELNS1_11target_archE908ELNS1_3gpuE7ELNS1_3repE0EEENS1_30default_config_static_selectorELNS0_4arch9wavefront6targetE0EEEvSP_: ; @_ZN7rocprim17ROCPRIM_400000_NS6detail17trampoline_kernelINS0_14default_configENS1_27upper_bound_config_selectorIxiEEZNS1_14transform_implILb0ES3_S5_N6thrust23THRUST_200600_302600_NS6detail15normal_iteratorINS8_10device_ptrIxEEEENSA_INSB_IiEEEEZNS1_13binary_searchIS3_S5_SD_SD_SF_NS1_21upper_bound_search_opENS9_16wrapped_functionINS0_4lessIvEEbEEEE10hipError_tPvRmT1_T2_T3_mmT4_T5_P12ihipStream_tbEUlRKxE_EESM_SQ_SR_mSS_SV_bEUlT_E_NS1_11comp_targetILNS1_3genE3ELNS1_11target_archE908ELNS1_3gpuE7ELNS1_3repE0EEENS1_30default_config_static_selectorELNS0_4arch9wavefront6targetE0EEEvSP_
; %bb.0:
	.section	.rodata,"a",@progbits
	.p2align	6, 0x0
	.amdhsa_kernel _ZN7rocprim17ROCPRIM_400000_NS6detail17trampoline_kernelINS0_14default_configENS1_27upper_bound_config_selectorIxiEEZNS1_14transform_implILb0ES3_S5_N6thrust23THRUST_200600_302600_NS6detail15normal_iteratorINS8_10device_ptrIxEEEENSA_INSB_IiEEEEZNS1_13binary_searchIS3_S5_SD_SD_SF_NS1_21upper_bound_search_opENS9_16wrapped_functionINS0_4lessIvEEbEEEE10hipError_tPvRmT1_T2_T3_mmT4_T5_P12ihipStream_tbEUlRKxE_EESM_SQ_SR_mSS_SV_bEUlT_E_NS1_11comp_targetILNS1_3genE3ELNS1_11target_archE908ELNS1_3gpuE7ELNS1_3repE0EEENS1_30default_config_static_selectorELNS0_4arch9wavefront6targetE0EEEvSP_
		.amdhsa_group_segment_fixed_size 0
		.amdhsa_private_segment_fixed_size 0
		.amdhsa_kernarg_size 56
		.amdhsa_user_sgpr_count 15
		.amdhsa_user_sgpr_dispatch_ptr 0
		.amdhsa_user_sgpr_queue_ptr 0
		.amdhsa_user_sgpr_kernarg_segment_ptr 1
		.amdhsa_user_sgpr_dispatch_id 0
		.amdhsa_user_sgpr_private_segment_size 0
		.amdhsa_wavefront_size32 1
		.amdhsa_uses_dynamic_stack 0
		.amdhsa_enable_private_segment 0
		.amdhsa_system_sgpr_workgroup_id_x 1
		.amdhsa_system_sgpr_workgroup_id_y 0
		.amdhsa_system_sgpr_workgroup_id_z 0
		.amdhsa_system_sgpr_workgroup_info 0
		.amdhsa_system_vgpr_workitem_id 0
		.amdhsa_next_free_vgpr 1
		.amdhsa_next_free_sgpr 1
		.amdhsa_reserve_vcc 0
		.amdhsa_float_round_mode_32 0
		.amdhsa_float_round_mode_16_64 0
		.amdhsa_float_denorm_mode_32 3
		.amdhsa_float_denorm_mode_16_64 3
		.amdhsa_dx10_clamp 1
		.amdhsa_ieee_mode 1
		.amdhsa_fp16_overflow 0
		.amdhsa_workgroup_processor_mode 1
		.amdhsa_memory_ordered 1
		.amdhsa_forward_progress 0
		.amdhsa_shared_vgpr_count 0
		.amdhsa_exception_fp_ieee_invalid_op 0
		.amdhsa_exception_fp_denorm_src 0
		.amdhsa_exception_fp_ieee_div_zero 0
		.amdhsa_exception_fp_ieee_overflow 0
		.amdhsa_exception_fp_ieee_underflow 0
		.amdhsa_exception_fp_ieee_inexact 0
		.amdhsa_exception_int_div_zero 0
	.end_amdhsa_kernel
	.section	.text._ZN7rocprim17ROCPRIM_400000_NS6detail17trampoline_kernelINS0_14default_configENS1_27upper_bound_config_selectorIxiEEZNS1_14transform_implILb0ES3_S5_N6thrust23THRUST_200600_302600_NS6detail15normal_iteratorINS8_10device_ptrIxEEEENSA_INSB_IiEEEEZNS1_13binary_searchIS3_S5_SD_SD_SF_NS1_21upper_bound_search_opENS9_16wrapped_functionINS0_4lessIvEEbEEEE10hipError_tPvRmT1_T2_T3_mmT4_T5_P12ihipStream_tbEUlRKxE_EESM_SQ_SR_mSS_SV_bEUlT_E_NS1_11comp_targetILNS1_3genE3ELNS1_11target_archE908ELNS1_3gpuE7ELNS1_3repE0EEENS1_30default_config_static_selectorELNS0_4arch9wavefront6targetE0EEEvSP_,"axG",@progbits,_ZN7rocprim17ROCPRIM_400000_NS6detail17trampoline_kernelINS0_14default_configENS1_27upper_bound_config_selectorIxiEEZNS1_14transform_implILb0ES3_S5_N6thrust23THRUST_200600_302600_NS6detail15normal_iteratorINS8_10device_ptrIxEEEENSA_INSB_IiEEEEZNS1_13binary_searchIS3_S5_SD_SD_SF_NS1_21upper_bound_search_opENS9_16wrapped_functionINS0_4lessIvEEbEEEE10hipError_tPvRmT1_T2_T3_mmT4_T5_P12ihipStream_tbEUlRKxE_EESM_SQ_SR_mSS_SV_bEUlT_E_NS1_11comp_targetILNS1_3genE3ELNS1_11target_archE908ELNS1_3gpuE7ELNS1_3repE0EEENS1_30default_config_static_selectorELNS0_4arch9wavefront6targetE0EEEvSP_,comdat
.Lfunc_end378:
	.size	_ZN7rocprim17ROCPRIM_400000_NS6detail17trampoline_kernelINS0_14default_configENS1_27upper_bound_config_selectorIxiEEZNS1_14transform_implILb0ES3_S5_N6thrust23THRUST_200600_302600_NS6detail15normal_iteratorINS8_10device_ptrIxEEEENSA_INSB_IiEEEEZNS1_13binary_searchIS3_S5_SD_SD_SF_NS1_21upper_bound_search_opENS9_16wrapped_functionINS0_4lessIvEEbEEEE10hipError_tPvRmT1_T2_T3_mmT4_T5_P12ihipStream_tbEUlRKxE_EESM_SQ_SR_mSS_SV_bEUlT_E_NS1_11comp_targetILNS1_3genE3ELNS1_11target_archE908ELNS1_3gpuE7ELNS1_3repE0EEENS1_30default_config_static_selectorELNS0_4arch9wavefront6targetE0EEEvSP_, .Lfunc_end378-_ZN7rocprim17ROCPRIM_400000_NS6detail17trampoline_kernelINS0_14default_configENS1_27upper_bound_config_selectorIxiEEZNS1_14transform_implILb0ES3_S5_N6thrust23THRUST_200600_302600_NS6detail15normal_iteratorINS8_10device_ptrIxEEEENSA_INSB_IiEEEEZNS1_13binary_searchIS3_S5_SD_SD_SF_NS1_21upper_bound_search_opENS9_16wrapped_functionINS0_4lessIvEEbEEEE10hipError_tPvRmT1_T2_T3_mmT4_T5_P12ihipStream_tbEUlRKxE_EESM_SQ_SR_mSS_SV_bEUlT_E_NS1_11comp_targetILNS1_3genE3ELNS1_11target_archE908ELNS1_3gpuE7ELNS1_3repE0EEENS1_30default_config_static_selectorELNS0_4arch9wavefront6targetE0EEEvSP_
                                        ; -- End function
	.section	.AMDGPU.csdata,"",@progbits
; Kernel info:
; codeLenInByte = 0
; NumSgprs: 0
; NumVgprs: 0
; ScratchSize: 0
; MemoryBound: 0
; FloatMode: 240
; IeeeMode: 1
; LDSByteSize: 0 bytes/workgroup (compile time only)
; SGPRBlocks: 0
; VGPRBlocks: 0
; NumSGPRsForWavesPerEU: 1
; NumVGPRsForWavesPerEU: 1
; Occupancy: 16
; WaveLimiterHint : 0
; COMPUTE_PGM_RSRC2:SCRATCH_EN: 0
; COMPUTE_PGM_RSRC2:USER_SGPR: 15
; COMPUTE_PGM_RSRC2:TRAP_HANDLER: 0
; COMPUTE_PGM_RSRC2:TGID_X_EN: 1
; COMPUTE_PGM_RSRC2:TGID_Y_EN: 0
; COMPUTE_PGM_RSRC2:TGID_Z_EN: 0
; COMPUTE_PGM_RSRC2:TIDIG_COMP_CNT: 0
	.section	.text._ZN7rocprim17ROCPRIM_400000_NS6detail17trampoline_kernelINS0_14default_configENS1_27upper_bound_config_selectorIxiEEZNS1_14transform_implILb0ES3_S5_N6thrust23THRUST_200600_302600_NS6detail15normal_iteratorINS8_10device_ptrIxEEEENSA_INSB_IiEEEEZNS1_13binary_searchIS3_S5_SD_SD_SF_NS1_21upper_bound_search_opENS9_16wrapped_functionINS0_4lessIvEEbEEEE10hipError_tPvRmT1_T2_T3_mmT4_T5_P12ihipStream_tbEUlRKxE_EESM_SQ_SR_mSS_SV_bEUlT_E_NS1_11comp_targetILNS1_3genE2ELNS1_11target_archE906ELNS1_3gpuE6ELNS1_3repE0EEENS1_30default_config_static_selectorELNS0_4arch9wavefront6targetE0EEEvSP_,"axG",@progbits,_ZN7rocprim17ROCPRIM_400000_NS6detail17trampoline_kernelINS0_14default_configENS1_27upper_bound_config_selectorIxiEEZNS1_14transform_implILb0ES3_S5_N6thrust23THRUST_200600_302600_NS6detail15normal_iteratorINS8_10device_ptrIxEEEENSA_INSB_IiEEEEZNS1_13binary_searchIS3_S5_SD_SD_SF_NS1_21upper_bound_search_opENS9_16wrapped_functionINS0_4lessIvEEbEEEE10hipError_tPvRmT1_T2_T3_mmT4_T5_P12ihipStream_tbEUlRKxE_EESM_SQ_SR_mSS_SV_bEUlT_E_NS1_11comp_targetILNS1_3genE2ELNS1_11target_archE906ELNS1_3gpuE6ELNS1_3repE0EEENS1_30default_config_static_selectorELNS0_4arch9wavefront6targetE0EEEvSP_,comdat
	.protected	_ZN7rocprim17ROCPRIM_400000_NS6detail17trampoline_kernelINS0_14default_configENS1_27upper_bound_config_selectorIxiEEZNS1_14transform_implILb0ES3_S5_N6thrust23THRUST_200600_302600_NS6detail15normal_iteratorINS8_10device_ptrIxEEEENSA_INSB_IiEEEEZNS1_13binary_searchIS3_S5_SD_SD_SF_NS1_21upper_bound_search_opENS9_16wrapped_functionINS0_4lessIvEEbEEEE10hipError_tPvRmT1_T2_T3_mmT4_T5_P12ihipStream_tbEUlRKxE_EESM_SQ_SR_mSS_SV_bEUlT_E_NS1_11comp_targetILNS1_3genE2ELNS1_11target_archE906ELNS1_3gpuE6ELNS1_3repE0EEENS1_30default_config_static_selectorELNS0_4arch9wavefront6targetE0EEEvSP_ ; -- Begin function _ZN7rocprim17ROCPRIM_400000_NS6detail17trampoline_kernelINS0_14default_configENS1_27upper_bound_config_selectorIxiEEZNS1_14transform_implILb0ES3_S5_N6thrust23THRUST_200600_302600_NS6detail15normal_iteratorINS8_10device_ptrIxEEEENSA_INSB_IiEEEEZNS1_13binary_searchIS3_S5_SD_SD_SF_NS1_21upper_bound_search_opENS9_16wrapped_functionINS0_4lessIvEEbEEEE10hipError_tPvRmT1_T2_T3_mmT4_T5_P12ihipStream_tbEUlRKxE_EESM_SQ_SR_mSS_SV_bEUlT_E_NS1_11comp_targetILNS1_3genE2ELNS1_11target_archE906ELNS1_3gpuE6ELNS1_3repE0EEENS1_30default_config_static_selectorELNS0_4arch9wavefront6targetE0EEEvSP_
	.globl	_ZN7rocprim17ROCPRIM_400000_NS6detail17trampoline_kernelINS0_14default_configENS1_27upper_bound_config_selectorIxiEEZNS1_14transform_implILb0ES3_S5_N6thrust23THRUST_200600_302600_NS6detail15normal_iteratorINS8_10device_ptrIxEEEENSA_INSB_IiEEEEZNS1_13binary_searchIS3_S5_SD_SD_SF_NS1_21upper_bound_search_opENS9_16wrapped_functionINS0_4lessIvEEbEEEE10hipError_tPvRmT1_T2_T3_mmT4_T5_P12ihipStream_tbEUlRKxE_EESM_SQ_SR_mSS_SV_bEUlT_E_NS1_11comp_targetILNS1_3genE2ELNS1_11target_archE906ELNS1_3gpuE6ELNS1_3repE0EEENS1_30default_config_static_selectorELNS0_4arch9wavefront6targetE0EEEvSP_
	.p2align	8
	.type	_ZN7rocprim17ROCPRIM_400000_NS6detail17trampoline_kernelINS0_14default_configENS1_27upper_bound_config_selectorIxiEEZNS1_14transform_implILb0ES3_S5_N6thrust23THRUST_200600_302600_NS6detail15normal_iteratorINS8_10device_ptrIxEEEENSA_INSB_IiEEEEZNS1_13binary_searchIS3_S5_SD_SD_SF_NS1_21upper_bound_search_opENS9_16wrapped_functionINS0_4lessIvEEbEEEE10hipError_tPvRmT1_T2_T3_mmT4_T5_P12ihipStream_tbEUlRKxE_EESM_SQ_SR_mSS_SV_bEUlT_E_NS1_11comp_targetILNS1_3genE2ELNS1_11target_archE906ELNS1_3gpuE6ELNS1_3repE0EEENS1_30default_config_static_selectorELNS0_4arch9wavefront6targetE0EEEvSP_,@function
_ZN7rocprim17ROCPRIM_400000_NS6detail17trampoline_kernelINS0_14default_configENS1_27upper_bound_config_selectorIxiEEZNS1_14transform_implILb0ES3_S5_N6thrust23THRUST_200600_302600_NS6detail15normal_iteratorINS8_10device_ptrIxEEEENSA_INSB_IiEEEEZNS1_13binary_searchIS3_S5_SD_SD_SF_NS1_21upper_bound_search_opENS9_16wrapped_functionINS0_4lessIvEEbEEEE10hipError_tPvRmT1_T2_T3_mmT4_T5_P12ihipStream_tbEUlRKxE_EESM_SQ_SR_mSS_SV_bEUlT_E_NS1_11comp_targetILNS1_3genE2ELNS1_11target_archE906ELNS1_3gpuE6ELNS1_3repE0EEENS1_30default_config_static_selectorELNS0_4arch9wavefront6targetE0EEEvSP_: ; @_ZN7rocprim17ROCPRIM_400000_NS6detail17trampoline_kernelINS0_14default_configENS1_27upper_bound_config_selectorIxiEEZNS1_14transform_implILb0ES3_S5_N6thrust23THRUST_200600_302600_NS6detail15normal_iteratorINS8_10device_ptrIxEEEENSA_INSB_IiEEEEZNS1_13binary_searchIS3_S5_SD_SD_SF_NS1_21upper_bound_search_opENS9_16wrapped_functionINS0_4lessIvEEbEEEE10hipError_tPvRmT1_T2_T3_mmT4_T5_P12ihipStream_tbEUlRKxE_EESM_SQ_SR_mSS_SV_bEUlT_E_NS1_11comp_targetILNS1_3genE2ELNS1_11target_archE906ELNS1_3gpuE6ELNS1_3repE0EEENS1_30default_config_static_selectorELNS0_4arch9wavefront6targetE0EEEvSP_
; %bb.0:
	.section	.rodata,"a",@progbits
	.p2align	6, 0x0
	.amdhsa_kernel _ZN7rocprim17ROCPRIM_400000_NS6detail17trampoline_kernelINS0_14default_configENS1_27upper_bound_config_selectorIxiEEZNS1_14transform_implILb0ES3_S5_N6thrust23THRUST_200600_302600_NS6detail15normal_iteratorINS8_10device_ptrIxEEEENSA_INSB_IiEEEEZNS1_13binary_searchIS3_S5_SD_SD_SF_NS1_21upper_bound_search_opENS9_16wrapped_functionINS0_4lessIvEEbEEEE10hipError_tPvRmT1_T2_T3_mmT4_T5_P12ihipStream_tbEUlRKxE_EESM_SQ_SR_mSS_SV_bEUlT_E_NS1_11comp_targetILNS1_3genE2ELNS1_11target_archE906ELNS1_3gpuE6ELNS1_3repE0EEENS1_30default_config_static_selectorELNS0_4arch9wavefront6targetE0EEEvSP_
		.amdhsa_group_segment_fixed_size 0
		.amdhsa_private_segment_fixed_size 0
		.amdhsa_kernarg_size 56
		.amdhsa_user_sgpr_count 15
		.amdhsa_user_sgpr_dispatch_ptr 0
		.amdhsa_user_sgpr_queue_ptr 0
		.amdhsa_user_sgpr_kernarg_segment_ptr 1
		.amdhsa_user_sgpr_dispatch_id 0
		.amdhsa_user_sgpr_private_segment_size 0
		.amdhsa_wavefront_size32 1
		.amdhsa_uses_dynamic_stack 0
		.amdhsa_enable_private_segment 0
		.amdhsa_system_sgpr_workgroup_id_x 1
		.amdhsa_system_sgpr_workgroup_id_y 0
		.amdhsa_system_sgpr_workgroup_id_z 0
		.amdhsa_system_sgpr_workgroup_info 0
		.amdhsa_system_vgpr_workitem_id 0
		.amdhsa_next_free_vgpr 1
		.amdhsa_next_free_sgpr 1
		.amdhsa_reserve_vcc 0
		.amdhsa_float_round_mode_32 0
		.amdhsa_float_round_mode_16_64 0
		.amdhsa_float_denorm_mode_32 3
		.amdhsa_float_denorm_mode_16_64 3
		.amdhsa_dx10_clamp 1
		.amdhsa_ieee_mode 1
		.amdhsa_fp16_overflow 0
		.amdhsa_workgroup_processor_mode 1
		.amdhsa_memory_ordered 1
		.amdhsa_forward_progress 0
		.amdhsa_shared_vgpr_count 0
		.amdhsa_exception_fp_ieee_invalid_op 0
		.amdhsa_exception_fp_denorm_src 0
		.amdhsa_exception_fp_ieee_div_zero 0
		.amdhsa_exception_fp_ieee_overflow 0
		.amdhsa_exception_fp_ieee_underflow 0
		.amdhsa_exception_fp_ieee_inexact 0
		.amdhsa_exception_int_div_zero 0
	.end_amdhsa_kernel
	.section	.text._ZN7rocprim17ROCPRIM_400000_NS6detail17trampoline_kernelINS0_14default_configENS1_27upper_bound_config_selectorIxiEEZNS1_14transform_implILb0ES3_S5_N6thrust23THRUST_200600_302600_NS6detail15normal_iteratorINS8_10device_ptrIxEEEENSA_INSB_IiEEEEZNS1_13binary_searchIS3_S5_SD_SD_SF_NS1_21upper_bound_search_opENS9_16wrapped_functionINS0_4lessIvEEbEEEE10hipError_tPvRmT1_T2_T3_mmT4_T5_P12ihipStream_tbEUlRKxE_EESM_SQ_SR_mSS_SV_bEUlT_E_NS1_11comp_targetILNS1_3genE2ELNS1_11target_archE906ELNS1_3gpuE6ELNS1_3repE0EEENS1_30default_config_static_selectorELNS0_4arch9wavefront6targetE0EEEvSP_,"axG",@progbits,_ZN7rocprim17ROCPRIM_400000_NS6detail17trampoline_kernelINS0_14default_configENS1_27upper_bound_config_selectorIxiEEZNS1_14transform_implILb0ES3_S5_N6thrust23THRUST_200600_302600_NS6detail15normal_iteratorINS8_10device_ptrIxEEEENSA_INSB_IiEEEEZNS1_13binary_searchIS3_S5_SD_SD_SF_NS1_21upper_bound_search_opENS9_16wrapped_functionINS0_4lessIvEEbEEEE10hipError_tPvRmT1_T2_T3_mmT4_T5_P12ihipStream_tbEUlRKxE_EESM_SQ_SR_mSS_SV_bEUlT_E_NS1_11comp_targetILNS1_3genE2ELNS1_11target_archE906ELNS1_3gpuE6ELNS1_3repE0EEENS1_30default_config_static_selectorELNS0_4arch9wavefront6targetE0EEEvSP_,comdat
.Lfunc_end379:
	.size	_ZN7rocprim17ROCPRIM_400000_NS6detail17trampoline_kernelINS0_14default_configENS1_27upper_bound_config_selectorIxiEEZNS1_14transform_implILb0ES3_S5_N6thrust23THRUST_200600_302600_NS6detail15normal_iteratorINS8_10device_ptrIxEEEENSA_INSB_IiEEEEZNS1_13binary_searchIS3_S5_SD_SD_SF_NS1_21upper_bound_search_opENS9_16wrapped_functionINS0_4lessIvEEbEEEE10hipError_tPvRmT1_T2_T3_mmT4_T5_P12ihipStream_tbEUlRKxE_EESM_SQ_SR_mSS_SV_bEUlT_E_NS1_11comp_targetILNS1_3genE2ELNS1_11target_archE906ELNS1_3gpuE6ELNS1_3repE0EEENS1_30default_config_static_selectorELNS0_4arch9wavefront6targetE0EEEvSP_, .Lfunc_end379-_ZN7rocprim17ROCPRIM_400000_NS6detail17trampoline_kernelINS0_14default_configENS1_27upper_bound_config_selectorIxiEEZNS1_14transform_implILb0ES3_S5_N6thrust23THRUST_200600_302600_NS6detail15normal_iteratorINS8_10device_ptrIxEEEENSA_INSB_IiEEEEZNS1_13binary_searchIS3_S5_SD_SD_SF_NS1_21upper_bound_search_opENS9_16wrapped_functionINS0_4lessIvEEbEEEE10hipError_tPvRmT1_T2_T3_mmT4_T5_P12ihipStream_tbEUlRKxE_EESM_SQ_SR_mSS_SV_bEUlT_E_NS1_11comp_targetILNS1_3genE2ELNS1_11target_archE906ELNS1_3gpuE6ELNS1_3repE0EEENS1_30default_config_static_selectorELNS0_4arch9wavefront6targetE0EEEvSP_
                                        ; -- End function
	.section	.AMDGPU.csdata,"",@progbits
; Kernel info:
; codeLenInByte = 0
; NumSgprs: 0
; NumVgprs: 0
; ScratchSize: 0
; MemoryBound: 0
; FloatMode: 240
; IeeeMode: 1
; LDSByteSize: 0 bytes/workgroup (compile time only)
; SGPRBlocks: 0
; VGPRBlocks: 0
; NumSGPRsForWavesPerEU: 1
; NumVGPRsForWavesPerEU: 1
; Occupancy: 16
; WaveLimiterHint : 0
; COMPUTE_PGM_RSRC2:SCRATCH_EN: 0
; COMPUTE_PGM_RSRC2:USER_SGPR: 15
; COMPUTE_PGM_RSRC2:TRAP_HANDLER: 0
; COMPUTE_PGM_RSRC2:TGID_X_EN: 1
; COMPUTE_PGM_RSRC2:TGID_Y_EN: 0
; COMPUTE_PGM_RSRC2:TGID_Z_EN: 0
; COMPUTE_PGM_RSRC2:TIDIG_COMP_CNT: 0
	.section	.text._ZN7rocprim17ROCPRIM_400000_NS6detail17trampoline_kernelINS0_14default_configENS1_27upper_bound_config_selectorIxiEEZNS1_14transform_implILb0ES3_S5_N6thrust23THRUST_200600_302600_NS6detail15normal_iteratorINS8_10device_ptrIxEEEENSA_INSB_IiEEEEZNS1_13binary_searchIS3_S5_SD_SD_SF_NS1_21upper_bound_search_opENS9_16wrapped_functionINS0_4lessIvEEbEEEE10hipError_tPvRmT1_T2_T3_mmT4_T5_P12ihipStream_tbEUlRKxE_EESM_SQ_SR_mSS_SV_bEUlT_E_NS1_11comp_targetILNS1_3genE10ELNS1_11target_archE1201ELNS1_3gpuE5ELNS1_3repE0EEENS1_30default_config_static_selectorELNS0_4arch9wavefront6targetE0EEEvSP_,"axG",@progbits,_ZN7rocprim17ROCPRIM_400000_NS6detail17trampoline_kernelINS0_14default_configENS1_27upper_bound_config_selectorIxiEEZNS1_14transform_implILb0ES3_S5_N6thrust23THRUST_200600_302600_NS6detail15normal_iteratorINS8_10device_ptrIxEEEENSA_INSB_IiEEEEZNS1_13binary_searchIS3_S5_SD_SD_SF_NS1_21upper_bound_search_opENS9_16wrapped_functionINS0_4lessIvEEbEEEE10hipError_tPvRmT1_T2_T3_mmT4_T5_P12ihipStream_tbEUlRKxE_EESM_SQ_SR_mSS_SV_bEUlT_E_NS1_11comp_targetILNS1_3genE10ELNS1_11target_archE1201ELNS1_3gpuE5ELNS1_3repE0EEENS1_30default_config_static_selectorELNS0_4arch9wavefront6targetE0EEEvSP_,comdat
	.protected	_ZN7rocprim17ROCPRIM_400000_NS6detail17trampoline_kernelINS0_14default_configENS1_27upper_bound_config_selectorIxiEEZNS1_14transform_implILb0ES3_S5_N6thrust23THRUST_200600_302600_NS6detail15normal_iteratorINS8_10device_ptrIxEEEENSA_INSB_IiEEEEZNS1_13binary_searchIS3_S5_SD_SD_SF_NS1_21upper_bound_search_opENS9_16wrapped_functionINS0_4lessIvEEbEEEE10hipError_tPvRmT1_T2_T3_mmT4_T5_P12ihipStream_tbEUlRKxE_EESM_SQ_SR_mSS_SV_bEUlT_E_NS1_11comp_targetILNS1_3genE10ELNS1_11target_archE1201ELNS1_3gpuE5ELNS1_3repE0EEENS1_30default_config_static_selectorELNS0_4arch9wavefront6targetE0EEEvSP_ ; -- Begin function _ZN7rocprim17ROCPRIM_400000_NS6detail17trampoline_kernelINS0_14default_configENS1_27upper_bound_config_selectorIxiEEZNS1_14transform_implILb0ES3_S5_N6thrust23THRUST_200600_302600_NS6detail15normal_iteratorINS8_10device_ptrIxEEEENSA_INSB_IiEEEEZNS1_13binary_searchIS3_S5_SD_SD_SF_NS1_21upper_bound_search_opENS9_16wrapped_functionINS0_4lessIvEEbEEEE10hipError_tPvRmT1_T2_T3_mmT4_T5_P12ihipStream_tbEUlRKxE_EESM_SQ_SR_mSS_SV_bEUlT_E_NS1_11comp_targetILNS1_3genE10ELNS1_11target_archE1201ELNS1_3gpuE5ELNS1_3repE0EEENS1_30default_config_static_selectorELNS0_4arch9wavefront6targetE0EEEvSP_
	.globl	_ZN7rocprim17ROCPRIM_400000_NS6detail17trampoline_kernelINS0_14default_configENS1_27upper_bound_config_selectorIxiEEZNS1_14transform_implILb0ES3_S5_N6thrust23THRUST_200600_302600_NS6detail15normal_iteratorINS8_10device_ptrIxEEEENSA_INSB_IiEEEEZNS1_13binary_searchIS3_S5_SD_SD_SF_NS1_21upper_bound_search_opENS9_16wrapped_functionINS0_4lessIvEEbEEEE10hipError_tPvRmT1_T2_T3_mmT4_T5_P12ihipStream_tbEUlRKxE_EESM_SQ_SR_mSS_SV_bEUlT_E_NS1_11comp_targetILNS1_3genE10ELNS1_11target_archE1201ELNS1_3gpuE5ELNS1_3repE0EEENS1_30default_config_static_selectorELNS0_4arch9wavefront6targetE0EEEvSP_
	.p2align	8
	.type	_ZN7rocprim17ROCPRIM_400000_NS6detail17trampoline_kernelINS0_14default_configENS1_27upper_bound_config_selectorIxiEEZNS1_14transform_implILb0ES3_S5_N6thrust23THRUST_200600_302600_NS6detail15normal_iteratorINS8_10device_ptrIxEEEENSA_INSB_IiEEEEZNS1_13binary_searchIS3_S5_SD_SD_SF_NS1_21upper_bound_search_opENS9_16wrapped_functionINS0_4lessIvEEbEEEE10hipError_tPvRmT1_T2_T3_mmT4_T5_P12ihipStream_tbEUlRKxE_EESM_SQ_SR_mSS_SV_bEUlT_E_NS1_11comp_targetILNS1_3genE10ELNS1_11target_archE1201ELNS1_3gpuE5ELNS1_3repE0EEENS1_30default_config_static_selectorELNS0_4arch9wavefront6targetE0EEEvSP_,@function
_ZN7rocprim17ROCPRIM_400000_NS6detail17trampoline_kernelINS0_14default_configENS1_27upper_bound_config_selectorIxiEEZNS1_14transform_implILb0ES3_S5_N6thrust23THRUST_200600_302600_NS6detail15normal_iteratorINS8_10device_ptrIxEEEENSA_INSB_IiEEEEZNS1_13binary_searchIS3_S5_SD_SD_SF_NS1_21upper_bound_search_opENS9_16wrapped_functionINS0_4lessIvEEbEEEE10hipError_tPvRmT1_T2_T3_mmT4_T5_P12ihipStream_tbEUlRKxE_EESM_SQ_SR_mSS_SV_bEUlT_E_NS1_11comp_targetILNS1_3genE10ELNS1_11target_archE1201ELNS1_3gpuE5ELNS1_3repE0EEENS1_30default_config_static_selectorELNS0_4arch9wavefront6targetE0EEEvSP_: ; @_ZN7rocprim17ROCPRIM_400000_NS6detail17trampoline_kernelINS0_14default_configENS1_27upper_bound_config_selectorIxiEEZNS1_14transform_implILb0ES3_S5_N6thrust23THRUST_200600_302600_NS6detail15normal_iteratorINS8_10device_ptrIxEEEENSA_INSB_IiEEEEZNS1_13binary_searchIS3_S5_SD_SD_SF_NS1_21upper_bound_search_opENS9_16wrapped_functionINS0_4lessIvEEbEEEE10hipError_tPvRmT1_T2_T3_mmT4_T5_P12ihipStream_tbEUlRKxE_EESM_SQ_SR_mSS_SV_bEUlT_E_NS1_11comp_targetILNS1_3genE10ELNS1_11target_archE1201ELNS1_3gpuE5ELNS1_3repE0EEENS1_30default_config_static_selectorELNS0_4arch9wavefront6targetE0EEEvSP_
; %bb.0:
	.section	.rodata,"a",@progbits
	.p2align	6, 0x0
	.amdhsa_kernel _ZN7rocprim17ROCPRIM_400000_NS6detail17trampoline_kernelINS0_14default_configENS1_27upper_bound_config_selectorIxiEEZNS1_14transform_implILb0ES3_S5_N6thrust23THRUST_200600_302600_NS6detail15normal_iteratorINS8_10device_ptrIxEEEENSA_INSB_IiEEEEZNS1_13binary_searchIS3_S5_SD_SD_SF_NS1_21upper_bound_search_opENS9_16wrapped_functionINS0_4lessIvEEbEEEE10hipError_tPvRmT1_T2_T3_mmT4_T5_P12ihipStream_tbEUlRKxE_EESM_SQ_SR_mSS_SV_bEUlT_E_NS1_11comp_targetILNS1_3genE10ELNS1_11target_archE1201ELNS1_3gpuE5ELNS1_3repE0EEENS1_30default_config_static_selectorELNS0_4arch9wavefront6targetE0EEEvSP_
		.amdhsa_group_segment_fixed_size 0
		.amdhsa_private_segment_fixed_size 0
		.amdhsa_kernarg_size 56
		.amdhsa_user_sgpr_count 15
		.amdhsa_user_sgpr_dispatch_ptr 0
		.amdhsa_user_sgpr_queue_ptr 0
		.amdhsa_user_sgpr_kernarg_segment_ptr 1
		.amdhsa_user_sgpr_dispatch_id 0
		.amdhsa_user_sgpr_private_segment_size 0
		.amdhsa_wavefront_size32 1
		.amdhsa_uses_dynamic_stack 0
		.amdhsa_enable_private_segment 0
		.amdhsa_system_sgpr_workgroup_id_x 1
		.amdhsa_system_sgpr_workgroup_id_y 0
		.amdhsa_system_sgpr_workgroup_id_z 0
		.amdhsa_system_sgpr_workgroup_info 0
		.amdhsa_system_vgpr_workitem_id 0
		.amdhsa_next_free_vgpr 1
		.amdhsa_next_free_sgpr 1
		.amdhsa_reserve_vcc 0
		.amdhsa_float_round_mode_32 0
		.amdhsa_float_round_mode_16_64 0
		.amdhsa_float_denorm_mode_32 3
		.amdhsa_float_denorm_mode_16_64 3
		.amdhsa_dx10_clamp 1
		.amdhsa_ieee_mode 1
		.amdhsa_fp16_overflow 0
		.amdhsa_workgroup_processor_mode 1
		.amdhsa_memory_ordered 1
		.amdhsa_forward_progress 0
		.amdhsa_shared_vgpr_count 0
		.amdhsa_exception_fp_ieee_invalid_op 0
		.amdhsa_exception_fp_denorm_src 0
		.amdhsa_exception_fp_ieee_div_zero 0
		.amdhsa_exception_fp_ieee_overflow 0
		.amdhsa_exception_fp_ieee_underflow 0
		.amdhsa_exception_fp_ieee_inexact 0
		.amdhsa_exception_int_div_zero 0
	.end_amdhsa_kernel
	.section	.text._ZN7rocprim17ROCPRIM_400000_NS6detail17trampoline_kernelINS0_14default_configENS1_27upper_bound_config_selectorIxiEEZNS1_14transform_implILb0ES3_S5_N6thrust23THRUST_200600_302600_NS6detail15normal_iteratorINS8_10device_ptrIxEEEENSA_INSB_IiEEEEZNS1_13binary_searchIS3_S5_SD_SD_SF_NS1_21upper_bound_search_opENS9_16wrapped_functionINS0_4lessIvEEbEEEE10hipError_tPvRmT1_T2_T3_mmT4_T5_P12ihipStream_tbEUlRKxE_EESM_SQ_SR_mSS_SV_bEUlT_E_NS1_11comp_targetILNS1_3genE10ELNS1_11target_archE1201ELNS1_3gpuE5ELNS1_3repE0EEENS1_30default_config_static_selectorELNS0_4arch9wavefront6targetE0EEEvSP_,"axG",@progbits,_ZN7rocprim17ROCPRIM_400000_NS6detail17trampoline_kernelINS0_14default_configENS1_27upper_bound_config_selectorIxiEEZNS1_14transform_implILb0ES3_S5_N6thrust23THRUST_200600_302600_NS6detail15normal_iteratorINS8_10device_ptrIxEEEENSA_INSB_IiEEEEZNS1_13binary_searchIS3_S5_SD_SD_SF_NS1_21upper_bound_search_opENS9_16wrapped_functionINS0_4lessIvEEbEEEE10hipError_tPvRmT1_T2_T3_mmT4_T5_P12ihipStream_tbEUlRKxE_EESM_SQ_SR_mSS_SV_bEUlT_E_NS1_11comp_targetILNS1_3genE10ELNS1_11target_archE1201ELNS1_3gpuE5ELNS1_3repE0EEENS1_30default_config_static_selectorELNS0_4arch9wavefront6targetE0EEEvSP_,comdat
.Lfunc_end380:
	.size	_ZN7rocprim17ROCPRIM_400000_NS6detail17trampoline_kernelINS0_14default_configENS1_27upper_bound_config_selectorIxiEEZNS1_14transform_implILb0ES3_S5_N6thrust23THRUST_200600_302600_NS6detail15normal_iteratorINS8_10device_ptrIxEEEENSA_INSB_IiEEEEZNS1_13binary_searchIS3_S5_SD_SD_SF_NS1_21upper_bound_search_opENS9_16wrapped_functionINS0_4lessIvEEbEEEE10hipError_tPvRmT1_T2_T3_mmT4_T5_P12ihipStream_tbEUlRKxE_EESM_SQ_SR_mSS_SV_bEUlT_E_NS1_11comp_targetILNS1_3genE10ELNS1_11target_archE1201ELNS1_3gpuE5ELNS1_3repE0EEENS1_30default_config_static_selectorELNS0_4arch9wavefront6targetE0EEEvSP_, .Lfunc_end380-_ZN7rocprim17ROCPRIM_400000_NS6detail17trampoline_kernelINS0_14default_configENS1_27upper_bound_config_selectorIxiEEZNS1_14transform_implILb0ES3_S5_N6thrust23THRUST_200600_302600_NS6detail15normal_iteratorINS8_10device_ptrIxEEEENSA_INSB_IiEEEEZNS1_13binary_searchIS3_S5_SD_SD_SF_NS1_21upper_bound_search_opENS9_16wrapped_functionINS0_4lessIvEEbEEEE10hipError_tPvRmT1_T2_T3_mmT4_T5_P12ihipStream_tbEUlRKxE_EESM_SQ_SR_mSS_SV_bEUlT_E_NS1_11comp_targetILNS1_3genE10ELNS1_11target_archE1201ELNS1_3gpuE5ELNS1_3repE0EEENS1_30default_config_static_selectorELNS0_4arch9wavefront6targetE0EEEvSP_
                                        ; -- End function
	.section	.AMDGPU.csdata,"",@progbits
; Kernel info:
; codeLenInByte = 0
; NumSgprs: 0
; NumVgprs: 0
; ScratchSize: 0
; MemoryBound: 0
; FloatMode: 240
; IeeeMode: 1
; LDSByteSize: 0 bytes/workgroup (compile time only)
; SGPRBlocks: 0
; VGPRBlocks: 0
; NumSGPRsForWavesPerEU: 1
; NumVGPRsForWavesPerEU: 1
; Occupancy: 16
; WaveLimiterHint : 0
; COMPUTE_PGM_RSRC2:SCRATCH_EN: 0
; COMPUTE_PGM_RSRC2:USER_SGPR: 15
; COMPUTE_PGM_RSRC2:TRAP_HANDLER: 0
; COMPUTE_PGM_RSRC2:TGID_X_EN: 1
; COMPUTE_PGM_RSRC2:TGID_Y_EN: 0
; COMPUTE_PGM_RSRC2:TGID_Z_EN: 0
; COMPUTE_PGM_RSRC2:TIDIG_COMP_CNT: 0
	.section	.text._ZN7rocprim17ROCPRIM_400000_NS6detail17trampoline_kernelINS0_14default_configENS1_27upper_bound_config_selectorIxiEEZNS1_14transform_implILb0ES3_S5_N6thrust23THRUST_200600_302600_NS6detail15normal_iteratorINS8_10device_ptrIxEEEENSA_INSB_IiEEEEZNS1_13binary_searchIS3_S5_SD_SD_SF_NS1_21upper_bound_search_opENS9_16wrapped_functionINS0_4lessIvEEbEEEE10hipError_tPvRmT1_T2_T3_mmT4_T5_P12ihipStream_tbEUlRKxE_EESM_SQ_SR_mSS_SV_bEUlT_E_NS1_11comp_targetILNS1_3genE10ELNS1_11target_archE1200ELNS1_3gpuE4ELNS1_3repE0EEENS1_30default_config_static_selectorELNS0_4arch9wavefront6targetE0EEEvSP_,"axG",@progbits,_ZN7rocprim17ROCPRIM_400000_NS6detail17trampoline_kernelINS0_14default_configENS1_27upper_bound_config_selectorIxiEEZNS1_14transform_implILb0ES3_S5_N6thrust23THRUST_200600_302600_NS6detail15normal_iteratorINS8_10device_ptrIxEEEENSA_INSB_IiEEEEZNS1_13binary_searchIS3_S5_SD_SD_SF_NS1_21upper_bound_search_opENS9_16wrapped_functionINS0_4lessIvEEbEEEE10hipError_tPvRmT1_T2_T3_mmT4_T5_P12ihipStream_tbEUlRKxE_EESM_SQ_SR_mSS_SV_bEUlT_E_NS1_11comp_targetILNS1_3genE10ELNS1_11target_archE1200ELNS1_3gpuE4ELNS1_3repE0EEENS1_30default_config_static_selectorELNS0_4arch9wavefront6targetE0EEEvSP_,comdat
	.protected	_ZN7rocprim17ROCPRIM_400000_NS6detail17trampoline_kernelINS0_14default_configENS1_27upper_bound_config_selectorIxiEEZNS1_14transform_implILb0ES3_S5_N6thrust23THRUST_200600_302600_NS6detail15normal_iteratorINS8_10device_ptrIxEEEENSA_INSB_IiEEEEZNS1_13binary_searchIS3_S5_SD_SD_SF_NS1_21upper_bound_search_opENS9_16wrapped_functionINS0_4lessIvEEbEEEE10hipError_tPvRmT1_T2_T3_mmT4_T5_P12ihipStream_tbEUlRKxE_EESM_SQ_SR_mSS_SV_bEUlT_E_NS1_11comp_targetILNS1_3genE10ELNS1_11target_archE1200ELNS1_3gpuE4ELNS1_3repE0EEENS1_30default_config_static_selectorELNS0_4arch9wavefront6targetE0EEEvSP_ ; -- Begin function _ZN7rocprim17ROCPRIM_400000_NS6detail17trampoline_kernelINS0_14default_configENS1_27upper_bound_config_selectorIxiEEZNS1_14transform_implILb0ES3_S5_N6thrust23THRUST_200600_302600_NS6detail15normal_iteratorINS8_10device_ptrIxEEEENSA_INSB_IiEEEEZNS1_13binary_searchIS3_S5_SD_SD_SF_NS1_21upper_bound_search_opENS9_16wrapped_functionINS0_4lessIvEEbEEEE10hipError_tPvRmT1_T2_T3_mmT4_T5_P12ihipStream_tbEUlRKxE_EESM_SQ_SR_mSS_SV_bEUlT_E_NS1_11comp_targetILNS1_3genE10ELNS1_11target_archE1200ELNS1_3gpuE4ELNS1_3repE0EEENS1_30default_config_static_selectorELNS0_4arch9wavefront6targetE0EEEvSP_
	.globl	_ZN7rocprim17ROCPRIM_400000_NS6detail17trampoline_kernelINS0_14default_configENS1_27upper_bound_config_selectorIxiEEZNS1_14transform_implILb0ES3_S5_N6thrust23THRUST_200600_302600_NS6detail15normal_iteratorINS8_10device_ptrIxEEEENSA_INSB_IiEEEEZNS1_13binary_searchIS3_S5_SD_SD_SF_NS1_21upper_bound_search_opENS9_16wrapped_functionINS0_4lessIvEEbEEEE10hipError_tPvRmT1_T2_T3_mmT4_T5_P12ihipStream_tbEUlRKxE_EESM_SQ_SR_mSS_SV_bEUlT_E_NS1_11comp_targetILNS1_3genE10ELNS1_11target_archE1200ELNS1_3gpuE4ELNS1_3repE0EEENS1_30default_config_static_selectorELNS0_4arch9wavefront6targetE0EEEvSP_
	.p2align	8
	.type	_ZN7rocprim17ROCPRIM_400000_NS6detail17trampoline_kernelINS0_14default_configENS1_27upper_bound_config_selectorIxiEEZNS1_14transform_implILb0ES3_S5_N6thrust23THRUST_200600_302600_NS6detail15normal_iteratorINS8_10device_ptrIxEEEENSA_INSB_IiEEEEZNS1_13binary_searchIS3_S5_SD_SD_SF_NS1_21upper_bound_search_opENS9_16wrapped_functionINS0_4lessIvEEbEEEE10hipError_tPvRmT1_T2_T3_mmT4_T5_P12ihipStream_tbEUlRKxE_EESM_SQ_SR_mSS_SV_bEUlT_E_NS1_11comp_targetILNS1_3genE10ELNS1_11target_archE1200ELNS1_3gpuE4ELNS1_3repE0EEENS1_30default_config_static_selectorELNS0_4arch9wavefront6targetE0EEEvSP_,@function
_ZN7rocprim17ROCPRIM_400000_NS6detail17trampoline_kernelINS0_14default_configENS1_27upper_bound_config_selectorIxiEEZNS1_14transform_implILb0ES3_S5_N6thrust23THRUST_200600_302600_NS6detail15normal_iteratorINS8_10device_ptrIxEEEENSA_INSB_IiEEEEZNS1_13binary_searchIS3_S5_SD_SD_SF_NS1_21upper_bound_search_opENS9_16wrapped_functionINS0_4lessIvEEbEEEE10hipError_tPvRmT1_T2_T3_mmT4_T5_P12ihipStream_tbEUlRKxE_EESM_SQ_SR_mSS_SV_bEUlT_E_NS1_11comp_targetILNS1_3genE10ELNS1_11target_archE1200ELNS1_3gpuE4ELNS1_3repE0EEENS1_30default_config_static_selectorELNS0_4arch9wavefront6targetE0EEEvSP_: ; @_ZN7rocprim17ROCPRIM_400000_NS6detail17trampoline_kernelINS0_14default_configENS1_27upper_bound_config_selectorIxiEEZNS1_14transform_implILb0ES3_S5_N6thrust23THRUST_200600_302600_NS6detail15normal_iteratorINS8_10device_ptrIxEEEENSA_INSB_IiEEEEZNS1_13binary_searchIS3_S5_SD_SD_SF_NS1_21upper_bound_search_opENS9_16wrapped_functionINS0_4lessIvEEbEEEE10hipError_tPvRmT1_T2_T3_mmT4_T5_P12ihipStream_tbEUlRKxE_EESM_SQ_SR_mSS_SV_bEUlT_E_NS1_11comp_targetILNS1_3genE10ELNS1_11target_archE1200ELNS1_3gpuE4ELNS1_3repE0EEENS1_30default_config_static_selectorELNS0_4arch9wavefront6targetE0EEEvSP_
; %bb.0:
	.section	.rodata,"a",@progbits
	.p2align	6, 0x0
	.amdhsa_kernel _ZN7rocprim17ROCPRIM_400000_NS6detail17trampoline_kernelINS0_14default_configENS1_27upper_bound_config_selectorIxiEEZNS1_14transform_implILb0ES3_S5_N6thrust23THRUST_200600_302600_NS6detail15normal_iteratorINS8_10device_ptrIxEEEENSA_INSB_IiEEEEZNS1_13binary_searchIS3_S5_SD_SD_SF_NS1_21upper_bound_search_opENS9_16wrapped_functionINS0_4lessIvEEbEEEE10hipError_tPvRmT1_T2_T3_mmT4_T5_P12ihipStream_tbEUlRKxE_EESM_SQ_SR_mSS_SV_bEUlT_E_NS1_11comp_targetILNS1_3genE10ELNS1_11target_archE1200ELNS1_3gpuE4ELNS1_3repE0EEENS1_30default_config_static_selectorELNS0_4arch9wavefront6targetE0EEEvSP_
		.amdhsa_group_segment_fixed_size 0
		.amdhsa_private_segment_fixed_size 0
		.amdhsa_kernarg_size 56
		.amdhsa_user_sgpr_count 15
		.amdhsa_user_sgpr_dispatch_ptr 0
		.amdhsa_user_sgpr_queue_ptr 0
		.amdhsa_user_sgpr_kernarg_segment_ptr 1
		.amdhsa_user_sgpr_dispatch_id 0
		.amdhsa_user_sgpr_private_segment_size 0
		.amdhsa_wavefront_size32 1
		.amdhsa_uses_dynamic_stack 0
		.amdhsa_enable_private_segment 0
		.amdhsa_system_sgpr_workgroup_id_x 1
		.amdhsa_system_sgpr_workgroup_id_y 0
		.amdhsa_system_sgpr_workgroup_id_z 0
		.amdhsa_system_sgpr_workgroup_info 0
		.amdhsa_system_vgpr_workitem_id 0
		.amdhsa_next_free_vgpr 1
		.amdhsa_next_free_sgpr 1
		.amdhsa_reserve_vcc 0
		.amdhsa_float_round_mode_32 0
		.amdhsa_float_round_mode_16_64 0
		.amdhsa_float_denorm_mode_32 3
		.amdhsa_float_denorm_mode_16_64 3
		.amdhsa_dx10_clamp 1
		.amdhsa_ieee_mode 1
		.amdhsa_fp16_overflow 0
		.amdhsa_workgroup_processor_mode 1
		.amdhsa_memory_ordered 1
		.amdhsa_forward_progress 0
		.amdhsa_shared_vgpr_count 0
		.amdhsa_exception_fp_ieee_invalid_op 0
		.amdhsa_exception_fp_denorm_src 0
		.amdhsa_exception_fp_ieee_div_zero 0
		.amdhsa_exception_fp_ieee_overflow 0
		.amdhsa_exception_fp_ieee_underflow 0
		.amdhsa_exception_fp_ieee_inexact 0
		.amdhsa_exception_int_div_zero 0
	.end_amdhsa_kernel
	.section	.text._ZN7rocprim17ROCPRIM_400000_NS6detail17trampoline_kernelINS0_14default_configENS1_27upper_bound_config_selectorIxiEEZNS1_14transform_implILb0ES3_S5_N6thrust23THRUST_200600_302600_NS6detail15normal_iteratorINS8_10device_ptrIxEEEENSA_INSB_IiEEEEZNS1_13binary_searchIS3_S5_SD_SD_SF_NS1_21upper_bound_search_opENS9_16wrapped_functionINS0_4lessIvEEbEEEE10hipError_tPvRmT1_T2_T3_mmT4_T5_P12ihipStream_tbEUlRKxE_EESM_SQ_SR_mSS_SV_bEUlT_E_NS1_11comp_targetILNS1_3genE10ELNS1_11target_archE1200ELNS1_3gpuE4ELNS1_3repE0EEENS1_30default_config_static_selectorELNS0_4arch9wavefront6targetE0EEEvSP_,"axG",@progbits,_ZN7rocprim17ROCPRIM_400000_NS6detail17trampoline_kernelINS0_14default_configENS1_27upper_bound_config_selectorIxiEEZNS1_14transform_implILb0ES3_S5_N6thrust23THRUST_200600_302600_NS6detail15normal_iteratorINS8_10device_ptrIxEEEENSA_INSB_IiEEEEZNS1_13binary_searchIS3_S5_SD_SD_SF_NS1_21upper_bound_search_opENS9_16wrapped_functionINS0_4lessIvEEbEEEE10hipError_tPvRmT1_T2_T3_mmT4_T5_P12ihipStream_tbEUlRKxE_EESM_SQ_SR_mSS_SV_bEUlT_E_NS1_11comp_targetILNS1_3genE10ELNS1_11target_archE1200ELNS1_3gpuE4ELNS1_3repE0EEENS1_30default_config_static_selectorELNS0_4arch9wavefront6targetE0EEEvSP_,comdat
.Lfunc_end381:
	.size	_ZN7rocprim17ROCPRIM_400000_NS6detail17trampoline_kernelINS0_14default_configENS1_27upper_bound_config_selectorIxiEEZNS1_14transform_implILb0ES3_S5_N6thrust23THRUST_200600_302600_NS6detail15normal_iteratorINS8_10device_ptrIxEEEENSA_INSB_IiEEEEZNS1_13binary_searchIS3_S5_SD_SD_SF_NS1_21upper_bound_search_opENS9_16wrapped_functionINS0_4lessIvEEbEEEE10hipError_tPvRmT1_T2_T3_mmT4_T5_P12ihipStream_tbEUlRKxE_EESM_SQ_SR_mSS_SV_bEUlT_E_NS1_11comp_targetILNS1_3genE10ELNS1_11target_archE1200ELNS1_3gpuE4ELNS1_3repE0EEENS1_30default_config_static_selectorELNS0_4arch9wavefront6targetE0EEEvSP_, .Lfunc_end381-_ZN7rocprim17ROCPRIM_400000_NS6detail17trampoline_kernelINS0_14default_configENS1_27upper_bound_config_selectorIxiEEZNS1_14transform_implILb0ES3_S5_N6thrust23THRUST_200600_302600_NS6detail15normal_iteratorINS8_10device_ptrIxEEEENSA_INSB_IiEEEEZNS1_13binary_searchIS3_S5_SD_SD_SF_NS1_21upper_bound_search_opENS9_16wrapped_functionINS0_4lessIvEEbEEEE10hipError_tPvRmT1_T2_T3_mmT4_T5_P12ihipStream_tbEUlRKxE_EESM_SQ_SR_mSS_SV_bEUlT_E_NS1_11comp_targetILNS1_3genE10ELNS1_11target_archE1200ELNS1_3gpuE4ELNS1_3repE0EEENS1_30default_config_static_selectorELNS0_4arch9wavefront6targetE0EEEvSP_
                                        ; -- End function
	.section	.AMDGPU.csdata,"",@progbits
; Kernel info:
; codeLenInByte = 0
; NumSgprs: 0
; NumVgprs: 0
; ScratchSize: 0
; MemoryBound: 0
; FloatMode: 240
; IeeeMode: 1
; LDSByteSize: 0 bytes/workgroup (compile time only)
; SGPRBlocks: 0
; VGPRBlocks: 0
; NumSGPRsForWavesPerEU: 1
; NumVGPRsForWavesPerEU: 1
; Occupancy: 16
; WaveLimiterHint : 0
; COMPUTE_PGM_RSRC2:SCRATCH_EN: 0
; COMPUTE_PGM_RSRC2:USER_SGPR: 15
; COMPUTE_PGM_RSRC2:TRAP_HANDLER: 0
; COMPUTE_PGM_RSRC2:TGID_X_EN: 1
; COMPUTE_PGM_RSRC2:TGID_Y_EN: 0
; COMPUTE_PGM_RSRC2:TGID_Z_EN: 0
; COMPUTE_PGM_RSRC2:TIDIG_COMP_CNT: 0
	.section	.text._ZN7rocprim17ROCPRIM_400000_NS6detail17trampoline_kernelINS0_14default_configENS1_27upper_bound_config_selectorIxiEEZNS1_14transform_implILb0ES3_S5_N6thrust23THRUST_200600_302600_NS6detail15normal_iteratorINS8_10device_ptrIxEEEENSA_INSB_IiEEEEZNS1_13binary_searchIS3_S5_SD_SD_SF_NS1_21upper_bound_search_opENS9_16wrapped_functionINS0_4lessIvEEbEEEE10hipError_tPvRmT1_T2_T3_mmT4_T5_P12ihipStream_tbEUlRKxE_EESM_SQ_SR_mSS_SV_bEUlT_E_NS1_11comp_targetILNS1_3genE9ELNS1_11target_archE1100ELNS1_3gpuE3ELNS1_3repE0EEENS1_30default_config_static_selectorELNS0_4arch9wavefront6targetE0EEEvSP_,"axG",@progbits,_ZN7rocprim17ROCPRIM_400000_NS6detail17trampoline_kernelINS0_14default_configENS1_27upper_bound_config_selectorIxiEEZNS1_14transform_implILb0ES3_S5_N6thrust23THRUST_200600_302600_NS6detail15normal_iteratorINS8_10device_ptrIxEEEENSA_INSB_IiEEEEZNS1_13binary_searchIS3_S5_SD_SD_SF_NS1_21upper_bound_search_opENS9_16wrapped_functionINS0_4lessIvEEbEEEE10hipError_tPvRmT1_T2_T3_mmT4_T5_P12ihipStream_tbEUlRKxE_EESM_SQ_SR_mSS_SV_bEUlT_E_NS1_11comp_targetILNS1_3genE9ELNS1_11target_archE1100ELNS1_3gpuE3ELNS1_3repE0EEENS1_30default_config_static_selectorELNS0_4arch9wavefront6targetE0EEEvSP_,comdat
	.protected	_ZN7rocprim17ROCPRIM_400000_NS6detail17trampoline_kernelINS0_14default_configENS1_27upper_bound_config_selectorIxiEEZNS1_14transform_implILb0ES3_S5_N6thrust23THRUST_200600_302600_NS6detail15normal_iteratorINS8_10device_ptrIxEEEENSA_INSB_IiEEEEZNS1_13binary_searchIS3_S5_SD_SD_SF_NS1_21upper_bound_search_opENS9_16wrapped_functionINS0_4lessIvEEbEEEE10hipError_tPvRmT1_T2_T3_mmT4_T5_P12ihipStream_tbEUlRKxE_EESM_SQ_SR_mSS_SV_bEUlT_E_NS1_11comp_targetILNS1_3genE9ELNS1_11target_archE1100ELNS1_3gpuE3ELNS1_3repE0EEENS1_30default_config_static_selectorELNS0_4arch9wavefront6targetE0EEEvSP_ ; -- Begin function _ZN7rocprim17ROCPRIM_400000_NS6detail17trampoline_kernelINS0_14default_configENS1_27upper_bound_config_selectorIxiEEZNS1_14transform_implILb0ES3_S5_N6thrust23THRUST_200600_302600_NS6detail15normal_iteratorINS8_10device_ptrIxEEEENSA_INSB_IiEEEEZNS1_13binary_searchIS3_S5_SD_SD_SF_NS1_21upper_bound_search_opENS9_16wrapped_functionINS0_4lessIvEEbEEEE10hipError_tPvRmT1_T2_T3_mmT4_T5_P12ihipStream_tbEUlRKxE_EESM_SQ_SR_mSS_SV_bEUlT_E_NS1_11comp_targetILNS1_3genE9ELNS1_11target_archE1100ELNS1_3gpuE3ELNS1_3repE0EEENS1_30default_config_static_selectorELNS0_4arch9wavefront6targetE0EEEvSP_
	.globl	_ZN7rocprim17ROCPRIM_400000_NS6detail17trampoline_kernelINS0_14default_configENS1_27upper_bound_config_selectorIxiEEZNS1_14transform_implILb0ES3_S5_N6thrust23THRUST_200600_302600_NS6detail15normal_iteratorINS8_10device_ptrIxEEEENSA_INSB_IiEEEEZNS1_13binary_searchIS3_S5_SD_SD_SF_NS1_21upper_bound_search_opENS9_16wrapped_functionINS0_4lessIvEEbEEEE10hipError_tPvRmT1_T2_T3_mmT4_T5_P12ihipStream_tbEUlRKxE_EESM_SQ_SR_mSS_SV_bEUlT_E_NS1_11comp_targetILNS1_3genE9ELNS1_11target_archE1100ELNS1_3gpuE3ELNS1_3repE0EEENS1_30default_config_static_selectorELNS0_4arch9wavefront6targetE0EEEvSP_
	.p2align	8
	.type	_ZN7rocprim17ROCPRIM_400000_NS6detail17trampoline_kernelINS0_14default_configENS1_27upper_bound_config_selectorIxiEEZNS1_14transform_implILb0ES3_S5_N6thrust23THRUST_200600_302600_NS6detail15normal_iteratorINS8_10device_ptrIxEEEENSA_INSB_IiEEEEZNS1_13binary_searchIS3_S5_SD_SD_SF_NS1_21upper_bound_search_opENS9_16wrapped_functionINS0_4lessIvEEbEEEE10hipError_tPvRmT1_T2_T3_mmT4_T5_P12ihipStream_tbEUlRKxE_EESM_SQ_SR_mSS_SV_bEUlT_E_NS1_11comp_targetILNS1_3genE9ELNS1_11target_archE1100ELNS1_3gpuE3ELNS1_3repE0EEENS1_30default_config_static_selectorELNS0_4arch9wavefront6targetE0EEEvSP_,@function
_ZN7rocprim17ROCPRIM_400000_NS6detail17trampoline_kernelINS0_14default_configENS1_27upper_bound_config_selectorIxiEEZNS1_14transform_implILb0ES3_S5_N6thrust23THRUST_200600_302600_NS6detail15normal_iteratorINS8_10device_ptrIxEEEENSA_INSB_IiEEEEZNS1_13binary_searchIS3_S5_SD_SD_SF_NS1_21upper_bound_search_opENS9_16wrapped_functionINS0_4lessIvEEbEEEE10hipError_tPvRmT1_T2_T3_mmT4_T5_P12ihipStream_tbEUlRKxE_EESM_SQ_SR_mSS_SV_bEUlT_E_NS1_11comp_targetILNS1_3genE9ELNS1_11target_archE1100ELNS1_3gpuE3ELNS1_3repE0EEENS1_30default_config_static_selectorELNS0_4arch9wavefront6targetE0EEEvSP_: ; @_ZN7rocprim17ROCPRIM_400000_NS6detail17trampoline_kernelINS0_14default_configENS1_27upper_bound_config_selectorIxiEEZNS1_14transform_implILb0ES3_S5_N6thrust23THRUST_200600_302600_NS6detail15normal_iteratorINS8_10device_ptrIxEEEENSA_INSB_IiEEEEZNS1_13binary_searchIS3_S5_SD_SD_SF_NS1_21upper_bound_search_opENS9_16wrapped_functionINS0_4lessIvEEbEEEE10hipError_tPvRmT1_T2_T3_mmT4_T5_P12ihipStream_tbEUlRKxE_EESM_SQ_SR_mSS_SV_bEUlT_E_NS1_11comp_targetILNS1_3genE9ELNS1_11target_archE1100ELNS1_3gpuE3ELNS1_3repE0EEENS1_30default_config_static_selectorELNS0_4arch9wavefront6targetE0EEEvSP_
; %bb.0:
	s_clause 0x2
	s_load_b256 s[4:11], s[0:1], 0x0
	s_load_b32 s2, s[0:1], 0x38
	s_load_b128 s[16:19], s[0:1], 0x20
	s_mov_b32 s21, 0
	s_waitcnt lgkmcnt(0)
	s_lshl_b64 s[0:1], s[6:7], 3
	s_delay_alu instid0(SALU_CYCLE_1) | instskip(SKIP_2) | instid1(SALU_CYCLE_1)
	s_add_u32 s3, s4, s0
	s_addc_u32 s4, s5, s1
	s_lshl_b64 s[0:1], s[6:7], 2
	s_add_u32 s22, s10, s0
	s_addc_u32 s23, s11, s1
	s_lshl_b32 s20, s15, 10
	s_add_i32 s2, s2, -1
	s_lshl_b64 s[0:1], s[20:21], 3
	s_delay_alu instid0(SALU_CYCLE_1)
	s_add_u32 s25, s3, s0
	s_addc_u32 s26, s4, s1
	s_cmp_lg_u32 s15, s2
	s_mov_b32 s0, -1
	s_cbranch_scc0 .LBB382_58
; %bb.1:
	v_lshlrev_b32_e32 v1, 3, v0
	s_cmp_lg_u64 s[18:19], 0
	s_mov_b32 s2, 0
	s_cselect_b32 s1, -1, 0
	s_cmp_eq_u64 s[18:19], 0
	v_add_co_u32 v5, s0, s25, v1
	s_delay_alu instid0(VALU_DEP_1) | instskip(NEXT) | instid1(VALU_DEP_2)
	v_add_co_ci_u32_e64 v6, null, s26, 0, s0
	v_add_co_u32 v1, vcc_lo, 0x1000, v5
	s_delay_alu instid0(VALU_DEP_2)
	v_add_co_ci_u32_e32 v2, vcc_lo, 0, v6, vcc_lo
	s_clause 0xe
	flat_load_b64 v[9:10], v[5:6] offset:512
	flat_load_b64 v[13:14], v[5:6] offset:1024
	;; [unrolled: 1-line block ×7, first 2 shown]
	flat_load_b64 v[31:32], v[1:2]
	flat_load_b64 v[27:28], v[1:2] offset:512
	flat_load_b64 v[23:24], v[1:2] offset:1024
	;; [unrolled: 1-line block ×7, first 2 shown]
	v_mov_b32_e32 v1, 0
	v_mov_b32_e32 v2, 0
	s_cbranch_scc1 .LBB382_5
; %bb.2:
	flat_load_b64 v[5:6], v[5:6]
	v_dual_mov_b32 v1, 0 :: v_dual_mov_b32 v36, s19
	v_dual_mov_b32 v2, 0 :: v_dual_mov_b32 v35, s18
	s_set_inst_prefetch_distance 0x1
	.p2align	6
.LBB382_3:                              ; =>This Inner Loop Header: Depth=1
	s_delay_alu instid0(VALU_DEP_1) | instskip(NEXT) | instid1(VALU_DEP_2)
	v_sub_co_u32 v37, vcc_lo, v35, v1
	v_sub_co_ci_u32_e32 v38, vcc_lo, v36, v2, vcc_lo
	s_delay_alu instid0(VALU_DEP_1) | instskip(SKIP_1) | instid1(VALU_DEP_2)
	v_lshrrev_b64 v[39:40], 1, v[37:38]
	v_lshrrev_b64 v[37:38], 6, v[37:38]
	v_add_co_u32 v39, vcc_lo, v39, v1
	s_delay_alu instid0(VALU_DEP_3) | instskip(NEXT) | instid1(VALU_DEP_2)
	v_add_co_ci_u32_e32 v40, vcc_lo, v40, v2, vcc_lo
	v_add_co_u32 v37, vcc_lo, v39, v37
	s_delay_alu instid0(VALU_DEP_2) | instskip(NEXT) | instid1(VALU_DEP_1)
	v_add_co_ci_u32_e32 v38, vcc_lo, v40, v38, vcc_lo
	v_lshlrev_b64 v[39:40], 3, v[37:38]
	s_delay_alu instid0(VALU_DEP_1) | instskip(NEXT) | instid1(VALU_DEP_2)
	v_add_co_u32 v39, vcc_lo, s16, v39
	v_add_co_ci_u32_e32 v40, vcc_lo, s17, v40, vcc_lo
	v_add_co_u32 v41, vcc_lo, v37, 1
	global_load_b64 v[39:40], v[39:40], off
	s_waitcnt vmcnt(0) lgkmcnt(0)
	v_cmp_gt_i64_e64 s0, v[39:40], v[5:6]
	v_add_co_ci_u32_e32 v39, vcc_lo, 0, v38, vcc_lo
	s_delay_alu instid0(VALU_DEP_2) | instskip(SKIP_1) | instid1(VALU_DEP_3)
	v_cndmask_b32_e64 v36, v36, v38, s0
	v_cndmask_b32_e64 v35, v35, v37, s0
	;; [unrolled: 1-line block ×4, first 2 shown]
	s_delay_alu instid0(VALU_DEP_1) | instskip(SKIP_1) | instid1(SALU_CYCLE_1)
	v_cmp_ge_u64_e32 vcc_lo, v[1:2], v[35:36]
	s_or_b32 s2, vcc_lo, s2
	s_and_not1_b32 exec_lo, exec_lo, s2
	s_cbranch_execnz .LBB382_3
; %bb.4:
	s_set_inst_prefetch_distance 0x2
	s_or_b32 exec_lo, exec_lo, s2
.LBB382_5:
	v_mov_b32_e32 v5, 0
	v_cndmask_b32_e64 v2, 0, 1, s1
	v_mov_b32_e32 v6, 0
	s_and_not1_b32 vcc_lo, exec_lo, s1
	s_cbranch_vccnz .LBB382_9
; %bb.6:
	v_dual_mov_b32 v36, s19 :: v_dual_mov_b32 v35, s18
	s_mov_b32 s1, 0
	s_set_inst_prefetch_distance 0x1
	.p2align	6
.LBB382_7:                              ; =>This Inner Loop Header: Depth=1
	s_delay_alu instid0(VALU_DEP_1) | instskip(NEXT) | instid1(VALU_DEP_2)
	v_sub_co_u32 v37, vcc_lo, v35, v5
	v_sub_co_ci_u32_e32 v38, vcc_lo, v36, v6, vcc_lo
	s_delay_alu instid0(VALU_DEP_1) | instskip(SKIP_1) | instid1(VALU_DEP_2)
	v_lshrrev_b64 v[39:40], 1, v[37:38]
	v_lshrrev_b64 v[37:38], 6, v[37:38]
	v_add_co_u32 v39, vcc_lo, v39, v5
	s_delay_alu instid0(VALU_DEP_3) | instskip(NEXT) | instid1(VALU_DEP_2)
	v_add_co_ci_u32_e32 v40, vcc_lo, v40, v6, vcc_lo
	v_add_co_u32 v37, vcc_lo, v39, v37
	s_delay_alu instid0(VALU_DEP_2) | instskip(NEXT) | instid1(VALU_DEP_1)
	v_add_co_ci_u32_e32 v38, vcc_lo, v40, v38, vcc_lo
	v_lshlrev_b64 v[39:40], 3, v[37:38]
	s_delay_alu instid0(VALU_DEP_1) | instskip(NEXT) | instid1(VALU_DEP_2)
	v_add_co_u32 v39, vcc_lo, s16, v39
	v_add_co_ci_u32_e32 v40, vcc_lo, s17, v40, vcc_lo
	v_add_co_u32 v41, vcc_lo, v37, 1
	global_load_b64 v[39:40], v[39:40], off
	s_waitcnt vmcnt(0) lgkmcnt(14)
	v_cmp_gt_i64_e64 s0, v[39:40], v[9:10]
	v_add_co_ci_u32_e32 v39, vcc_lo, 0, v38, vcc_lo
	s_delay_alu instid0(VALU_DEP_2) | instskip(SKIP_1) | instid1(VALU_DEP_3)
	v_cndmask_b32_e64 v36, v36, v38, s0
	v_cndmask_b32_e64 v35, v35, v37, s0
	;; [unrolled: 1-line block ×4, first 2 shown]
	s_delay_alu instid0(VALU_DEP_1) | instskip(SKIP_1) | instid1(SALU_CYCLE_1)
	v_cmp_ge_u64_e32 vcc_lo, v[5:6], v[35:36]
	s_or_b32 s1, vcc_lo, s1
	s_and_not1_b32 exec_lo, exec_lo, s1
	s_cbranch_execnz .LBB382_7
; %bb.8:
	s_set_inst_prefetch_distance 0x2
	s_or_b32 exec_lo, exec_lo, s1
.LBB382_9:
	s_delay_alu instid0(VALU_DEP_2)
	v_cmp_ne_u32_e32 vcc_lo, 1, v2
	s_waitcnt vmcnt(14) lgkmcnt(14)
	v_mov_b32_e32 v9, 0
	v_mov_b32_e32 v10, 0
	s_cbranch_vccnz .LBB382_13
; %bb.10:
	v_dual_mov_b32 v36, s19 :: v_dual_mov_b32 v35, s18
	s_mov_b32 s1, 0
	s_set_inst_prefetch_distance 0x1
	.p2align	6
.LBB382_11:                             ; =>This Inner Loop Header: Depth=1
	s_delay_alu instid0(VALU_DEP_1) | instskip(NEXT) | instid1(VALU_DEP_2)
	v_sub_co_u32 v37, vcc_lo, v35, v9
	v_sub_co_ci_u32_e32 v38, vcc_lo, v36, v10, vcc_lo
	s_delay_alu instid0(VALU_DEP_1) | instskip(SKIP_1) | instid1(VALU_DEP_2)
	v_lshrrev_b64 v[39:40], 1, v[37:38]
	v_lshrrev_b64 v[37:38], 6, v[37:38]
	v_add_co_u32 v6, vcc_lo, v39, v9
	s_delay_alu instid0(VALU_DEP_3) | instskip(NEXT) | instid1(VALU_DEP_2)
	v_add_co_ci_u32_e32 v39, vcc_lo, v40, v10, vcc_lo
	v_add_co_u32 v37, vcc_lo, v6, v37
	s_delay_alu instid0(VALU_DEP_2) | instskip(NEXT) | instid1(VALU_DEP_1)
	v_add_co_ci_u32_e32 v38, vcc_lo, v39, v38, vcc_lo
	v_lshlrev_b64 v[39:40], 3, v[37:38]
	s_delay_alu instid0(VALU_DEP_1) | instskip(NEXT) | instid1(VALU_DEP_2)
	v_add_co_u32 v39, vcc_lo, s16, v39
	v_add_co_ci_u32_e32 v40, vcc_lo, s17, v40, vcc_lo
	v_add_co_u32 v6, vcc_lo, v37, 1
	global_load_b64 v[39:40], v[39:40], off
	s_waitcnt vmcnt(0) lgkmcnt(13)
	v_cmp_gt_i64_e64 s0, v[39:40], v[13:14]
	v_add_co_ci_u32_e32 v39, vcc_lo, 0, v38, vcc_lo
	s_delay_alu instid0(VALU_DEP_2) | instskip(SKIP_1) | instid1(VALU_DEP_3)
	v_cndmask_b32_e64 v36, v36, v38, s0
	v_cndmask_b32_e64 v35, v35, v37, s0
	;; [unrolled: 1-line block ×4, first 2 shown]
	s_delay_alu instid0(VALU_DEP_1) | instskip(SKIP_1) | instid1(SALU_CYCLE_1)
	v_cmp_ge_u64_e32 vcc_lo, v[9:10], v[35:36]
	s_or_b32 s1, vcc_lo, s1
	s_and_not1_b32 exec_lo, exec_lo, s1
	s_cbranch_execnz .LBB382_11
; %bb.12:
	s_set_inst_prefetch_distance 0x2
	s_or_b32 exec_lo, exec_lo, s1
.LBB382_13:
	v_cmp_ne_u32_e32 vcc_lo, 1, v2
	s_waitcnt vmcnt(13) lgkmcnt(13)
	v_mov_b32_e32 v13, 0
	v_mov_b32_e32 v14, 0
	s_cbranch_vccnz .LBB382_17
; %bb.14:
	v_dual_mov_b32 v36, s19 :: v_dual_mov_b32 v35, s18
	s_mov_b32 s1, 0
	s_set_inst_prefetch_distance 0x1
	.p2align	6
.LBB382_15:                             ; =>This Inner Loop Header: Depth=1
	s_delay_alu instid0(VALU_DEP_1) | instskip(NEXT) | instid1(VALU_DEP_2)
	v_sub_co_u32 v37, vcc_lo, v35, v13
	v_sub_co_ci_u32_e32 v38, vcc_lo, v36, v14, vcc_lo
	s_delay_alu instid0(VALU_DEP_1) | instskip(SKIP_1) | instid1(VALU_DEP_2)
	v_lshrrev_b64 v[39:40], 1, v[37:38]
	v_lshrrev_b64 v[37:38], 6, v[37:38]
	v_add_co_u32 v6, vcc_lo, v39, v13
	s_delay_alu instid0(VALU_DEP_3) | instskip(NEXT) | instid1(VALU_DEP_2)
	v_add_co_ci_u32_e32 v10, vcc_lo, v40, v14, vcc_lo
	v_add_co_u32 v37, vcc_lo, v6, v37
	s_delay_alu instid0(VALU_DEP_2) | instskip(NEXT) | instid1(VALU_DEP_1)
	v_add_co_ci_u32_e32 v38, vcc_lo, v10, v38, vcc_lo
	v_lshlrev_b64 v[39:40], 3, v[37:38]
	s_delay_alu instid0(VALU_DEP_1) | instskip(NEXT) | instid1(VALU_DEP_2)
	v_add_co_u32 v39, vcc_lo, s16, v39
	v_add_co_ci_u32_e32 v40, vcc_lo, s17, v40, vcc_lo
	v_add_co_u32 v6, vcc_lo, v37, 1
	v_add_co_ci_u32_e32 v10, vcc_lo, 0, v38, vcc_lo
	global_load_b64 v[39:40], v[39:40], off
	s_waitcnt vmcnt(0) lgkmcnt(12)
	v_cmp_gt_i64_e64 s0, v[39:40], v[17:18]
	s_delay_alu instid0(VALU_DEP_1) | instskip(SKIP_3) | instid1(VALU_DEP_1)
	v_cndmask_b32_e64 v36, v36, v38, s0
	v_cndmask_b32_e64 v35, v35, v37, s0
	;; [unrolled: 1-line block ×4, first 2 shown]
	v_cmp_ge_u64_e32 vcc_lo, v[13:14], v[35:36]
	s_or_b32 s1, vcc_lo, s1
	s_delay_alu instid0(SALU_CYCLE_1)
	s_and_not1_b32 exec_lo, exec_lo, s1
	s_cbranch_execnz .LBB382_15
; %bb.16:
	s_set_inst_prefetch_distance 0x2
	s_or_b32 exec_lo, exec_lo, s1
.LBB382_17:
	v_cmp_ne_u32_e32 vcc_lo, 1, v2
	s_waitcnt vmcnt(12) lgkmcnt(12)
	v_mov_b32_e32 v17, 0
	v_mov_b32_e32 v18, 0
	s_cbranch_vccnz .LBB382_21
; %bb.18:
	v_dual_mov_b32 v36, s19 :: v_dual_mov_b32 v35, s18
	s_mov_b32 s1, 0
	s_set_inst_prefetch_distance 0x1
	.p2align	6
.LBB382_19:                             ; =>This Inner Loop Header: Depth=1
	s_delay_alu instid0(VALU_DEP_1) | instskip(NEXT) | instid1(VALU_DEP_2)
	v_sub_co_u32 v37, vcc_lo, v35, v17
	v_sub_co_ci_u32_e32 v38, vcc_lo, v36, v18, vcc_lo
	s_delay_alu instid0(VALU_DEP_1) | instskip(SKIP_1) | instid1(VALU_DEP_2)
	v_lshrrev_b64 v[39:40], 1, v[37:38]
	v_lshrrev_b64 v[37:38], 6, v[37:38]
	v_add_co_u32 v6, vcc_lo, v39, v17
	s_delay_alu instid0(VALU_DEP_3) | instskip(NEXT) | instid1(VALU_DEP_2)
	v_add_co_ci_u32_e32 v10, vcc_lo, v40, v18, vcc_lo
	v_add_co_u32 v37, vcc_lo, v6, v37
	s_delay_alu instid0(VALU_DEP_2) | instskip(NEXT) | instid1(VALU_DEP_1)
	v_add_co_ci_u32_e32 v38, vcc_lo, v10, v38, vcc_lo
	v_lshlrev_b64 v[39:40], 3, v[37:38]
	s_delay_alu instid0(VALU_DEP_1) | instskip(NEXT) | instid1(VALU_DEP_2)
	v_add_co_u32 v39, vcc_lo, s16, v39
	v_add_co_ci_u32_e32 v40, vcc_lo, s17, v40, vcc_lo
	v_add_co_u32 v6, vcc_lo, v37, 1
	v_add_co_ci_u32_e32 v10, vcc_lo, 0, v38, vcc_lo
	global_load_b64 v[39:40], v[39:40], off
	s_waitcnt vmcnt(0) lgkmcnt(11)
	v_cmp_gt_i64_e64 s0, v[39:40], v[21:22]
	s_delay_alu instid0(VALU_DEP_1) | instskip(SKIP_3) | instid1(VALU_DEP_1)
	v_cndmask_b32_e64 v36, v36, v38, s0
	v_cndmask_b32_e64 v35, v35, v37, s0
	;; [unrolled: 1-line block ×4, first 2 shown]
	v_cmp_ge_u64_e32 vcc_lo, v[17:18], v[35:36]
	s_or_b32 s1, vcc_lo, s1
	s_delay_alu instid0(SALU_CYCLE_1)
	s_and_not1_b32 exec_lo, exec_lo, s1
	s_cbranch_execnz .LBB382_19
; %bb.20:
	s_set_inst_prefetch_distance 0x2
	s_or_b32 exec_lo, exec_lo, s1
.LBB382_21:
	v_cmp_ne_u32_e32 vcc_lo, 1, v2
	s_waitcnt vmcnt(11) lgkmcnt(11)
	v_mov_b32_e32 v21, 0
	v_mov_b32_e32 v22, 0
	s_cbranch_vccnz .LBB382_25
; %bb.22:
	v_dual_mov_b32 v36, s19 :: v_dual_mov_b32 v35, s18
	s_mov_b32 s1, 0
	s_set_inst_prefetch_distance 0x1
	.p2align	6
.LBB382_23:                             ; =>This Inner Loop Header: Depth=1
	s_delay_alu instid0(VALU_DEP_1) | instskip(NEXT) | instid1(VALU_DEP_2)
	v_sub_co_u32 v37, vcc_lo, v35, v21
	v_sub_co_ci_u32_e32 v38, vcc_lo, v36, v22, vcc_lo
	s_delay_alu instid0(VALU_DEP_1) | instskip(SKIP_1) | instid1(VALU_DEP_2)
	v_lshrrev_b64 v[39:40], 1, v[37:38]
	v_lshrrev_b64 v[37:38], 6, v[37:38]
	v_add_co_u32 v6, vcc_lo, v39, v21
	s_delay_alu instid0(VALU_DEP_3) | instskip(NEXT) | instid1(VALU_DEP_2)
	v_add_co_ci_u32_e32 v10, vcc_lo, v40, v22, vcc_lo
	v_add_co_u32 v37, vcc_lo, v6, v37
	s_delay_alu instid0(VALU_DEP_2) | instskip(NEXT) | instid1(VALU_DEP_1)
	v_add_co_ci_u32_e32 v38, vcc_lo, v10, v38, vcc_lo
	v_lshlrev_b64 v[39:40], 3, v[37:38]
	s_delay_alu instid0(VALU_DEP_1) | instskip(NEXT) | instid1(VALU_DEP_2)
	v_add_co_u32 v39, vcc_lo, s16, v39
	v_add_co_ci_u32_e32 v40, vcc_lo, s17, v40, vcc_lo
	v_add_co_u32 v6, vcc_lo, v37, 1
	v_add_co_ci_u32_e32 v10, vcc_lo, 0, v38, vcc_lo
	global_load_b64 v[39:40], v[39:40], off
	s_waitcnt vmcnt(0) lgkmcnt(10)
	v_cmp_gt_i64_e64 s0, v[39:40], v[25:26]
	s_delay_alu instid0(VALU_DEP_1) | instskip(SKIP_3) | instid1(VALU_DEP_1)
	v_cndmask_b32_e64 v36, v36, v38, s0
	v_cndmask_b32_e64 v35, v35, v37, s0
	;; [unrolled: 1-line block ×4, first 2 shown]
	v_cmp_ge_u64_e32 vcc_lo, v[21:22], v[35:36]
	s_or_b32 s1, vcc_lo, s1
	s_delay_alu instid0(SALU_CYCLE_1)
	s_and_not1_b32 exec_lo, exec_lo, s1
	s_cbranch_execnz .LBB382_23
; %bb.24:
	s_set_inst_prefetch_distance 0x2
	s_or_b32 exec_lo, exec_lo, s1
.LBB382_25:
	v_cmp_ne_u32_e32 vcc_lo, 1, v2
	s_waitcnt vmcnt(10) lgkmcnt(10)
	v_mov_b32_e32 v25, 0
	v_mov_b32_e32 v26, 0
	s_cbranch_vccnz .LBB382_29
; %bb.26:
	v_dual_mov_b32 v36, s19 :: v_dual_mov_b32 v35, s18
	s_mov_b32 s1, 0
	s_set_inst_prefetch_distance 0x1
	.p2align	6
.LBB382_27:                             ; =>This Inner Loop Header: Depth=1
	s_delay_alu instid0(VALU_DEP_1) | instskip(NEXT) | instid1(VALU_DEP_2)
	v_sub_co_u32 v37, vcc_lo, v35, v25
	v_sub_co_ci_u32_e32 v38, vcc_lo, v36, v26, vcc_lo
	s_delay_alu instid0(VALU_DEP_1) | instskip(SKIP_1) | instid1(VALU_DEP_2)
	v_lshrrev_b64 v[39:40], 1, v[37:38]
	v_lshrrev_b64 v[37:38], 6, v[37:38]
	v_add_co_u32 v6, vcc_lo, v39, v25
	s_delay_alu instid0(VALU_DEP_3) | instskip(NEXT) | instid1(VALU_DEP_2)
	v_add_co_ci_u32_e32 v10, vcc_lo, v40, v26, vcc_lo
	v_add_co_u32 v37, vcc_lo, v6, v37
	s_delay_alu instid0(VALU_DEP_2) | instskip(NEXT) | instid1(VALU_DEP_1)
	v_add_co_ci_u32_e32 v38, vcc_lo, v10, v38, vcc_lo
	v_lshlrev_b64 v[39:40], 3, v[37:38]
	s_delay_alu instid0(VALU_DEP_1) | instskip(NEXT) | instid1(VALU_DEP_2)
	v_add_co_u32 v39, vcc_lo, s16, v39
	v_add_co_ci_u32_e32 v40, vcc_lo, s17, v40, vcc_lo
	v_add_co_u32 v6, vcc_lo, v37, 1
	v_add_co_ci_u32_e32 v10, vcc_lo, 0, v38, vcc_lo
	global_load_b64 v[39:40], v[39:40], off
	s_waitcnt vmcnt(0) lgkmcnt(9)
	v_cmp_gt_i64_e64 s0, v[39:40], v[29:30]
	s_delay_alu instid0(VALU_DEP_1) | instskip(SKIP_3) | instid1(VALU_DEP_1)
	v_cndmask_b32_e64 v36, v36, v38, s0
	v_cndmask_b32_e64 v35, v35, v37, s0
	;; [unrolled: 1-line block ×4, first 2 shown]
	v_cmp_ge_u64_e32 vcc_lo, v[25:26], v[35:36]
	s_or_b32 s1, vcc_lo, s1
	s_delay_alu instid0(SALU_CYCLE_1)
	s_and_not1_b32 exec_lo, exec_lo, s1
	s_cbranch_execnz .LBB382_27
; %bb.28:
	s_set_inst_prefetch_distance 0x2
	s_or_b32 exec_lo, exec_lo, s1
.LBB382_29:
	v_cmp_ne_u32_e32 vcc_lo, 1, v2
	s_waitcnt vmcnt(9) lgkmcnt(9)
	v_mov_b32_e32 v29, 0
	v_mov_b32_e32 v30, 0
	s_cbranch_vccnz .LBB382_33
; %bb.30:
	v_dual_mov_b32 v36, s19 :: v_dual_mov_b32 v35, s18
	s_mov_b32 s1, 0
	s_set_inst_prefetch_distance 0x1
	.p2align	6
.LBB382_31:                             ; =>This Inner Loop Header: Depth=1
	s_delay_alu instid0(VALU_DEP_1) | instskip(NEXT) | instid1(VALU_DEP_2)
	v_sub_co_u32 v37, vcc_lo, v35, v29
	v_sub_co_ci_u32_e32 v38, vcc_lo, v36, v30, vcc_lo
	s_delay_alu instid0(VALU_DEP_1) | instskip(SKIP_1) | instid1(VALU_DEP_2)
	v_lshrrev_b64 v[39:40], 1, v[37:38]
	v_lshrrev_b64 v[37:38], 6, v[37:38]
	v_add_co_u32 v6, vcc_lo, v39, v29
	s_delay_alu instid0(VALU_DEP_3) | instskip(NEXT) | instid1(VALU_DEP_2)
	v_add_co_ci_u32_e32 v10, vcc_lo, v40, v30, vcc_lo
	v_add_co_u32 v37, vcc_lo, v6, v37
	s_delay_alu instid0(VALU_DEP_2) | instskip(NEXT) | instid1(VALU_DEP_1)
	v_add_co_ci_u32_e32 v38, vcc_lo, v10, v38, vcc_lo
	v_lshlrev_b64 v[39:40], 3, v[37:38]
	s_delay_alu instid0(VALU_DEP_1) | instskip(NEXT) | instid1(VALU_DEP_2)
	v_add_co_u32 v39, vcc_lo, s16, v39
	v_add_co_ci_u32_e32 v40, vcc_lo, s17, v40, vcc_lo
	v_add_co_u32 v6, vcc_lo, v37, 1
	v_add_co_ci_u32_e32 v10, vcc_lo, 0, v38, vcc_lo
	global_load_b64 v[39:40], v[39:40], off
	s_waitcnt vmcnt(0) lgkmcnt(8)
	v_cmp_gt_i64_e64 s0, v[39:40], v[33:34]
	s_delay_alu instid0(VALU_DEP_1) | instskip(SKIP_3) | instid1(VALU_DEP_1)
	v_cndmask_b32_e64 v36, v36, v38, s0
	v_cndmask_b32_e64 v35, v35, v37, s0
	;; [unrolled: 1-line block ×4, first 2 shown]
	v_cmp_ge_u64_e32 vcc_lo, v[29:30], v[35:36]
	s_or_b32 s1, vcc_lo, s1
	s_delay_alu instid0(SALU_CYCLE_1)
	s_and_not1_b32 exec_lo, exec_lo, s1
	s_cbranch_execnz .LBB382_31
; %bb.32:
	s_set_inst_prefetch_distance 0x2
	s_or_b32 exec_lo, exec_lo, s1
.LBB382_33:
	v_cmp_ne_u32_e32 vcc_lo, 1, v2
	s_cbranch_vccnz .LBB382_59
; %bb.34:
	s_waitcnt vmcnt(8) lgkmcnt(8)
	v_dual_mov_b32 v33, 0 :: v_dual_mov_b32 v36, s19
	v_dual_mov_b32 v34, 0 :: v_dual_mov_b32 v35, s18
	s_mov_b32 s1, 0
	s_set_inst_prefetch_distance 0x1
	.p2align	6
.LBB382_35:                             ; =>This Inner Loop Header: Depth=1
	s_delay_alu instid0(VALU_DEP_1) | instskip(NEXT) | instid1(VALU_DEP_2)
	v_sub_co_u32 v37, vcc_lo, v35, v33
	v_sub_co_ci_u32_e32 v38, vcc_lo, v36, v34, vcc_lo
	s_delay_alu instid0(VALU_DEP_1) | instskip(SKIP_1) | instid1(VALU_DEP_2)
	v_lshrrev_b64 v[39:40], 1, v[37:38]
	v_lshrrev_b64 v[37:38], 6, v[37:38]
	v_add_co_u32 v6, vcc_lo, v39, v33
	s_delay_alu instid0(VALU_DEP_3) | instskip(NEXT) | instid1(VALU_DEP_2)
	v_add_co_ci_u32_e32 v10, vcc_lo, v40, v34, vcc_lo
	v_add_co_u32 v37, vcc_lo, v6, v37
	s_delay_alu instid0(VALU_DEP_2) | instskip(NEXT) | instid1(VALU_DEP_1)
	v_add_co_ci_u32_e32 v38, vcc_lo, v10, v38, vcc_lo
	v_lshlrev_b64 v[39:40], 3, v[37:38]
	s_delay_alu instid0(VALU_DEP_1) | instskip(NEXT) | instid1(VALU_DEP_2)
	v_add_co_u32 v39, vcc_lo, s16, v39
	v_add_co_ci_u32_e32 v40, vcc_lo, s17, v40, vcc_lo
	v_add_co_u32 v6, vcc_lo, v37, 1
	v_add_co_ci_u32_e32 v10, vcc_lo, 0, v38, vcc_lo
	global_load_b64 v[39:40], v[39:40], off
	s_waitcnt vmcnt(0) lgkmcnt(7)
	v_cmp_gt_i64_e64 s0, v[39:40], v[31:32]
	s_delay_alu instid0(VALU_DEP_1) | instskip(SKIP_3) | instid1(VALU_DEP_1)
	v_cndmask_b32_e64 v36, v36, v38, s0
	v_cndmask_b32_e64 v35, v35, v37, s0
	v_cndmask_b32_e64 v34, v10, v34, s0
	v_cndmask_b32_e64 v33, v6, v33, s0
	v_cmp_ge_u64_e32 vcc_lo, v[33:34], v[35:36]
	s_or_b32 s1, vcc_lo, s1
	s_delay_alu instid0(SALU_CYCLE_1)
	s_and_not1_b32 exec_lo, exec_lo, s1
	s_cbranch_execnz .LBB382_35
; %bb.36:
	s_set_inst_prefetch_distance 0x2
	s_or_b32 exec_lo, exec_lo, s1
	v_cmp_ne_u32_e32 vcc_lo, 1, v2
	s_cbranch_vccnz .LBB382_60
.LBB382_37:
	s_waitcnt vmcnt(7) lgkmcnt(7)
	v_dual_mov_b32 v30, 0 :: v_dual_mov_b32 v35, s19
	v_dual_mov_b32 v31, 0 :: v_dual_mov_b32 v34, s18
	s_mov_b32 s1, 0
	s_set_inst_prefetch_distance 0x1
	.p2align	6
.LBB382_38:                             ; =>This Inner Loop Header: Depth=1
	s_delay_alu instid0(VALU_DEP_1) | instskip(NEXT) | instid1(VALU_DEP_2)
	v_sub_co_u32 v36, vcc_lo, v34, v30
	v_sub_co_ci_u32_e32 v37, vcc_lo, v35, v31, vcc_lo
	s_delay_alu instid0(VALU_DEP_1) | instskip(SKIP_1) | instid1(VALU_DEP_2)
	v_lshrrev_b64 v[38:39], 1, v[36:37]
	v_lshrrev_b64 v[36:37], 6, v[36:37]
	v_add_co_u32 v6, vcc_lo, v38, v30
	s_delay_alu instid0(VALU_DEP_3) | instskip(NEXT) | instid1(VALU_DEP_2)
	v_add_co_ci_u32_e32 v10, vcc_lo, v39, v31, vcc_lo
	v_add_co_u32 v36, vcc_lo, v6, v36
	s_delay_alu instid0(VALU_DEP_2) | instskip(NEXT) | instid1(VALU_DEP_1)
	v_add_co_ci_u32_e32 v37, vcc_lo, v10, v37, vcc_lo
	v_lshlrev_b64 v[38:39], 3, v[36:37]
	s_delay_alu instid0(VALU_DEP_1) | instskip(NEXT) | instid1(VALU_DEP_2)
	v_add_co_u32 v38, vcc_lo, s16, v38
	v_add_co_ci_u32_e32 v39, vcc_lo, s17, v39, vcc_lo
	v_add_co_u32 v6, vcc_lo, v36, 1
	v_add_co_ci_u32_e32 v10, vcc_lo, 0, v37, vcc_lo
	global_load_b64 v[38:39], v[38:39], off
	s_waitcnt vmcnt(0) lgkmcnt(6)
	v_cmp_gt_i64_e64 s0, v[38:39], v[27:28]
	s_delay_alu instid0(VALU_DEP_1) | instskip(SKIP_3) | instid1(VALU_DEP_1)
	v_cndmask_b32_e64 v35, v35, v37, s0
	v_cndmask_b32_e64 v34, v34, v36, s0
	;; [unrolled: 1-line block ×4, first 2 shown]
	v_cmp_ge_u64_e32 vcc_lo, v[30:31], v[34:35]
	s_or_b32 s1, vcc_lo, s1
	s_delay_alu instid0(SALU_CYCLE_1)
	s_and_not1_b32 exec_lo, exec_lo, s1
	s_cbranch_execnz .LBB382_38
; %bb.39:
	s_set_inst_prefetch_distance 0x2
	s_or_b32 exec_lo, exec_lo, s1
	v_cmp_ne_u32_e32 vcc_lo, 1, v2
	s_cbranch_vccnz .LBB382_61
.LBB382_40:
	s_waitcnt vmcnt(6) lgkmcnt(6)
	v_mov_b32_e32 v26, 0
	v_dual_mov_b32 v27, 0 :: v_dual_mov_b32 v32, s19
	v_mov_b32_e32 v31, s18
	s_mov_b32 s1, 0
	s_set_inst_prefetch_distance 0x1
	.p2align	6
.LBB382_41:                             ; =>This Inner Loop Header: Depth=1
	s_delay_alu instid0(VALU_DEP_1) | instskip(SKIP_1) | instid1(VALU_DEP_1)
	v_sub_co_u32 v34, vcc_lo, v31, v26
	v_sub_co_ci_u32_e32 v35, vcc_lo, v32, v27, vcc_lo
	v_lshrrev_b64 v[36:37], 1, v[34:35]
	v_lshrrev_b64 v[34:35], 6, v[34:35]
	s_delay_alu instid0(VALU_DEP_2) | instskip(NEXT) | instid1(VALU_DEP_3)
	v_add_co_u32 v6, vcc_lo, v36, v26
	v_add_co_ci_u32_e32 v10, vcc_lo, v37, v27, vcc_lo
	s_delay_alu instid0(VALU_DEP_2) | instskip(NEXT) | instid1(VALU_DEP_2)
	v_add_co_u32 v34, vcc_lo, v6, v34
	v_add_co_ci_u32_e32 v35, vcc_lo, v10, v35, vcc_lo
	s_delay_alu instid0(VALU_DEP_1) | instskip(NEXT) | instid1(VALU_DEP_1)
	v_lshlrev_b64 v[36:37], 3, v[34:35]
	v_add_co_u32 v36, vcc_lo, s16, v36
	s_delay_alu instid0(VALU_DEP_2)
	v_add_co_ci_u32_e32 v37, vcc_lo, s17, v37, vcc_lo
	v_add_co_u32 v6, vcc_lo, v34, 1
	v_add_co_ci_u32_e32 v10, vcc_lo, 0, v35, vcc_lo
	global_load_b64 v[36:37], v[36:37], off
	s_waitcnt vmcnt(0) lgkmcnt(5)
	v_cmp_gt_i64_e64 s0, v[36:37], v[23:24]
	s_delay_alu instid0(VALU_DEP_1) | instskip(SKIP_3) | instid1(VALU_DEP_1)
	v_cndmask_b32_e64 v32, v32, v35, s0
	v_cndmask_b32_e64 v31, v31, v34, s0
	;; [unrolled: 1-line block ×4, first 2 shown]
	v_cmp_ge_u64_e32 vcc_lo, v[26:27], v[31:32]
	s_or_b32 s1, vcc_lo, s1
	s_delay_alu instid0(SALU_CYCLE_1)
	s_and_not1_b32 exec_lo, exec_lo, s1
	s_cbranch_execnz .LBB382_41
; %bb.42:
	s_set_inst_prefetch_distance 0x2
	s_or_b32 exec_lo, exec_lo, s1
	v_cmp_ne_u32_e32 vcc_lo, 1, v2
	s_cbranch_vccnz .LBB382_62
.LBB382_43:
	s_waitcnt vmcnt(5) lgkmcnt(5)
	v_mov_b32_e32 v22, 0
	v_dual_mov_b32 v23, 0 :: v_dual_mov_b32 v28, s19
	v_mov_b32_e32 v27, s18
	s_mov_b32 s1, 0
	s_set_inst_prefetch_distance 0x1
	.p2align	6
.LBB382_44:                             ; =>This Inner Loop Header: Depth=1
	s_delay_alu instid0(VALU_DEP_1) | instskip(SKIP_1) | instid1(VALU_DEP_1)
	v_sub_co_u32 v31, vcc_lo, v27, v22
	v_sub_co_ci_u32_e32 v32, vcc_lo, v28, v23, vcc_lo
	v_lshrrev_b64 v[34:35], 1, v[31:32]
	v_lshrrev_b64 v[31:32], 6, v[31:32]
	s_delay_alu instid0(VALU_DEP_2) | instskip(NEXT) | instid1(VALU_DEP_3)
	v_add_co_u32 v6, vcc_lo, v34, v22
	v_add_co_ci_u32_e32 v10, vcc_lo, v35, v23, vcc_lo
	s_delay_alu instid0(VALU_DEP_2) | instskip(NEXT) | instid1(VALU_DEP_2)
	v_add_co_u32 v31, vcc_lo, v6, v31
	v_add_co_ci_u32_e32 v32, vcc_lo, v10, v32, vcc_lo
	s_delay_alu instid0(VALU_DEP_1) | instskip(NEXT) | instid1(VALU_DEP_1)
	v_lshlrev_b64 v[34:35], 3, v[31:32]
	v_add_co_u32 v34, vcc_lo, s16, v34
	s_delay_alu instid0(VALU_DEP_2)
	v_add_co_ci_u32_e32 v35, vcc_lo, s17, v35, vcc_lo
	v_add_co_u32 v6, vcc_lo, v31, 1
	v_add_co_ci_u32_e32 v10, vcc_lo, 0, v32, vcc_lo
	global_load_b64 v[34:35], v[34:35], off
	s_waitcnt vmcnt(0) lgkmcnt(4)
	v_cmp_gt_i64_e64 s0, v[34:35], v[19:20]
	s_delay_alu instid0(VALU_DEP_1) | instskip(SKIP_3) | instid1(VALU_DEP_1)
	v_cndmask_b32_e64 v28, v28, v32, s0
	v_cndmask_b32_e64 v27, v27, v31, s0
	;; [unrolled: 1-line block ×4, first 2 shown]
	v_cmp_ge_u64_e32 vcc_lo, v[22:23], v[27:28]
	s_or_b32 s1, vcc_lo, s1
	s_delay_alu instid0(SALU_CYCLE_1)
	s_and_not1_b32 exec_lo, exec_lo, s1
	s_cbranch_execnz .LBB382_44
; %bb.45:
	s_set_inst_prefetch_distance 0x2
	s_or_b32 exec_lo, exec_lo, s1
	v_cmp_ne_u32_e32 vcc_lo, 1, v2
	s_cbranch_vccnz .LBB382_63
.LBB382_46:
	s_waitcnt vmcnt(4) lgkmcnt(4)
	v_mov_b32_e32 v18, 0
	v_dual_mov_b32 v19, 0 :: v_dual_mov_b32 v24, s19
	v_mov_b32_e32 v23, s18
	s_mov_b32 s1, 0
	s_set_inst_prefetch_distance 0x1
	.p2align	6
.LBB382_47:                             ; =>This Inner Loop Header: Depth=1
	s_delay_alu instid0(VALU_DEP_1) | instskip(SKIP_1) | instid1(VALU_DEP_1)
	v_sub_co_u32 v27, vcc_lo, v23, v18
	v_sub_co_ci_u32_e32 v28, vcc_lo, v24, v19, vcc_lo
	v_lshrrev_b64 v[31:32], 1, v[27:28]
	v_lshrrev_b64 v[27:28], 6, v[27:28]
	s_delay_alu instid0(VALU_DEP_2) | instskip(NEXT) | instid1(VALU_DEP_3)
	v_add_co_u32 v6, vcc_lo, v31, v18
	v_add_co_ci_u32_e32 v10, vcc_lo, v32, v19, vcc_lo
	s_delay_alu instid0(VALU_DEP_2) | instskip(NEXT) | instid1(VALU_DEP_2)
	v_add_co_u32 v27, vcc_lo, v6, v27
	v_add_co_ci_u32_e32 v28, vcc_lo, v10, v28, vcc_lo
	s_delay_alu instid0(VALU_DEP_1) | instskip(NEXT) | instid1(VALU_DEP_1)
	v_lshlrev_b64 v[31:32], 3, v[27:28]
	v_add_co_u32 v31, vcc_lo, s16, v31
	s_delay_alu instid0(VALU_DEP_2)
	v_add_co_ci_u32_e32 v32, vcc_lo, s17, v32, vcc_lo
	v_add_co_u32 v6, vcc_lo, v27, 1
	v_add_co_ci_u32_e32 v10, vcc_lo, 0, v28, vcc_lo
	global_load_b64 v[31:32], v[31:32], off
	s_waitcnt vmcnt(0) lgkmcnt(3)
	v_cmp_gt_i64_e64 s0, v[31:32], v[15:16]
	s_delay_alu instid0(VALU_DEP_1) | instskip(SKIP_3) | instid1(VALU_DEP_1)
	v_cndmask_b32_e64 v24, v24, v28, s0
	v_cndmask_b32_e64 v23, v23, v27, s0
	;; [unrolled: 1-line block ×4, first 2 shown]
	v_cmp_ge_u64_e32 vcc_lo, v[18:19], v[23:24]
	s_or_b32 s1, vcc_lo, s1
	s_delay_alu instid0(SALU_CYCLE_1)
	s_and_not1_b32 exec_lo, exec_lo, s1
	s_cbranch_execnz .LBB382_47
; %bb.48:
	s_set_inst_prefetch_distance 0x2
	s_or_b32 exec_lo, exec_lo, s1
	v_cmp_ne_u32_e32 vcc_lo, 1, v2
	s_cbranch_vccnz .LBB382_64
.LBB382_49:
	s_waitcnt vmcnt(3) lgkmcnt(3)
	v_mov_b32_e32 v14, 0
	v_dual_mov_b32 v15, 0 :: v_dual_mov_b32 v20, s19
	v_mov_b32_e32 v19, s18
	s_mov_b32 s1, 0
	s_set_inst_prefetch_distance 0x1
	.p2align	6
.LBB382_50:                             ; =>This Inner Loop Header: Depth=1
	s_delay_alu instid0(VALU_DEP_1) | instskip(SKIP_1) | instid1(VALU_DEP_1)
	v_sub_co_u32 v23, vcc_lo, v19, v14
	v_sub_co_ci_u32_e32 v24, vcc_lo, v20, v15, vcc_lo
	v_lshrrev_b64 v[27:28], 1, v[23:24]
	v_lshrrev_b64 v[23:24], 6, v[23:24]
	s_delay_alu instid0(VALU_DEP_2) | instskip(NEXT) | instid1(VALU_DEP_3)
	v_add_co_u32 v6, vcc_lo, v27, v14
	v_add_co_ci_u32_e32 v10, vcc_lo, v28, v15, vcc_lo
	s_delay_alu instid0(VALU_DEP_2) | instskip(NEXT) | instid1(VALU_DEP_2)
	v_add_co_u32 v23, vcc_lo, v6, v23
	v_add_co_ci_u32_e32 v24, vcc_lo, v10, v24, vcc_lo
	s_delay_alu instid0(VALU_DEP_1) | instskip(NEXT) | instid1(VALU_DEP_1)
	v_lshlrev_b64 v[27:28], 3, v[23:24]
	v_add_co_u32 v27, vcc_lo, s16, v27
	s_delay_alu instid0(VALU_DEP_2)
	v_add_co_ci_u32_e32 v28, vcc_lo, s17, v28, vcc_lo
	v_add_co_u32 v6, vcc_lo, v23, 1
	v_add_co_ci_u32_e32 v10, vcc_lo, 0, v24, vcc_lo
	global_load_b64 v[27:28], v[27:28], off
	s_waitcnt vmcnt(0) lgkmcnt(2)
	v_cmp_gt_i64_e64 s0, v[27:28], v[11:12]
	s_delay_alu instid0(VALU_DEP_1) | instskip(SKIP_3) | instid1(VALU_DEP_1)
	v_cndmask_b32_e64 v20, v20, v24, s0
	v_cndmask_b32_e64 v19, v19, v23, s0
	v_cndmask_b32_e64 v15, v10, v15, s0
	v_cndmask_b32_e64 v14, v6, v14, s0
	v_cmp_ge_u64_e32 vcc_lo, v[14:15], v[19:20]
	s_or_b32 s1, vcc_lo, s1
	s_delay_alu instid0(SALU_CYCLE_1)
	s_and_not1_b32 exec_lo, exec_lo, s1
	s_cbranch_execnz .LBB382_50
; %bb.51:
	s_set_inst_prefetch_distance 0x2
	s_or_b32 exec_lo, exec_lo, s1
	v_cmp_ne_u32_e32 vcc_lo, 1, v2
	s_cbranch_vccnz .LBB382_65
.LBB382_52:
	s_waitcnt vmcnt(2) lgkmcnt(2)
	v_dual_mov_b32 v10, 0 :: v_dual_mov_b32 v15, s18
	v_dual_mov_b32 v11, 0 :: v_dual_mov_b32 v16, s19
	s_mov_b32 s1, 0
	s_set_inst_prefetch_distance 0x1
	.p2align	6
.LBB382_53:                             ; =>This Inner Loop Header: Depth=1
	s_delay_alu instid0(VALU_DEP_2) | instskip(NEXT) | instid1(VALU_DEP_2)
	v_sub_co_u32 v19, vcc_lo, v15, v10
	v_sub_co_ci_u32_e32 v20, vcc_lo, v16, v11, vcc_lo
	s_delay_alu instid0(VALU_DEP_1) | instskip(SKIP_1) | instid1(VALU_DEP_2)
	v_lshrrev_b64 v[23:24], 1, v[19:20]
	v_lshrrev_b64 v[19:20], 6, v[19:20]
	v_add_co_u32 v6, vcc_lo, v23, v10
	s_delay_alu instid0(VALU_DEP_3) | instskip(NEXT) | instid1(VALU_DEP_2)
	v_add_co_ci_u32_e32 v12, vcc_lo, v24, v11, vcc_lo
	v_add_co_u32 v19, vcc_lo, v6, v19
	s_delay_alu instid0(VALU_DEP_2) | instskip(NEXT) | instid1(VALU_DEP_1)
	v_add_co_ci_u32_e32 v20, vcc_lo, v12, v20, vcc_lo
	v_lshlrev_b64 v[23:24], 3, v[19:20]
	s_delay_alu instid0(VALU_DEP_1) | instskip(NEXT) | instid1(VALU_DEP_2)
	v_add_co_u32 v23, vcc_lo, s16, v23
	v_add_co_ci_u32_e32 v24, vcc_lo, s17, v24, vcc_lo
	v_add_co_u32 v6, vcc_lo, v19, 1
	v_add_co_ci_u32_e32 v12, vcc_lo, 0, v20, vcc_lo
	global_load_b64 v[23:24], v[23:24], off
	s_waitcnt vmcnt(0) lgkmcnt(1)
	v_cmp_gt_i64_e64 s0, v[23:24], v[7:8]
	s_delay_alu instid0(VALU_DEP_1) | instskip(SKIP_3) | instid1(VALU_DEP_1)
	v_cndmask_b32_e64 v16, v16, v20, s0
	v_cndmask_b32_e64 v15, v15, v19, s0
	v_cndmask_b32_e64 v11, v12, v11, s0
	v_cndmask_b32_e64 v10, v6, v10, s0
	v_cmp_ge_u64_e32 vcc_lo, v[10:11], v[15:16]
	s_or_b32 s1, vcc_lo, s1
	s_delay_alu instid0(SALU_CYCLE_1)
	s_and_not1_b32 exec_lo, exec_lo, s1
	s_cbranch_execnz .LBB382_53
; %bb.54:
	s_set_inst_prefetch_distance 0x2
	s_or_b32 exec_lo, exec_lo, s1
	v_cmp_ne_u32_e32 vcc_lo, 1, v2
	s_cbranch_vccnz .LBB382_66
.LBB382_55:
	s_waitcnt vmcnt(1) lgkmcnt(1)
	v_dual_mov_b32 v6, 0 :: v_dual_mov_b32 v11, s18
	v_dual_mov_b32 v7, 0 :: v_dual_mov_b32 v12, s19
	s_mov_b32 s1, 0
	s_set_inst_prefetch_distance 0x1
	.p2align	6
.LBB382_56:                             ; =>This Inner Loop Header: Depth=1
	s_delay_alu instid0(VALU_DEP_2) | instskip(NEXT) | instid1(VALU_DEP_2)
	v_sub_co_u32 v15, vcc_lo, v11, v6
	v_sub_co_ci_u32_e32 v16, vcc_lo, v12, v7, vcc_lo
	s_delay_alu instid0(VALU_DEP_1) | instskip(SKIP_1) | instid1(VALU_DEP_2)
	v_lshrrev_b64 v[19:20], 1, v[15:16]
	v_lshrrev_b64 v[15:16], 6, v[15:16]
	v_add_co_u32 v2, vcc_lo, v19, v6
	s_delay_alu instid0(VALU_DEP_3) | instskip(NEXT) | instid1(VALU_DEP_2)
	v_add_co_ci_u32_e32 v8, vcc_lo, v20, v7, vcc_lo
	v_add_co_u32 v15, vcc_lo, v2, v15
	s_delay_alu instid0(VALU_DEP_2) | instskip(NEXT) | instid1(VALU_DEP_1)
	v_add_co_ci_u32_e32 v16, vcc_lo, v8, v16, vcc_lo
	v_lshlrev_b64 v[19:20], 3, v[15:16]
	s_delay_alu instid0(VALU_DEP_1) | instskip(NEXT) | instid1(VALU_DEP_2)
	v_add_co_u32 v19, vcc_lo, s16, v19
	v_add_co_ci_u32_e32 v20, vcc_lo, s17, v20, vcc_lo
	v_add_co_u32 v2, vcc_lo, v15, 1
	v_add_co_ci_u32_e32 v8, vcc_lo, 0, v16, vcc_lo
	global_load_b64 v[19:20], v[19:20], off
	s_waitcnt vmcnt(0) lgkmcnt(0)
	v_cmp_gt_i64_e64 s0, v[19:20], v[3:4]
	s_delay_alu instid0(VALU_DEP_1) | instskip(SKIP_3) | instid1(VALU_DEP_1)
	v_cndmask_b32_e64 v12, v12, v16, s0
	v_cndmask_b32_e64 v11, v11, v15, s0
	;; [unrolled: 1-line block ×4, first 2 shown]
	v_cmp_ge_u64_e32 vcc_lo, v[6:7], v[11:12]
	s_or_b32 s1, vcc_lo, s1
	s_delay_alu instid0(SALU_CYCLE_1)
	s_and_not1_b32 exec_lo, exec_lo, s1
	s_cbranch_execnz .LBB382_56
; %bb.57:
	s_set_inst_prefetch_distance 0x2
	s_or_b32 exec_lo, exec_lo, s1
	s_branch .LBB382_67
.LBB382_58:
	s_mov_b32 s24, s21
                                        ; implicit-def: $vgpr6
                                        ; implicit-def: $vgpr2_vgpr3
	s_and_b32 vcc_lo, exec_lo, s0
	s_cbranch_vccnz .LBB382_68
	s_branch .LBB382_197
.LBB382_59:
	s_waitcnt vmcnt(8) lgkmcnt(8)
	v_mov_b32_e32 v33, 0
	v_cmp_ne_u32_e32 vcc_lo, 1, v2
	s_cbranch_vccz .LBB382_37
.LBB382_60:
	v_mov_b32_e32 v30, 0
	v_cmp_ne_u32_e32 vcc_lo, 1, v2
	s_cbranch_vccz .LBB382_40
.LBB382_61:
	v_mov_b32_e32 v26, 0
	v_cmp_ne_u32_e32 vcc_lo, 1, v2
	s_cbranch_vccz .LBB382_43
.LBB382_62:
	v_mov_b32_e32 v22, 0
	v_cmp_ne_u32_e32 vcc_lo, 1, v2
	s_cbranch_vccz .LBB382_46
.LBB382_63:
	v_mov_b32_e32 v18, 0
	v_cmp_ne_u32_e32 vcc_lo, 1, v2
	s_cbranch_vccz .LBB382_49
.LBB382_64:
	v_mov_b32_e32 v14, 0
	v_cmp_ne_u32_e32 vcc_lo, 1, v2
	s_cbranch_vccz .LBB382_52
.LBB382_65:
	v_mov_b32_e32 v10, 0
	v_cmp_ne_u32_e32 vcc_lo, 1, v2
	s_cbranch_vccz .LBB382_55
.LBB382_66:
	v_mov_b32_e32 v6, 0
.LBB382_67:
	v_lshlrev_b32_e32 v2, 2, v0
	s_lshl_b64 s[0:1], s[20:21], 2
	s_mov_b32 s24, -1
	s_add_u32 s0, s22, s0
	s_addc_u32 s1, s23, s1
	v_add_co_u32 v2, s0, s0, v2
	s_waitcnt vmcnt(0) lgkmcnt(0)
	v_add_co_ci_u32_e64 v3, null, s1, 0, s0
	s_clause 0xe
	flat_store_b32 v[2:3], v1
	flat_store_b32 v[2:3], v5 offset:256
	flat_store_b32 v[2:3], v9 offset:512
	;; [unrolled: 1-line block ×14, first 2 shown]
	s_branch .LBB382_197
.LBB382_68:
	s_sub_i32 s15, s8, s20
                                        ; implicit-def: $vgpr5_vgpr6
	s_delay_alu instid0(SALU_CYCLE_1) | instskip(NEXT) | instid1(VALU_DEP_1)
	v_cmp_gt_u32_e64 s0, s15, v0
	s_and_saveexec_b32 s1, s0
	s_cbranch_execz .LBB382_70
; %bb.69:
	v_lshlrev_b32_e32 v1, 3, v0
	s_delay_alu instid0(VALU_DEP_1) | instskip(NEXT) | instid1(VALU_DEP_1)
	v_add_co_u32 v1, s2, s25, v1
	v_add_co_ci_u32_e64 v2, null, s26, 0, s2
	flat_load_b64 v[5:6], v[1:2]
.LBB382_70:
	s_or_b32 exec_lo, exec_lo, s1
	v_or_b32_e32 v1, 64, v0
                                        ; implicit-def: $vgpr11_vgpr12
	s_delay_alu instid0(VALU_DEP_1) | instskip(NEXT) | instid1(VALU_DEP_1)
	v_cmp_gt_u32_e64 s1, s15, v1
	s_and_saveexec_b32 s2, s1
	s_cbranch_execz .LBB382_72
; %bb.71:
	v_lshlrev_b32_e32 v1, 3, v0
	s_delay_alu instid0(VALU_DEP_1) | instskip(NEXT) | instid1(VALU_DEP_1)
	v_add_co_u32 v1, s3, s25, v1
	v_add_co_ci_u32_e64 v2, null, s26, 0, s3
	flat_load_b64 v[11:12], v[1:2] offset:512
.LBB382_72:
	s_or_b32 exec_lo, exec_lo, s2
	v_or_b32_e32 v1, 0x80, v0
                                        ; implicit-def: $vgpr15_vgpr16
	s_delay_alu instid0(VALU_DEP_1) | instskip(NEXT) | instid1(VALU_DEP_1)
	v_cmp_gt_u32_e64 s2, s15, v1
	s_and_saveexec_b32 s3, s2
	s_cbranch_execz .LBB382_74
; %bb.73:
	v_lshlrev_b32_e32 v1, 3, v0
	s_delay_alu instid0(VALU_DEP_1) | instskip(NEXT) | instid1(VALU_DEP_1)
	v_add_co_u32 v1, s4, s25, v1
	v_add_co_ci_u32_e64 v2, null, s26, 0, s4
	flat_load_b64 v[15:16], v[1:2] offset:1024
.LBB382_74:
	s_or_b32 exec_lo, exec_lo, s3
	v_or_b32_e32 v1, 0xc0, v0
                                        ; implicit-def: $vgpr19_vgpr20
	s_delay_alu instid0(VALU_DEP_1) | instskip(NEXT) | instid1(VALU_DEP_1)
	v_cmp_gt_u32_e64 s3, s15, v1
	s_and_saveexec_b32 s4, s3
	s_cbranch_execz .LBB382_76
; %bb.75:
	v_lshlrev_b32_e32 v1, 3, v0
	s_delay_alu instid0(VALU_DEP_1) | instskip(NEXT) | instid1(VALU_DEP_1)
	v_add_co_u32 v1, s5, s25, v1
	v_add_co_ci_u32_e64 v2, null, s26, 0, s5
	flat_load_b64 v[19:20], v[1:2] offset:1536
.LBB382_76:
	s_or_b32 exec_lo, exec_lo, s4
	v_or_b32_e32 v1, 0x100, v0
                                        ; implicit-def: $vgpr23_vgpr24
	s_delay_alu instid0(VALU_DEP_1) | instskip(NEXT) | instid1(VALU_DEP_1)
	v_cmp_gt_u32_e64 s4, s15, v1
	s_and_saveexec_b32 s5, s4
	s_cbranch_execz .LBB382_78
; %bb.77:
	v_lshlrev_b32_e32 v1, 3, v0
	s_delay_alu instid0(VALU_DEP_1) | instskip(NEXT) | instid1(VALU_DEP_1)
	v_add_co_u32 v1, s6, s25, v1
	v_add_co_ci_u32_e64 v2, null, s26, 0, s6
	flat_load_b64 v[23:24], v[1:2] offset:2048
.LBB382_78:
	s_or_b32 exec_lo, exec_lo, s5
	v_or_b32_e32 v1, 0x140, v0
                                        ; implicit-def: $vgpr27_vgpr28
	s_delay_alu instid0(VALU_DEP_1) | instskip(NEXT) | instid1(VALU_DEP_1)
	v_cmp_gt_u32_e64 s5, s15, v1
	s_and_saveexec_b32 s6, s5
	s_cbranch_execz .LBB382_80
; %bb.79:
	v_lshlrev_b32_e32 v1, 3, v0
	s_delay_alu instid0(VALU_DEP_1) | instskip(NEXT) | instid1(VALU_DEP_1)
	v_add_co_u32 v1, s7, s25, v1
	v_add_co_ci_u32_e64 v2, null, s26, 0, s7
	flat_load_b64 v[27:28], v[1:2] offset:2560
.LBB382_80:
	s_or_b32 exec_lo, exec_lo, s6
	v_or_b32_e32 v1, 0x180, v0
                                        ; implicit-def: $vgpr31_vgpr32
	s_delay_alu instid0(VALU_DEP_1) | instskip(NEXT) | instid1(VALU_DEP_1)
	v_cmp_gt_u32_e64 s6, s15, v1
	s_and_saveexec_b32 s7, s6
	s_cbranch_execz .LBB382_82
; %bb.81:
	v_lshlrev_b32_e32 v1, 3, v0
	s_delay_alu instid0(VALU_DEP_1) | instskip(NEXT) | instid1(VALU_DEP_1)
	v_add_co_u32 v1, s8, s25, v1
	v_add_co_ci_u32_e64 v2, null, s26, 0, s8
	flat_load_b64 v[31:32], v[1:2] offset:3072
.LBB382_82:
	s_or_b32 exec_lo, exec_lo, s7
	v_or_b32_e32 v1, 0x1c0, v0
                                        ; implicit-def: $vgpr33_vgpr34
	s_delay_alu instid0(VALU_DEP_1) | instskip(NEXT) | instid1(VALU_DEP_1)
	v_cmp_gt_u32_e64 s7, s15, v1
	s_and_saveexec_b32 s8, s7
	s_cbranch_execz .LBB382_84
; %bb.83:
	v_lshlrev_b32_e32 v1, 3, v0
	s_delay_alu instid0(VALU_DEP_1) | instskip(NEXT) | instid1(VALU_DEP_1)
	v_add_co_u32 v1, s9, s25, v1
	v_add_co_ci_u32_e64 v2, null, s26, 0, s9
	flat_load_b64 v[33:34], v[1:2] offset:3584
.LBB382_84:
	s_or_b32 exec_lo, exec_lo, s8
	v_or_b32_e32 v1, 0x200, v0
                                        ; implicit-def: $vgpr29_vgpr30
	s_delay_alu instid0(VALU_DEP_1) | instskip(NEXT) | instid1(VALU_DEP_1)
	v_cmp_gt_u32_e64 s8, s15, v1
	s_and_saveexec_b32 s9, s8
	s_cbranch_execz .LBB382_86
; %bb.85:
	v_lshlrev_b32_e32 v1, 3, v1
	s_delay_alu instid0(VALU_DEP_1) | instskip(NEXT) | instid1(VALU_DEP_1)
	v_add_co_u32 v1, s10, s25, v1
	v_add_co_ci_u32_e64 v2, null, s26, 0, s10
	flat_load_b64 v[29:30], v[1:2]
.LBB382_86:
	s_or_b32 exec_lo, exec_lo, s9
	v_or_b32_e32 v1, 0x240, v0
                                        ; implicit-def: $vgpr25_vgpr26
	s_delay_alu instid0(VALU_DEP_1) | instskip(NEXT) | instid1(VALU_DEP_1)
	v_cmp_gt_u32_e64 s9, s15, v1
	s_and_saveexec_b32 s10, s9
	s_cbranch_execz .LBB382_88
; %bb.87:
	v_lshlrev_b32_e32 v1, 3, v1
	s_delay_alu instid0(VALU_DEP_1) | instskip(NEXT) | instid1(VALU_DEP_1)
	v_add_co_u32 v1, s11, s25, v1
	v_add_co_ci_u32_e64 v2, null, s26, 0, s11
	flat_load_b64 v[25:26], v[1:2]
.LBB382_88:
	s_or_b32 exec_lo, exec_lo, s10
	v_or_b32_e32 v1, 0x280, v0
                                        ; implicit-def: $vgpr21_vgpr22
	s_delay_alu instid0(VALU_DEP_1) | instskip(NEXT) | instid1(VALU_DEP_1)
	v_cmp_gt_u32_e64 s10, s15, v1
	s_and_saveexec_b32 s11, s10
	s_cbranch_execz .LBB382_90
; %bb.89:
	v_lshlrev_b32_e32 v1, 3, v1
	s_delay_alu instid0(VALU_DEP_1) | instskip(NEXT) | instid1(VALU_DEP_1)
	v_add_co_u32 v1, s12, s25, v1
	v_add_co_ci_u32_e64 v2, null, s26, 0, s12
	flat_load_b64 v[21:22], v[1:2]
.LBB382_90:
	s_or_b32 exec_lo, exec_lo, s11
	v_or_b32_e32 v1, 0x2c0, v0
                                        ; implicit-def: $vgpr17_vgpr18
	s_delay_alu instid0(VALU_DEP_1) | instskip(NEXT) | instid1(VALU_DEP_1)
	v_cmp_gt_u32_e64 s11, s15, v1
	s_and_saveexec_b32 s12, s11
	s_cbranch_execz .LBB382_92
; %bb.91:
	v_lshlrev_b32_e32 v1, 3, v1
	s_delay_alu instid0(VALU_DEP_1) | instskip(NEXT) | instid1(VALU_DEP_1)
	v_add_co_u32 v1, s13, s25, v1
	v_add_co_ci_u32_e64 v2, null, s26, 0, s13
	flat_load_b64 v[17:18], v[1:2]
.LBB382_92:
	s_or_b32 exec_lo, exec_lo, s12
	v_or_b32_e32 v1, 0x300, v0
                                        ; implicit-def: $vgpr13_vgpr14
	s_delay_alu instid0(VALU_DEP_1) | instskip(NEXT) | instid1(VALU_DEP_1)
	v_cmp_gt_u32_e64 s12, s15, v1
	s_and_saveexec_b32 s13, s12
	s_cbranch_execz .LBB382_94
; %bb.93:
	v_lshlrev_b32_e32 v1, 3, v1
	s_delay_alu instid0(VALU_DEP_1) | instskip(NEXT) | instid1(VALU_DEP_1)
	v_add_co_u32 v1, s14, s25, v1
	v_add_co_ci_u32_e64 v2, null, s26, 0, s14
	flat_load_b64 v[13:14], v[1:2]
.LBB382_94:
	s_or_b32 exec_lo, exec_lo, s13
	v_or_b32_e32 v1, 0x340, v0
                                        ; implicit-def: $vgpr9_vgpr10
	s_delay_alu instid0(VALU_DEP_1) | instskip(NEXT) | instid1(VALU_DEP_1)
	v_cmp_gt_u32_e64 s13, s15, v1
	s_and_saveexec_b32 s14, s13
	s_cbranch_execz .LBB382_96
; %bb.95:
	v_lshlrev_b32_e32 v1, 3, v1
	s_delay_alu instid0(VALU_DEP_1) | instskip(NEXT) | instid1(VALU_DEP_1)
	v_add_co_u32 v1, s24, s25, v1
	v_add_co_ci_u32_e64 v2, null, s26, 0, s24
	flat_load_b64 v[9:10], v[1:2]
.LBB382_96:
	s_or_b32 exec_lo, exec_lo, s14
	v_or_b32_e32 v1, 0x380, v0
                                        ; implicit-def: $vgpr7_vgpr8
	s_delay_alu instid0(VALU_DEP_1) | instskip(NEXT) | instid1(VALU_DEP_1)
	v_cmp_gt_u32_e64 s14, s15, v1
	s_and_saveexec_b32 s24, s14
	s_cbranch_execz .LBB382_98
; %bb.97:
	v_lshlrev_b32_e32 v1, 3, v1
	s_delay_alu instid0(VALU_DEP_1) | instskip(NEXT) | instid1(VALU_DEP_1)
	v_add_co_u32 v1, s27, s25, v1
	v_add_co_ci_u32_e64 v2, null, s26, 0, s27
	flat_load_b64 v[7:8], v[1:2]
.LBB382_98:
	s_or_b32 exec_lo, exec_lo, s24
	v_or_b32_e32 v1, 0x3c0, v0
                                        ; implicit-def: $vgpr3_vgpr4
	s_delay_alu instid0(VALU_DEP_1) | instskip(NEXT) | instid1(VALU_DEP_1)
	v_cmp_gt_u32_e64 s24, s15, v1
	s_and_saveexec_b32 s15, s24
	s_cbranch_execz .LBB382_100
; %bb.99:
	v_lshlrev_b32_e32 v1, 3, v1
	s_delay_alu instid0(VALU_DEP_1) | instskip(NEXT) | instid1(VALU_DEP_1)
	v_add_co_u32 v1, s25, s25, v1
	v_add_co_ci_u32_e64 v2, null, s26, 0, s25
	flat_load_b64 v[3:4], v[1:2]
.LBB382_100:
	s_or_b32 exec_lo, exec_lo, s15
	s_cmp_lg_u64 s[18:19], 0
                                        ; implicit-def: $vgpr1
	s_cselect_b32 s25, -1, 0
	s_and_saveexec_b32 s26, s0
	s_cbranch_execz .LBB382_105
; %bb.101:
	v_mov_b32_e32 v1, 0
	v_mov_b32_e32 v2, 0
	s_and_not1_b32 vcc_lo, exec_lo, s25
	s_cbranch_vccnz .LBB382_105
; %bb.102:
	v_dual_mov_b32 v36, s19 :: v_dual_mov_b32 v35, s18
	s_mov_b32 s27, 0
	s_set_inst_prefetch_distance 0x1
	.p2align	6
.LBB382_103:                            ; =>This Inner Loop Header: Depth=1
	s_delay_alu instid0(VALU_DEP_1) | instskip(NEXT) | instid1(VALU_DEP_2)
	v_sub_co_u32 v37, vcc_lo, v35, v1
	v_sub_co_ci_u32_e32 v38, vcc_lo, v36, v2, vcc_lo
	s_delay_alu instid0(VALU_DEP_1) | instskip(SKIP_1) | instid1(VALU_DEP_2)
	v_lshrrev_b64 v[39:40], 1, v[37:38]
	v_lshrrev_b64 v[37:38], 6, v[37:38]
	v_add_co_u32 v39, vcc_lo, v39, v1
	s_delay_alu instid0(VALU_DEP_3) | instskip(NEXT) | instid1(VALU_DEP_2)
	v_add_co_ci_u32_e32 v40, vcc_lo, v40, v2, vcc_lo
	v_add_co_u32 v37, vcc_lo, v39, v37
	s_delay_alu instid0(VALU_DEP_2) | instskip(NEXT) | instid1(VALU_DEP_1)
	v_add_co_ci_u32_e32 v38, vcc_lo, v40, v38, vcc_lo
	v_lshlrev_b64 v[39:40], 3, v[37:38]
	s_delay_alu instid0(VALU_DEP_1) | instskip(NEXT) | instid1(VALU_DEP_2)
	v_add_co_u32 v39, vcc_lo, s16, v39
	v_add_co_ci_u32_e32 v40, vcc_lo, s17, v40, vcc_lo
	v_add_co_u32 v41, vcc_lo, v37, 1
	global_load_b64 v[39:40], v[39:40], off
	s_waitcnt vmcnt(0) lgkmcnt(0)
	v_cmp_gt_i64_e64 s15, v[39:40], v[5:6]
	v_add_co_ci_u32_e32 v39, vcc_lo, 0, v38, vcc_lo
	s_delay_alu instid0(VALU_DEP_2) | instskip(SKIP_1) | instid1(VALU_DEP_3)
	v_cndmask_b32_e64 v36, v36, v38, s15
	v_cndmask_b32_e64 v35, v35, v37, s15
	;; [unrolled: 1-line block ×4, first 2 shown]
	s_delay_alu instid0(VALU_DEP_1) | instskip(SKIP_1) | instid1(SALU_CYCLE_1)
	v_cmp_ge_u64_e32 vcc_lo, v[1:2], v[35:36]
	s_or_b32 s27, vcc_lo, s27
	s_and_not1_b32 exec_lo, exec_lo, s27
	s_cbranch_execnz .LBB382_103
; %bb.104:
	s_set_inst_prefetch_distance 0x2
	s_or_b32 exec_lo, exec_lo, s27
.LBB382_105:
	s_delay_alu instid0(SALU_CYCLE_1)
	s_or_b32 exec_lo, exec_lo, s26
                                        ; implicit-def: $vgpr5
	s_and_saveexec_b32 s26, s1
	s_cbranch_execz .LBB382_110
; %bb.106:
	s_waitcnt vmcnt(0) lgkmcnt(0)
	v_mov_b32_e32 v5, 0
	v_mov_b32_e32 v6, 0
	s_and_not1_b32 vcc_lo, exec_lo, s25
	s_cbranch_vccnz .LBB382_110
; %bb.107:
	v_dual_mov_b32 v36, s19 :: v_dual_mov_b32 v35, s18
	s_mov_b32 s27, 0
	s_set_inst_prefetch_distance 0x1
	.p2align	6
.LBB382_108:                            ; =>This Inner Loop Header: Depth=1
	s_delay_alu instid0(VALU_DEP_1) | instskip(NEXT) | instid1(VALU_DEP_2)
	v_sub_co_u32 v37, vcc_lo, v35, v5
	v_sub_co_ci_u32_e32 v38, vcc_lo, v36, v6, vcc_lo
	s_delay_alu instid0(VALU_DEP_1) | instskip(SKIP_1) | instid1(VALU_DEP_2)
	v_lshrrev_b64 v[39:40], 1, v[37:38]
	v_lshrrev_b64 v[37:38], 6, v[37:38]
	v_add_co_u32 v2, vcc_lo, v39, v5
	s_delay_alu instid0(VALU_DEP_3) | instskip(NEXT) | instid1(VALU_DEP_2)
	v_add_co_ci_u32_e32 v39, vcc_lo, v40, v6, vcc_lo
	v_add_co_u32 v37, vcc_lo, v2, v37
	s_delay_alu instid0(VALU_DEP_2) | instskip(NEXT) | instid1(VALU_DEP_1)
	v_add_co_ci_u32_e32 v38, vcc_lo, v39, v38, vcc_lo
	v_lshlrev_b64 v[39:40], 3, v[37:38]
	s_delay_alu instid0(VALU_DEP_1) | instskip(NEXT) | instid1(VALU_DEP_2)
	v_add_co_u32 v39, vcc_lo, s16, v39
	v_add_co_ci_u32_e32 v40, vcc_lo, s17, v40, vcc_lo
	v_add_co_u32 v2, vcc_lo, v37, 1
	global_load_b64 v[39:40], v[39:40], off
	s_waitcnt vmcnt(0)
	v_cmp_gt_i64_e64 s15, v[39:40], v[11:12]
	v_add_co_ci_u32_e32 v39, vcc_lo, 0, v38, vcc_lo
	s_delay_alu instid0(VALU_DEP_2) | instskip(SKIP_1) | instid1(VALU_DEP_3)
	v_cndmask_b32_e64 v36, v36, v38, s15
	v_cndmask_b32_e64 v35, v35, v37, s15
	;; [unrolled: 1-line block ×4, first 2 shown]
	s_delay_alu instid0(VALU_DEP_1) | instskip(SKIP_1) | instid1(SALU_CYCLE_1)
	v_cmp_ge_u64_e32 vcc_lo, v[5:6], v[35:36]
	s_or_b32 s27, vcc_lo, s27
	s_and_not1_b32 exec_lo, exec_lo, s27
	s_cbranch_execnz .LBB382_108
; %bb.109:
	s_set_inst_prefetch_distance 0x2
	s_or_b32 exec_lo, exec_lo, s27
.LBB382_110:
	s_delay_alu instid0(SALU_CYCLE_1)
	s_or_b32 exec_lo, exec_lo, s26
                                        ; implicit-def: $vgpr11
	s_and_saveexec_b32 s26, s2
	s_cbranch_execz .LBB382_115
; %bb.111:
	s_waitcnt vmcnt(0) lgkmcnt(0)
	v_mov_b32_e32 v11, 0
	v_mov_b32_e32 v12, 0
	s_and_not1_b32 vcc_lo, exec_lo, s25
	s_cbranch_vccnz .LBB382_115
; %bb.112:
	v_dual_mov_b32 v36, s19 :: v_dual_mov_b32 v35, s18
	s_mov_b32 s27, 0
	s_set_inst_prefetch_distance 0x1
	.p2align	6
.LBB382_113:                            ; =>This Inner Loop Header: Depth=1
	s_delay_alu instid0(VALU_DEP_1) | instskip(NEXT) | instid1(VALU_DEP_2)
	v_sub_co_u32 v37, vcc_lo, v35, v11
	v_sub_co_ci_u32_e32 v38, vcc_lo, v36, v12, vcc_lo
	s_delay_alu instid0(VALU_DEP_1) | instskip(SKIP_1) | instid1(VALU_DEP_2)
	v_lshrrev_b64 v[39:40], 1, v[37:38]
	v_lshrrev_b64 v[37:38], 6, v[37:38]
	v_add_co_u32 v2, vcc_lo, v39, v11
	s_delay_alu instid0(VALU_DEP_3) | instskip(NEXT) | instid1(VALU_DEP_2)
	v_add_co_ci_u32_e32 v6, vcc_lo, v40, v12, vcc_lo
	v_add_co_u32 v37, vcc_lo, v2, v37
	s_delay_alu instid0(VALU_DEP_2) | instskip(NEXT) | instid1(VALU_DEP_1)
	v_add_co_ci_u32_e32 v38, vcc_lo, v6, v38, vcc_lo
	v_lshlrev_b64 v[39:40], 3, v[37:38]
	s_delay_alu instid0(VALU_DEP_1) | instskip(NEXT) | instid1(VALU_DEP_2)
	v_add_co_u32 v39, vcc_lo, s16, v39
	v_add_co_ci_u32_e32 v40, vcc_lo, s17, v40, vcc_lo
	v_add_co_u32 v2, vcc_lo, v37, 1
	v_add_co_ci_u32_e32 v6, vcc_lo, 0, v38, vcc_lo
	global_load_b64 v[39:40], v[39:40], off
	s_waitcnt vmcnt(0)
	v_cmp_gt_i64_e64 s15, v[39:40], v[15:16]
	s_delay_alu instid0(VALU_DEP_1) | instskip(SKIP_3) | instid1(VALU_DEP_1)
	v_cndmask_b32_e64 v36, v36, v38, s15
	v_cndmask_b32_e64 v35, v35, v37, s15
	;; [unrolled: 1-line block ×4, first 2 shown]
	v_cmp_ge_u64_e32 vcc_lo, v[11:12], v[35:36]
	s_or_b32 s27, vcc_lo, s27
	s_delay_alu instid0(SALU_CYCLE_1)
	s_and_not1_b32 exec_lo, exec_lo, s27
	s_cbranch_execnz .LBB382_113
; %bb.114:
	s_set_inst_prefetch_distance 0x2
	s_or_b32 exec_lo, exec_lo, s27
.LBB382_115:
	s_delay_alu instid0(SALU_CYCLE_1)
	s_or_b32 exec_lo, exec_lo, s26
                                        ; implicit-def: $vgpr15
	s_and_saveexec_b32 s26, s3
	s_cbranch_execz .LBB382_120
; %bb.116:
	s_waitcnt vmcnt(0) lgkmcnt(0)
	v_mov_b32_e32 v15, 0
	v_mov_b32_e32 v16, 0
	s_and_not1_b32 vcc_lo, exec_lo, s25
	s_cbranch_vccnz .LBB382_120
; %bb.117:
	v_dual_mov_b32 v36, s19 :: v_dual_mov_b32 v35, s18
	s_mov_b32 s27, 0
	s_set_inst_prefetch_distance 0x1
	.p2align	6
.LBB382_118:                            ; =>This Inner Loop Header: Depth=1
	s_delay_alu instid0(VALU_DEP_1) | instskip(NEXT) | instid1(VALU_DEP_2)
	v_sub_co_u32 v37, vcc_lo, v35, v15
	v_sub_co_ci_u32_e32 v38, vcc_lo, v36, v16, vcc_lo
	s_delay_alu instid0(VALU_DEP_1) | instskip(SKIP_1) | instid1(VALU_DEP_2)
	v_lshrrev_b64 v[39:40], 1, v[37:38]
	v_lshrrev_b64 v[37:38], 6, v[37:38]
	v_add_co_u32 v2, vcc_lo, v39, v15
	s_delay_alu instid0(VALU_DEP_3) | instskip(NEXT) | instid1(VALU_DEP_2)
	v_add_co_ci_u32_e32 v6, vcc_lo, v40, v16, vcc_lo
	v_add_co_u32 v37, vcc_lo, v2, v37
	s_delay_alu instid0(VALU_DEP_2) | instskip(NEXT) | instid1(VALU_DEP_1)
	v_add_co_ci_u32_e32 v38, vcc_lo, v6, v38, vcc_lo
	v_lshlrev_b64 v[39:40], 3, v[37:38]
	s_delay_alu instid0(VALU_DEP_1) | instskip(NEXT) | instid1(VALU_DEP_2)
	v_add_co_u32 v39, vcc_lo, s16, v39
	v_add_co_ci_u32_e32 v40, vcc_lo, s17, v40, vcc_lo
	v_add_co_u32 v2, vcc_lo, v37, 1
	v_add_co_ci_u32_e32 v6, vcc_lo, 0, v38, vcc_lo
	global_load_b64 v[39:40], v[39:40], off
	s_waitcnt vmcnt(0)
	v_cmp_gt_i64_e64 s15, v[39:40], v[19:20]
	s_delay_alu instid0(VALU_DEP_1) | instskip(SKIP_3) | instid1(VALU_DEP_1)
	v_cndmask_b32_e64 v36, v36, v38, s15
	v_cndmask_b32_e64 v35, v35, v37, s15
	;; [unrolled: 1-line block ×4, first 2 shown]
	v_cmp_ge_u64_e32 vcc_lo, v[15:16], v[35:36]
	s_or_b32 s27, vcc_lo, s27
	s_delay_alu instid0(SALU_CYCLE_1)
	s_and_not1_b32 exec_lo, exec_lo, s27
	s_cbranch_execnz .LBB382_118
; %bb.119:
	s_set_inst_prefetch_distance 0x2
	s_or_b32 exec_lo, exec_lo, s27
.LBB382_120:
	s_delay_alu instid0(SALU_CYCLE_1)
	s_or_b32 exec_lo, exec_lo, s26
                                        ; implicit-def: $vgpr19
	s_and_saveexec_b32 s26, s4
	s_cbranch_execz .LBB382_125
; %bb.121:
	s_waitcnt vmcnt(0) lgkmcnt(0)
	v_mov_b32_e32 v19, 0
	v_mov_b32_e32 v20, 0
	s_and_not1_b32 vcc_lo, exec_lo, s25
	s_cbranch_vccnz .LBB382_125
; %bb.122:
	v_dual_mov_b32 v36, s19 :: v_dual_mov_b32 v35, s18
	s_mov_b32 s27, 0
	s_set_inst_prefetch_distance 0x1
	.p2align	6
.LBB382_123:                            ; =>This Inner Loop Header: Depth=1
	s_delay_alu instid0(VALU_DEP_1) | instskip(NEXT) | instid1(VALU_DEP_2)
	v_sub_co_u32 v37, vcc_lo, v35, v19
	v_sub_co_ci_u32_e32 v38, vcc_lo, v36, v20, vcc_lo
	s_delay_alu instid0(VALU_DEP_1) | instskip(SKIP_1) | instid1(VALU_DEP_2)
	v_lshrrev_b64 v[39:40], 1, v[37:38]
	v_lshrrev_b64 v[37:38], 6, v[37:38]
	v_add_co_u32 v2, vcc_lo, v39, v19
	s_delay_alu instid0(VALU_DEP_3) | instskip(NEXT) | instid1(VALU_DEP_2)
	v_add_co_ci_u32_e32 v6, vcc_lo, v40, v20, vcc_lo
	v_add_co_u32 v37, vcc_lo, v2, v37
	s_delay_alu instid0(VALU_DEP_2) | instskip(NEXT) | instid1(VALU_DEP_1)
	v_add_co_ci_u32_e32 v38, vcc_lo, v6, v38, vcc_lo
	v_lshlrev_b64 v[39:40], 3, v[37:38]
	s_delay_alu instid0(VALU_DEP_1) | instskip(NEXT) | instid1(VALU_DEP_2)
	v_add_co_u32 v39, vcc_lo, s16, v39
	v_add_co_ci_u32_e32 v40, vcc_lo, s17, v40, vcc_lo
	v_add_co_u32 v2, vcc_lo, v37, 1
	v_add_co_ci_u32_e32 v6, vcc_lo, 0, v38, vcc_lo
	global_load_b64 v[39:40], v[39:40], off
	s_waitcnt vmcnt(0)
	v_cmp_gt_i64_e64 s15, v[39:40], v[23:24]
	s_delay_alu instid0(VALU_DEP_1) | instskip(SKIP_3) | instid1(VALU_DEP_1)
	v_cndmask_b32_e64 v36, v36, v38, s15
	v_cndmask_b32_e64 v35, v35, v37, s15
	;; [unrolled: 1-line block ×4, first 2 shown]
	v_cmp_ge_u64_e32 vcc_lo, v[19:20], v[35:36]
	s_or_b32 s27, vcc_lo, s27
	s_delay_alu instid0(SALU_CYCLE_1)
	s_and_not1_b32 exec_lo, exec_lo, s27
	s_cbranch_execnz .LBB382_123
; %bb.124:
	s_set_inst_prefetch_distance 0x2
	s_or_b32 exec_lo, exec_lo, s27
.LBB382_125:
	s_delay_alu instid0(SALU_CYCLE_1)
	s_or_b32 exec_lo, exec_lo, s26
                                        ; implicit-def: $vgpr23
	s_and_saveexec_b32 s26, s5
	s_cbranch_execz .LBB382_130
; %bb.126:
	s_waitcnt vmcnt(0) lgkmcnt(0)
	v_mov_b32_e32 v23, 0
	v_mov_b32_e32 v24, 0
	s_and_not1_b32 vcc_lo, exec_lo, s25
	s_cbranch_vccnz .LBB382_130
; %bb.127:
	v_dual_mov_b32 v36, s19 :: v_dual_mov_b32 v35, s18
	s_mov_b32 s27, 0
	s_set_inst_prefetch_distance 0x1
	.p2align	6
.LBB382_128:                            ; =>This Inner Loop Header: Depth=1
	s_delay_alu instid0(VALU_DEP_1) | instskip(NEXT) | instid1(VALU_DEP_2)
	v_sub_co_u32 v37, vcc_lo, v35, v23
	v_sub_co_ci_u32_e32 v38, vcc_lo, v36, v24, vcc_lo
	s_delay_alu instid0(VALU_DEP_1) | instskip(SKIP_1) | instid1(VALU_DEP_2)
	v_lshrrev_b64 v[39:40], 1, v[37:38]
	v_lshrrev_b64 v[37:38], 6, v[37:38]
	v_add_co_u32 v2, vcc_lo, v39, v23
	s_delay_alu instid0(VALU_DEP_3) | instskip(NEXT) | instid1(VALU_DEP_2)
	v_add_co_ci_u32_e32 v6, vcc_lo, v40, v24, vcc_lo
	v_add_co_u32 v37, vcc_lo, v2, v37
	s_delay_alu instid0(VALU_DEP_2) | instskip(NEXT) | instid1(VALU_DEP_1)
	v_add_co_ci_u32_e32 v38, vcc_lo, v6, v38, vcc_lo
	v_lshlrev_b64 v[39:40], 3, v[37:38]
	s_delay_alu instid0(VALU_DEP_1) | instskip(NEXT) | instid1(VALU_DEP_2)
	v_add_co_u32 v39, vcc_lo, s16, v39
	v_add_co_ci_u32_e32 v40, vcc_lo, s17, v40, vcc_lo
	v_add_co_u32 v2, vcc_lo, v37, 1
	v_add_co_ci_u32_e32 v6, vcc_lo, 0, v38, vcc_lo
	global_load_b64 v[39:40], v[39:40], off
	s_waitcnt vmcnt(0)
	v_cmp_gt_i64_e64 s15, v[39:40], v[27:28]
	s_delay_alu instid0(VALU_DEP_1) | instskip(SKIP_3) | instid1(VALU_DEP_1)
	v_cndmask_b32_e64 v36, v36, v38, s15
	v_cndmask_b32_e64 v35, v35, v37, s15
	;; [unrolled: 1-line block ×4, first 2 shown]
	v_cmp_ge_u64_e32 vcc_lo, v[23:24], v[35:36]
	s_or_b32 s27, vcc_lo, s27
	s_delay_alu instid0(SALU_CYCLE_1)
	s_and_not1_b32 exec_lo, exec_lo, s27
	s_cbranch_execnz .LBB382_128
; %bb.129:
	s_set_inst_prefetch_distance 0x2
	s_or_b32 exec_lo, exec_lo, s27
.LBB382_130:
	s_delay_alu instid0(SALU_CYCLE_1)
	s_or_b32 exec_lo, exec_lo, s26
                                        ; implicit-def: $vgpr27
	s_and_saveexec_b32 s26, s6
	s_cbranch_execz .LBB382_135
; %bb.131:
	s_waitcnt vmcnt(0) lgkmcnt(0)
	v_mov_b32_e32 v27, 0
	v_mov_b32_e32 v28, 0
	s_and_not1_b32 vcc_lo, exec_lo, s25
	s_cbranch_vccnz .LBB382_135
; %bb.132:
	v_dual_mov_b32 v36, s19 :: v_dual_mov_b32 v35, s18
	s_mov_b32 s27, 0
	s_set_inst_prefetch_distance 0x1
	.p2align	6
.LBB382_133:                            ; =>This Inner Loop Header: Depth=1
	s_delay_alu instid0(VALU_DEP_1) | instskip(NEXT) | instid1(VALU_DEP_2)
	v_sub_co_u32 v37, vcc_lo, v35, v27
	v_sub_co_ci_u32_e32 v38, vcc_lo, v36, v28, vcc_lo
	s_delay_alu instid0(VALU_DEP_1) | instskip(SKIP_1) | instid1(VALU_DEP_2)
	v_lshrrev_b64 v[39:40], 1, v[37:38]
	v_lshrrev_b64 v[37:38], 6, v[37:38]
	v_add_co_u32 v2, vcc_lo, v39, v27
	s_delay_alu instid0(VALU_DEP_3) | instskip(NEXT) | instid1(VALU_DEP_2)
	v_add_co_ci_u32_e32 v6, vcc_lo, v40, v28, vcc_lo
	v_add_co_u32 v37, vcc_lo, v2, v37
	s_delay_alu instid0(VALU_DEP_2) | instskip(NEXT) | instid1(VALU_DEP_1)
	v_add_co_ci_u32_e32 v38, vcc_lo, v6, v38, vcc_lo
	v_lshlrev_b64 v[39:40], 3, v[37:38]
	s_delay_alu instid0(VALU_DEP_1) | instskip(NEXT) | instid1(VALU_DEP_2)
	v_add_co_u32 v39, vcc_lo, s16, v39
	v_add_co_ci_u32_e32 v40, vcc_lo, s17, v40, vcc_lo
	v_add_co_u32 v2, vcc_lo, v37, 1
	v_add_co_ci_u32_e32 v6, vcc_lo, 0, v38, vcc_lo
	global_load_b64 v[39:40], v[39:40], off
	s_waitcnt vmcnt(0)
	v_cmp_gt_i64_e64 s15, v[39:40], v[31:32]
	s_delay_alu instid0(VALU_DEP_1) | instskip(SKIP_3) | instid1(VALU_DEP_1)
	v_cndmask_b32_e64 v36, v36, v38, s15
	v_cndmask_b32_e64 v35, v35, v37, s15
	;; [unrolled: 1-line block ×4, first 2 shown]
	v_cmp_ge_u64_e32 vcc_lo, v[27:28], v[35:36]
	s_or_b32 s27, vcc_lo, s27
	s_delay_alu instid0(SALU_CYCLE_1)
	s_and_not1_b32 exec_lo, exec_lo, s27
	s_cbranch_execnz .LBB382_133
; %bb.134:
	s_set_inst_prefetch_distance 0x2
	s_or_b32 exec_lo, exec_lo, s27
.LBB382_135:
	s_delay_alu instid0(SALU_CYCLE_1)
	s_or_b32 exec_lo, exec_lo, s26
                                        ; implicit-def: $vgpr31
	s_and_saveexec_b32 s26, s7
	s_cbranch_execz .LBB382_140
; %bb.136:
	s_waitcnt vmcnt(0) lgkmcnt(0)
	v_mov_b32_e32 v31, 0
	v_mov_b32_e32 v32, 0
	s_and_not1_b32 vcc_lo, exec_lo, s25
	s_cbranch_vccnz .LBB382_140
; %bb.137:
	v_dual_mov_b32 v36, s19 :: v_dual_mov_b32 v35, s18
	s_mov_b32 s27, 0
	s_set_inst_prefetch_distance 0x1
	.p2align	6
.LBB382_138:                            ; =>This Inner Loop Header: Depth=1
	s_delay_alu instid0(VALU_DEP_1) | instskip(NEXT) | instid1(VALU_DEP_2)
	v_sub_co_u32 v37, vcc_lo, v35, v31
	v_sub_co_ci_u32_e32 v38, vcc_lo, v36, v32, vcc_lo
	s_delay_alu instid0(VALU_DEP_1) | instskip(SKIP_1) | instid1(VALU_DEP_2)
	v_lshrrev_b64 v[39:40], 1, v[37:38]
	v_lshrrev_b64 v[37:38], 6, v[37:38]
	v_add_co_u32 v2, vcc_lo, v39, v31
	s_delay_alu instid0(VALU_DEP_3) | instskip(NEXT) | instid1(VALU_DEP_2)
	v_add_co_ci_u32_e32 v6, vcc_lo, v40, v32, vcc_lo
	v_add_co_u32 v37, vcc_lo, v2, v37
	s_delay_alu instid0(VALU_DEP_2) | instskip(NEXT) | instid1(VALU_DEP_1)
	v_add_co_ci_u32_e32 v38, vcc_lo, v6, v38, vcc_lo
	v_lshlrev_b64 v[39:40], 3, v[37:38]
	s_delay_alu instid0(VALU_DEP_1) | instskip(NEXT) | instid1(VALU_DEP_2)
	v_add_co_u32 v39, vcc_lo, s16, v39
	v_add_co_ci_u32_e32 v40, vcc_lo, s17, v40, vcc_lo
	v_add_co_u32 v2, vcc_lo, v37, 1
	v_add_co_ci_u32_e32 v6, vcc_lo, 0, v38, vcc_lo
	global_load_b64 v[39:40], v[39:40], off
	s_waitcnt vmcnt(0)
	v_cmp_gt_i64_e64 s15, v[39:40], v[33:34]
	s_delay_alu instid0(VALU_DEP_1) | instskip(SKIP_3) | instid1(VALU_DEP_1)
	v_cndmask_b32_e64 v36, v36, v38, s15
	v_cndmask_b32_e64 v35, v35, v37, s15
	;; [unrolled: 1-line block ×4, first 2 shown]
	v_cmp_ge_u64_e32 vcc_lo, v[31:32], v[35:36]
	s_or_b32 s27, vcc_lo, s27
	s_delay_alu instid0(SALU_CYCLE_1)
	s_and_not1_b32 exec_lo, exec_lo, s27
	s_cbranch_execnz .LBB382_138
; %bb.139:
	s_set_inst_prefetch_distance 0x2
	s_or_b32 exec_lo, exec_lo, s27
.LBB382_140:
	s_delay_alu instid0(SALU_CYCLE_1)
	s_or_b32 exec_lo, exec_lo, s26
                                        ; implicit-def: $vgpr32
	s_and_saveexec_b32 s26, s8
	s_cbranch_execz .LBB382_145
; %bb.141:
	s_waitcnt vmcnt(0) lgkmcnt(0)
	v_mov_b32_e32 v32, 0
	v_mov_b32_e32 v33, 0
	s_and_not1_b32 vcc_lo, exec_lo, s25
	s_cbranch_vccnz .LBB382_145
; %bb.142:
	v_dual_mov_b32 v35, s19 :: v_dual_mov_b32 v34, s18
	s_mov_b32 s27, 0
	s_set_inst_prefetch_distance 0x1
	.p2align	6
.LBB382_143:                            ; =>This Inner Loop Header: Depth=1
	s_delay_alu instid0(VALU_DEP_1) | instskip(NEXT) | instid1(VALU_DEP_2)
	v_sub_co_u32 v36, vcc_lo, v34, v32
	v_sub_co_ci_u32_e32 v37, vcc_lo, v35, v33, vcc_lo
	s_delay_alu instid0(VALU_DEP_1) | instskip(SKIP_1) | instid1(VALU_DEP_2)
	v_lshrrev_b64 v[38:39], 1, v[36:37]
	v_lshrrev_b64 v[36:37], 6, v[36:37]
	v_add_co_u32 v2, vcc_lo, v38, v32
	s_delay_alu instid0(VALU_DEP_3) | instskip(NEXT) | instid1(VALU_DEP_2)
	v_add_co_ci_u32_e32 v6, vcc_lo, v39, v33, vcc_lo
	v_add_co_u32 v36, vcc_lo, v2, v36
	s_delay_alu instid0(VALU_DEP_2) | instskip(NEXT) | instid1(VALU_DEP_1)
	v_add_co_ci_u32_e32 v37, vcc_lo, v6, v37, vcc_lo
	v_lshlrev_b64 v[38:39], 3, v[36:37]
	s_delay_alu instid0(VALU_DEP_1) | instskip(NEXT) | instid1(VALU_DEP_2)
	v_add_co_u32 v38, vcc_lo, s16, v38
	v_add_co_ci_u32_e32 v39, vcc_lo, s17, v39, vcc_lo
	v_add_co_u32 v2, vcc_lo, v36, 1
	v_add_co_ci_u32_e32 v6, vcc_lo, 0, v37, vcc_lo
	global_load_b64 v[38:39], v[38:39], off
	s_waitcnt vmcnt(0)
	v_cmp_gt_i64_e64 s15, v[38:39], v[29:30]
	s_delay_alu instid0(VALU_DEP_1) | instskip(SKIP_3) | instid1(VALU_DEP_1)
	v_cndmask_b32_e64 v35, v35, v37, s15
	v_cndmask_b32_e64 v34, v34, v36, s15
	;; [unrolled: 1-line block ×4, first 2 shown]
	v_cmp_ge_u64_e32 vcc_lo, v[32:33], v[34:35]
	s_or_b32 s27, vcc_lo, s27
	s_delay_alu instid0(SALU_CYCLE_1)
	s_and_not1_b32 exec_lo, exec_lo, s27
	s_cbranch_execnz .LBB382_143
; %bb.144:
	s_set_inst_prefetch_distance 0x2
	s_or_b32 exec_lo, exec_lo, s27
.LBB382_145:
	s_delay_alu instid0(SALU_CYCLE_1)
	s_or_b32 exec_lo, exec_lo, s26
                                        ; implicit-def: $vgpr28
	s_and_saveexec_b32 s26, s9
	s_cbranch_execz .LBB382_150
; %bb.146:
	s_waitcnt vmcnt(0) lgkmcnt(0)
	v_mov_b32_e32 v28, 0
	v_mov_b32_e32 v29, 0
	s_and_not1_b32 vcc_lo, exec_lo, s25
	s_cbranch_vccnz .LBB382_150
; %bb.147:
	v_dual_mov_b32 v34, s19 :: v_dual_mov_b32 v33, s18
	s_mov_b32 s27, 0
	s_set_inst_prefetch_distance 0x1
	.p2align	6
.LBB382_148:                            ; =>This Inner Loop Header: Depth=1
	s_delay_alu instid0(VALU_DEP_1) | instskip(NEXT) | instid1(VALU_DEP_2)
	v_sub_co_u32 v35, vcc_lo, v33, v28
	v_sub_co_ci_u32_e32 v36, vcc_lo, v34, v29, vcc_lo
	s_delay_alu instid0(VALU_DEP_1) | instskip(SKIP_1) | instid1(VALU_DEP_2)
	v_lshrrev_b64 v[37:38], 1, v[35:36]
	v_lshrrev_b64 v[35:36], 6, v[35:36]
	v_add_co_u32 v2, vcc_lo, v37, v28
	s_delay_alu instid0(VALU_DEP_3) | instskip(NEXT) | instid1(VALU_DEP_2)
	v_add_co_ci_u32_e32 v6, vcc_lo, v38, v29, vcc_lo
	v_add_co_u32 v35, vcc_lo, v2, v35
	s_delay_alu instid0(VALU_DEP_2) | instskip(NEXT) | instid1(VALU_DEP_1)
	v_add_co_ci_u32_e32 v36, vcc_lo, v6, v36, vcc_lo
	v_lshlrev_b64 v[37:38], 3, v[35:36]
	s_delay_alu instid0(VALU_DEP_1) | instskip(NEXT) | instid1(VALU_DEP_2)
	v_add_co_u32 v37, vcc_lo, s16, v37
	v_add_co_ci_u32_e32 v38, vcc_lo, s17, v38, vcc_lo
	v_add_co_u32 v2, vcc_lo, v35, 1
	v_add_co_ci_u32_e32 v6, vcc_lo, 0, v36, vcc_lo
	global_load_b64 v[37:38], v[37:38], off
	s_waitcnt vmcnt(0)
	v_cmp_gt_i64_e64 s15, v[37:38], v[25:26]
	s_delay_alu instid0(VALU_DEP_1) | instskip(SKIP_3) | instid1(VALU_DEP_1)
	v_cndmask_b32_e64 v34, v34, v36, s15
	v_cndmask_b32_e64 v33, v33, v35, s15
	v_cndmask_b32_e64 v29, v6, v29, s15
	v_cndmask_b32_e64 v28, v2, v28, s15
	v_cmp_ge_u64_e32 vcc_lo, v[28:29], v[33:34]
	s_or_b32 s27, vcc_lo, s27
	s_delay_alu instid0(SALU_CYCLE_1)
	s_and_not1_b32 exec_lo, exec_lo, s27
	s_cbranch_execnz .LBB382_148
; %bb.149:
	s_set_inst_prefetch_distance 0x2
	s_or_b32 exec_lo, exec_lo, s27
.LBB382_150:
	s_delay_alu instid0(SALU_CYCLE_1)
	s_or_b32 exec_lo, exec_lo, s26
                                        ; implicit-def: $vgpr24
	s_and_saveexec_b32 s26, s10
	s_cbranch_execz .LBB382_155
; %bb.151:
	s_waitcnt vmcnt(0) lgkmcnt(0)
	v_mov_b32_e32 v24, 0
	v_mov_b32_e32 v25, 0
	s_and_not1_b32 vcc_lo, exec_lo, s25
	s_cbranch_vccnz .LBB382_155
; %bb.152:
	v_dual_mov_b32 v30, s19 :: v_dual_mov_b32 v29, s18
	s_mov_b32 s27, 0
	s_set_inst_prefetch_distance 0x1
	.p2align	6
.LBB382_153:                            ; =>This Inner Loop Header: Depth=1
	s_delay_alu instid0(VALU_DEP_1) | instskip(NEXT) | instid1(VALU_DEP_2)
	v_sub_co_u32 v33, vcc_lo, v29, v24
	v_sub_co_ci_u32_e32 v34, vcc_lo, v30, v25, vcc_lo
	s_delay_alu instid0(VALU_DEP_1) | instskip(SKIP_1) | instid1(VALU_DEP_2)
	v_lshrrev_b64 v[35:36], 1, v[33:34]
	v_lshrrev_b64 v[33:34], 6, v[33:34]
	v_add_co_u32 v2, vcc_lo, v35, v24
	s_delay_alu instid0(VALU_DEP_3) | instskip(NEXT) | instid1(VALU_DEP_2)
	v_add_co_ci_u32_e32 v6, vcc_lo, v36, v25, vcc_lo
	v_add_co_u32 v33, vcc_lo, v2, v33
	s_delay_alu instid0(VALU_DEP_2) | instskip(NEXT) | instid1(VALU_DEP_1)
	v_add_co_ci_u32_e32 v34, vcc_lo, v6, v34, vcc_lo
	v_lshlrev_b64 v[35:36], 3, v[33:34]
	s_delay_alu instid0(VALU_DEP_1) | instskip(NEXT) | instid1(VALU_DEP_2)
	v_add_co_u32 v35, vcc_lo, s16, v35
	v_add_co_ci_u32_e32 v36, vcc_lo, s17, v36, vcc_lo
	v_add_co_u32 v2, vcc_lo, v33, 1
	v_add_co_ci_u32_e32 v6, vcc_lo, 0, v34, vcc_lo
	global_load_b64 v[35:36], v[35:36], off
	s_waitcnt vmcnt(0)
	v_cmp_gt_i64_e64 s15, v[35:36], v[21:22]
	s_delay_alu instid0(VALU_DEP_1) | instskip(SKIP_3) | instid1(VALU_DEP_1)
	v_cndmask_b32_e64 v30, v30, v34, s15
	v_cndmask_b32_e64 v29, v29, v33, s15
	;; [unrolled: 1-line block ×4, first 2 shown]
	v_cmp_ge_u64_e32 vcc_lo, v[24:25], v[29:30]
	s_or_b32 s27, vcc_lo, s27
	s_delay_alu instid0(SALU_CYCLE_1)
	s_and_not1_b32 exec_lo, exec_lo, s27
	s_cbranch_execnz .LBB382_153
; %bb.154:
	s_set_inst_prefetch_distance 0x2
	s_or_b32 exec_lo, exec_lo, s27
.LBB382_155:
	s_delay_alu instid0(SALU_CYCLE_1)
	s_or_b32 exec_lo, exec_lo, s26
                                        ; implicit-def: $vgpr20
	s_and_saveexec_b32 s26, s11
	s_cbranch_execz .LBB382_160
; %bb.156:
	s_waitcnt vmcnt(0) lgkmcnt(0)
	v_mov_b32_e32 v20, 0
	v_mov_b32_e32 v21, 0
	s_and_not1_b32 vcc_lo, exec_lo, s25
	s_cbranch_vccnz .LBB382_160
; %bb.157:
	v_dual_mov_b32 v26, s19 :: v_dual_mov_b32 v25, s18
	s_mov_b32 s27, 0
	s_set_inst_prefetch_distance 0x1
	.p2align	6
.LBB382_158:                            ; =>This Inner Loop Header: Depth=1
	s_delay_alu instid0(VALU_DEP_1) | instskip(NEXT) | instid1(VALU_DEP_2)
	v_sub_co_u32 v29, vcc_lo, v25, v20
	v_sub_co_ci_u32_e32 v30, vcc_lo, v26, v21, vcc_lo
	s_delay_alu instid0(VALU_DEP_1) | instskip(SKIP_1) | instid1(VALU_DEP_2)
	v_lshrrev_b64 v[33:34], 1, v[29:30]
	v_lshrrev_b64 v[29:30], 6, v[29:30]
	v_add_co_u32 v2, vcc_lo, v33, v20
	s_delay_alu instid0(VALU_DEP_3) | instskip(NEXT) | instid1(VALU_DEP_2)
	v_add_co_ci_u32_e32 v6, vcc_lo, v34, v21, vcc_lo
	v_add_co_u32 v29, vcc_lo, v2, v29
	s_delay_alu instid0(VALU_DEP_2) | instskip(NEXT) | instid1(VALU_DEP_1)
	v_add_co_ci_u32_e32 v30, vcc_lo, v6, v30, vcc_lo
	v_lshlrev_b64 v[33:34], 3, v[29:30]
	s_delay_alu instid0(VALU_DEP_1) | instskip(NEXT) | instid1(VALU_DEP_2)
	v_add_co_u32 v33, vcc_lo, s16, v33
	v_add_co_ci_u32_e32 v34, vcc_lo, s17, v34, vcc_lo
	v_add_co_u32 v2, vcc_lo, v29, 1
	v_add_co_ci_u32_e32 v6, vcc_lo, 0, v30, vcc_lo
	global_load_b64 v[33:34], v[33:34], off
	s_waitcnt vmcnt(0)
	v_cmp_gt_i64_e64 s15, v[33:34], v[17:18]
	s_delay_alu instid0(VALU_DEP_1) | instskip(SKIP_3) | instid1(VALU_DEP_1)
	v_cndmask_b32_e64 v26, v26, v30, s15
	v_cndmask_b32_e64 v25, v25, v29, s15
	;; [unrolled: 1-line block ×4, first 2 shown]
	v_cmp_ge_u64_e32 vcc_lo, v[20:21], v[25:26]
	s_or_b32 s27, vcc_lo, s27
	s_delay_alu instid0(SALU_CYCLE_1)
	s_and_not1_b32 exec_lo, exec_lo, s27
	s_cbranch_execnz .LBB382_158
; %bb.159:
	s_set_inst_prefetch_distance 0x2
	s_or_b32 exec_lo, exec_lo, s27
.LBB382_160:
	s_delay_alu instid0(SALU_CYCLE_1)
	s_or_b32 exec_lo, exec_lo, s26
                                        ; implicit-def: $vgpr16
	s_and_saveexec_b32 s26, s12
	s_cbranch_execz .LBB382_165
; %bb.161:
	s_waitcnt vmcnt(0) lgkmcnt(0)
	v_mov_b32_e32 v16, 0
	v_mov_b32_e32 v17, 0
	s_and_not1_b32 vcc_lo, exec_lo, s25
	s_cbranch_vccnz .LBB382_165
; %bb.162:
	v_dual_mov_b32 v22, s19 :: v_dual_mov_b32 v21, s18
	s_mov_b32 s27, 0
	s_set_inst_prefetch_distance 0x1
	.p2align	6
.LBB382_163:                            ; =>This Inner Loop Header: Depth=1
	s_delay_alu instid0(VALU_DEP_1) | instskip(NEXT) | instid1(VALU_DEP_2)
	v_sub_co_u32 v25, vcc_lo, v21, v16
	v_sub_co_ci_u32_e32 v26, vcc_lo, v22, v17, vcc_lo
	s_delay_alu instid0(VALU_DEP_1) | instskip(SKIP_1) | instid1(VALU_DEP_2)
	v_lshrrev_b64 v[29:30], 1, v[25:26]
	v_lshrrev_b64 v[25:26], 6, v[25:26]
	v_add_co_u32 v2, vcc_lo, v29, v16
	s_delay_alu instid0(VALU_DEP_3) | instskip(NEXT) | instid1(VALU_DEP_2)
	v_add_co_ci_u32_e32 v6, vcc_lo, v30, v17, vcc_lo
	v_add_co_u32 v25, vcc_lo, v2, v25
	s_delay_alu instid0(VALU_DEP_2) | instskip(NEXT) | instid1(VALU_DEP_1)
	v_add_co_ci_u32_e32 v26, vcc_lo, v6, v26, vcc_lo
	v_lshlrev_b64 v[29:30], 3, v[25:26]
	s_delay_alu instid0(VALU_DEP_1) | instskip(NEXT) | instid1(VALU_DEP_2)
	v_add_co_u32 v29, vcc_lo, s16, v29
	v_add_co_ci_u32_e32 v30, vcc_lo, s17, v30, vcc_lo
	v_add_co_u32 v2, vcc_lo, v25, 1
	v_add_co_ci_u32_e32 v6, vcc_lo, 0, v26, vcc_lo
	global_load_b64 v[29:30], v[29:30], off
	s_waitcnt vmcnt(0)
	v_cmp_gt_i64_e64 s15, v[29:30], v[13:14]
	s_delay_alu instid0(VALU_DEP_1) | instskip(SKIP_3) | instid1(VALU_DEP_1)
	v_cndmask_b32_e64 v22, v22, v26, s15
	v_cndmask_b32_e64 v21, v21, v25, s15
	;; [unrolled: 1-line block ×4, first 2 shown]
	v_cmp_ge_u64_e32 vcc_lo, v[16:17], v[21:22]
	s_or_b32 s27, vcc_lo, s27
	s_delay_alu instid0(SALU_CYCLE_1)
	s_and_not1_b32 exec_lo, exec_lo, s27
	s_cbranch_execnz .LBB382_163
; %bb.164:
	s_set_inst_prefetch_distance 0x2
	s_or_b32 exec_lo, exec_lo, s27
.LBB382_165:
	s_delay_alu instid0(SALU_CYCLE_1)
	s_or_b32 exec_lo, exec_lo, s26
                                        ; implicit-def: $vgpr12
	s_and_saveexec_b32 s26, s13
	s_cbranch_execz .LBB382_170
; %bb.166:
	s_waitcnt vmcnt(0) lgkmcnt(0)
	v_mov_b32_e32 v12, 0
	v_mov_b32_e32 v13, 0
	s_and_not1_b32 vcc_lo, exec_lo, s25
	s_cbranch_vccnz .LBB382_170
; %bb.167:
	v_dual_mov_b32 v17, s18 :: v_dual_mov_b32 v18, s19
	s_mov_b32 s27, 0
	s_set_inst_prefetch_distance 0x1
	.p2align	6
.LBB382_168:                            ; =>This Inner Loop Header: Depth=1
	s_delay_alu instid0(VALU_DEP_1) | instskip(NEXT) | instid1(VALU_DEP_2)
	v_sub_co_u32 v21, vcc_lo, v17, v12
	v_sub_co_ci_u32_e32 v22, vcc_lo, v18, v13, vcc_lo
	s_delay_alu instid0(VALU_DEP_1) | instskip(SKIP_1) | instid1(VALU_DEP_2)
	v_lshrrev_b64 v[25:26], 1, v[21:22]
	v_lshrrev_b64 v[21:22], 6, v[21:22]
	v_add_co_u32 v2, vcc_lo, v25, v12
	s_delay_alu instid0(VALU_DEP_3) | instskip(NEXT) | instid1(VALU_DEP_2)
	v_add_co_ci_u32_e32 v6, vcc_lo, v26, v13, vcc_lo
	v_add_co_u32 v21, vcc_lo, v2, v21
	s_delay_alu instid0(VALU_DEP_2) | instskip(NEXT) | instid1(VALU_DEP_1)
	v_add_co_ci_u32_e32 v22, vcc_lo, v6, v22, vcc_lo
	v_lshlrev_b64 v[25:26], 3, v[21:22]
	s_delay_alu instid0(VALU_DEP_1) | instskip(NEXT) | instid1(VALU_DEP_2)
	v_add_co_u32 v25, vcc_lo, s16, v25
	v_add_co_ci_u32_e32 v26, vcc_lo, s17, v26, vcc_lo
	v_add_co_u32 v2, vcc_lo, v21, 1
	v_add_co_ci_u32_e32 v6, vcc_lo, 0, v22, vcc_lo
	global_load_b64 v[25:26], v[25:26], off
	s_waitcnt vmcnt(0)
	v_cmp_gt_i64_e64 s15, v[25:26], v[9:10]
	s_delay_alu instid0(VALU_DEP_1) | instskip(SKIP_3) | instid1(VALU_DEP_1)
	v_cndmask_b32_e64 v18, v18, v22, s15
	v_cndmask_b32_e64 v17, v17, v21, s15
	;; [unrolled: 1-line block ×4, first 2 shown]
	v_cmp_ge_u64_e32 vcc_lo, v[12:13], v[17:18]
	s_or_b32 s27, vcc_lo, s27
	s_delay_alu instid0(SALU_CYCLE_1)
	s_and_not1_b32 exec_lo, exec_lo, s27
	s_cbranch_execnz .LBB382_168
; %bb.169:
	s_set_inst_prefetch_distance 0x2
	s_or_b32 exec_lo, exec_lo, s27
.LBB382_170:
	s_delay_alu instid0(SALU_CYCLE_1)
	s_or_b32 exec_lo, exec_lo, s26
                                        ; implicit-def: $vgpr9
	s_and_saveexec_b32 s26, s14
	s_cbranch_execz .LBB382_175
; %bb.171:
	s_waitcnt vmcnt(0) lgkmcnt(0)
	v_mov_b32_e32 v9, 0
	v_mov_b32_e32 v10, 0
	s_and_not1_b32 vcc_lo, exec_lo, s25
	s_cbranch_vccnz .LBB382_175
; %bb.172:
	v_dual_mov_b32 v13, s18 :: v_dual_mov_b32 v14, s19
	s_mov_b32 s27, 0
	s_set_inst_prefetch_distance 0x1
	.p2align	6
.LBB382_173:                            ; =>This Inner Loop Header: Depth=1
	s_delay_alu instid0(VALU_DEP_1) | instskip(NEXT) | instid1(VALU_DEP_2)
	v_sub_co_u32 v17, vcc_lo, v13, v9
	v_sub_co_ci_u32_e32 v18, vcc_lo, v14, v10, vcc_lo
	s_delay_alu instid0(VALU_DEP_1) | instskip(SKIP_1) | instid1(VALU_DEP_2)
	v_lshrrev_b64 v[21:22], 1, v[17:18]
	v_lshrrev_b64 v[17:18], 6, v[17:18]
	v_add_co_u32 v2, vcc_lo, v21, v9
	s_delay_alu instid0(VALU_DEP_3) | instskip(NEXT) | instid1(VALU_DEP_2)
	v_add_co_ci_u32_e32 v6, vcc_lo, v22, v10, vcc_lo
	v_add_co_u32 v17, vcc_lo, v2, v17
	s_delay_alu instid0(VALU_DEP_2) | instskip(NEXT) | instid1(VALU_DEP_1)
	v_add_co_ci_u32_e32 v18, vcc_lo, v6, v18, vcc_lo
	v_lshlrev_b64 v[21:22], 3, v[17:18]
	s_delay_alu instid0(VALU_DEP_1) | instskip(NEXT) | instid1(VALU_DEP_2)
	v_add_co_u32 v21, vcc_lo, s16, v21
	v_add_co_ci_u32_e32 v22, vcc_lo, s17, v22, vcc_lo
	v_add_co_u32 v2, vcc_lo, v17, 1
	v_add_co_ci_u32_e32 v6, vcc_lo, 0, v18, vcc_lo
	global_load_b64 v[21:22], v[21:22], off
	s_waitcnt vmcnt(0)
	v_cmp_gt_i64_e64 s15, v[21:22], v[7:8]
	s_delay_alu instid0(VALU_DEP_1) | instskip(SKIP_3) | instid1(VALU_DEP_1)
	v_cndmask_b32_e64 v14, v14, v18, s15
	v_cndmask_b32_e64 v13, v13, v17, s15
	;; [unrolled: 1-line block ×4, first 2 shown]
	v_cmp_ge_u64_e32 vcc_lo, v[9:10], v[13:14]
	s_or_b32 s27, vcc_lo, s27
	s_delay_alu instid0(SALU_CYCLE_1)
	s_and_not1_b32 exec_lo, exec_lo, s27
	s_cbranch_execnz .LBB382_173
; %bb.174:
	s_set_inst_prefetch_distance 0x2
	s_or_b32 exec_lo, exec_lo, s27
.LBB382_175:
	s_delay_alu instid0(SALU_CYCLE_1)
	s_or_b32 exec_lo, exec_lo, s26
                                        ; implicit-def: $vgpr6
	s_and_saveexec_b32 s26, s24
	s_cbranch_execz .LBB382_180
; %bb.176:
	s_waitcnt vmcnt(0) lgkmcnt(0)
	v_mov_b32_e32 v6, 0
	v_mov_b32_e32 v7, 0
	s_and_not1_b32 vcc_lo, exec_lo, s25
	s_cbranch_vccnz .LBB382_180
; %bb.177:
	v_dual_mov_b32 v13, s18 :: v_dual_mov_b32 v14, s19
	s_mov_b32 s18, 0
	s_set_inst_prefetch_distance 0x1
	.p2align	6
.LBB382_178:                            ; =>This Inner Loop Header: Depth=1
	s_delay_alu instid0(VALU_DEP_1) | instskip(NEXT) | instid1(VALU_DEP_2)
	v_sub_co_u32 v17, vcc_lo, v13, v6
	v_sub_co_ci_u32_e32 v18, vcc_lo, v14, v7, vcc_lo
	s_delay_alu instid0(VALU_DEP_1) | instskip(SKIP_1) | instid1(VALU_DEP_2)
	v_lshrrev_b64 v[21:22], 1, v[17:18]
	v_lshrrev_b64 v[17:18], 6, v[17:18]
	v_add_co_u32 v2, vcc_lo, v21, v6
	s_delay_alu instid0(VALU_DEP_3) | instskip(NEXT) | instid1(VALU_DEP_2)
	v_add_co_ci_u32_e32 v8, vcc_lo, v22, v7, vcc_lo
	v_add_co_u32 v17, vcc_lo, v2, v17
	s_delay_alu instid0(VALU_DEP_2) | instskip(NEXT) | instid1(VALU_DEP_1)
	v_add_co_ci_u32_e32 v18, vcc_lo, v8, v18, vcc_lo
	v_lshlrev_b64 v[21:22], 3, v[17:18]
	s_delay_alu instid0(VALU_DEP_1) | instskip(NEXT) | instid1(VALU_DEP_2)
	v_add_co_u32 v21, vcc_lo, s16, v21
	v_add_co_ci_u32_e32 v22, vcc_lo, s17, v22, vcc_lo
	v_add_co_u32 v2, vcc_lo, v17, 1
	v_add_co_ci_u32_e32 v8, vcc_lo, 0, v18, vcc_lo
	global_load_b64 v[21:22], v[21:22], off
	s_waitcnt vmcnt(0)
	v_cmp_gt_i64_e64 s15, v[21:22], v[3:4]
	s_delay_alu instid0(VALU_DEP_1) | instskip(SKIP_3) | instid1(VALU_DEP_1)
	v_cndmask_b32_e64 v14, v14, v18, s15
	v_cndmask_b32_e64 v13, v13, v17, s15
	;; [unrolled: 1-line block ×4, first 2 shown]
	v_cmp_ge_u64_e32 vcc_lo, v[6:7], v[13:14]
	s_or_b32 s18, vcc_lo, s18
	s_delay_alu instid0(SALU_CYCLE_1)
	s_and_not1_b32 exec_lo, exec_lo, s18
	s_cbranch_execnz .LBB382_178
; %bb.179:
	s_set_inst_prefetch_distance 0x2
	s_or_b32 exec_lo, exec_lo, s18
.LBB382_180:
	s_delay_alu instid0(SALU_CYCLE_1) | instskip(SKIP_2) | instid1(SALU_CYCLE_1)
	s_or_b32 exec_lo, exec_lo, s26
	v_lshlrev_b32_e32 v0, 2, v0
	s_lshl_b64 s[16:17], s[20:21], 2
	s_add_u32 s15, s22, s16
	s_addc_u32 s16, s23, s17
	s_delay_alu instid0(VALU_DEP_1) | instskip(SKIP_3) | instid1(SALU_CYCLE_1)
	v_add_co_u32 v2, s15, s15, v0
	s_waitcnt vmcnt(0) lgkmcnt(0)
	v_add_co_ci_u32_e64 v3, null, s16, 0, s15
	s_and_saveexec_b32 s15, s0
	s_xor_b32 s0, exec_lo, s15
	s_cbranch_execnz .LBB382_200
; %bb.181:
	s_or_b32 exec_lo, exec_lo, s0
	s_and_saveexec_b32 s0, s1
	s_cbranch_execnz .LBB382_201
.LBB382_182:
	s_or_b32 exec_lo, exec_lo, s0
	s_and_saveexec_b32 s0, s2
	s_cbranch_execnz .LBB382_202
.LBB382_183:
	s_or_b32 exec_lo, exec_lo, s0
	s_and_saveexec_b32 s0, s3
	s_cbranch_execnz .LBB382_203
.LBB382_184:
	s_or_b32 exec_lo, exec_lo, s0
	s_and_saveexec_b32 s0, s4
	s_cbranch_execnz .LBB382_204
.LBB382_185:
	s_or_b32 exec_lo, exec_lo, s0
	s_and_saveexec_b32 s0, s5
	s_cbranch_execnz .LBB382_205
.LBB382_186:
	s_or_b32 exec_lo, exec_lo, s0
	s_and_saveexec_b32 s0, s6
	s_cbranch_execnz .LBB382_206
.LBB382_187:
	s_or_b32 exec_lo, exec_lo, s0
	s_and_saveexec_b32 s0, s7
	s_cbranch_execnz .LBB382_207
.LBB382_188:
	s_or_b32 exec_lo, exec_lo, s0
	s_and_saveexec_b32 s0, s8
	s_cbranch_execnz .LBB382_208
.LBB382_189:
	s_or_b32 exec_lo, exec_lo, s0
	s_and_saveexec_b32 s0, s9
	s_cbranch_execnz .LBB382_209
.LBB382_190:
	s_or_b32 exec_lo, exec_lo, s0
	s_and_saveexec_b32 s0, s10
	s_cbranch_execnz .LBB382_210
.LBB382_191:
	s_or_b32 exec_lo, exec_lo, s0
	s_and_saveexec_b32 s0, s11
	s_cbranch_execnz .LBB382_211
.LBB382_192:
	s_or_b32 exec_lo, exec_lo, s0
	s_and_saveexec_b32 s0, s12
	s_cbranch_execnz .LBB382_212
.LBB382_193:
	s_or_b32 exec_lo, exec_lo, s0
	s_and_saveexec_b32 s0, s13
	s_cbranch_execnz .LBB382_213
.LBB382_194:
	s_or_b32 exec_lo, exec_lo, s0
	s_and_saveexec_b32 s0, s14
	s_cbranch_execz .LBB382_196
.LBB382_195:
	flat_store_b32 v[2:3], v9 offset:3584
.LBB382_196:
	s_or_b32 exec_lo, exec_lo, s0
.LBB382_197:
	s_and_saveexec_b32 s0, s24
	s_cbranch_execnz .LBB382_199
; %bb.198:
	s_endpgm
.LBB382_199:
	flat_store_b32 v[2:3], v6 offset:3840
	s_endpgm
.LBB382_200:
	flat_store_b32 v[2:3], v1
	s_or_b32 exec_lo, exec_lo, s0
	s_and_saveexec_b32 s0, s1
	s_cbranch_execz .LBB382_182
.LBB382_201:
	flat_store_b32 v[2:3], v5 offset:256
	s_or_b32 exec_lo, exec_lo, s0
	s_and_saveexec_b32 s0, s2
	s_cbranch_execz .LBB382_183
.LBB382_202:
	flat_store_b32 v[2:3], v11 offset:512
	s_or_b32 exec_lo, exec_lo, s0
	s_and_saveexec_b32 s0, s3
	s_cbranch_execz .LBB382_184
.LBB382_203:
	flat_store_b32 v[2:3], v15 offset:768
	s_or_b32 exec_lo, exec_lo, s0
	s_and_saveexec_b32 s0, s4
	s_cbranch_execz .LBB382_185
.LBB382_204:
	flat_store_b32 v[2:3], v19 offset:1024
	s_or_b32 exec_lo, exec_lo, s0
	s_and_saveexec_b32 s0, s5
	s_cbranch_execz .LBB382_186
.LBB382_205:
	flat_store_b32 v[2:3], v23 offset:1280
	s_or_b32 exec_lo, exec_lo, s0
	s_and_saveexec_b32 s0, s6
	s_cbranch_execz .LBB382_187
.LBB382_206:
	flat_store_b32 v[2:3], v27 offset:1536
	s_or_b32 exec_lo, exec_lo, s0
	s_and_saveexec_b32 s0, s7
	s_cbranch_execz .LBB382_188
.LBB382_207:
	flat_store_b32 v[2:3], v31 offset:1792
	s_or_b32 exec_lo, exec_lo, s0
	s_and_saveexec_b32 s0, s8
	s_cbranch_execz .LBB382_189
.LBB382_208:
	flat_store_b32 v[2:3], v32 offset:2048
	s_or_b32 exec_lo, exec_lo, s0
	s_and_saveexec_b32 s0, s9
	s_cbranch_execz .LBB382_190
.LBB382_209:
	flat_store_b32 v[2:3], v28 offset:2304
	s_or_b32 exec_lo, exec_lo, s0
	s_and_saveexec_b32 s0, s10
	s_cbranch_execz .LBB382_191
.LBB382_210:
	flat_store_b32 v[2:3], v24 offset:2560
	s_or_b32 exec_lo, exec_lo, s0
	s_and_saveexec_b32 s0, s11
	s_cbranch_execz .LBB382_192
.LBB382_211:
	flat_store_b32 v[2:3], v20 offset:2816
	s_or_b32 exec_lo, exec_lo, s0
	s_and_saveexec_b32 s0, s12
	s_cbranch_execz .LBB382_193
.LBB382_212:
	flat_store_b32 v[2:3], v16 offset:3072
	s_or_b32 exec_lo, exec_lo, s0
	s_and_saveexec_b32 s0, s13
	s_cbranch_execz .LBB382_194
.LBB382_213:
	flat_store_b32 v[2:3], v12 offset:3328
	s_or_b32 exec_lo, exec_lo, s0
	s_and_saveexec_b32 s0, s14
	s_cbranch_execnz .LBB382_195
	s_branch .LBB382_196
	.section	.rodata,"a",@progbits
	.p2align	6, 0x0
	.amdhsa_kernel _ZN7rocprim17ROCPRIM_400000_NS6detail17trampoline_kernelINS0_14default_configENS1_27upper_bound_config_selectorIxiEEZNS1_14transform_implILb0ES3_S5_N6thrust23THRUST_200600_302600_NS6detail15normal_iteratorINS8_10device_ptrIxEEEENSA_INSB_IiEEEEZNS1_13binary_searchIS3_S5_SD_SD_SF_NS1_21upper_bound_search_opENS9_16wrapped_functionINS0_4lessIvEEbEEEE10hipError_tPvRmT1_T2_T3_mmT4_T5_P12ihipStream_tbEUlRKxE_EESM_SQ_SR_mSS_SV_bEUlT_E_NS1_11comp_targetILNS1_3genE9ELNS1_11target_archE1100ELNS1_3gpuE3ELNS1_3repE0EEENS1_30default_config_static_selectorELNS0_4arch9wavefront6targetE0EEEvSP_
		.amdhsa_group_segment_fixed_size 0
		.amdhsa_private_segment_fixed_size 0
		.amdhsa_kernarg_size 312
		.amdhsa_user_sgpr_count 15
		.amdhsa_user_sgpr_dispatch_ptr 0
		.amdhsa_user_sgpr_queue_ptr 0
		.amdhsa_user_sgpr_kernarg_segment_ptr 1
		.amdhsa_user_sgpr_dispatch_id 0
		.amdhsa_user_sgpr_private_segment_size 0
		.amdhsa_wavefront_size32 1
		.amdhsa_uses_dynamic_stack 0
		.amdhsa_enable_private_segment 0
		.amdhsa_system_sgpr_workgroup_id_x 1
		.amdhsa_system_sgpr_workgroup_id_y 0
		.amdhsa_system_sgpr_workgroup_id_z 0
		.amdhsa_system_sgpr_workgroup_info 0
		.amdhsa_system_vgpr_workitem_id 0
		.amdhsa_next_free_vgpr 42
		.amdhsa_next_free_sgpr 28
		.amdhsa_reserve_vcc 1
		.amdhsa_float_round_mode_32 0
		.amdhsa_float_round_mode_16_64 0
		.amdhsa_float_denorm_mode_32 3
		.amdhsa_float_denorm_mode_16_64 3
		.amdhsa_dx10_clamp 1
		.amdhsa_ieee_mode 1
		.amdhsa_fp16_overflow 0
		.amdhsa_workgroup_processor_mode 1
		.amdhsa_memory_ordered 1
		.amdhsa_forward_progress 0
		.amdhsa_shared_vgpr_count 0
		.amdhsa_exception_fp_ieee_invalid_op 0
		.amdhsa_exception_fp_denorm_src 0
		.amdhsa_exception_fp_ieee_div_zero 0
		.amdhsa_exception_fp_ieee_overflow 0
		.amdhsa_exception_fp_ieee_underflow 0
		.amdhsa_exception_fp_ieee_inexact 0
		.amdhsa_exception_int_div_zero 0
	.end_amdhsa_kernel
	.section	.text._ZN7rocprim17ROCPRIM_400000_NS6detail17trampoline_kernelINS0_14default_configENS1_27upper_bound_config_selectorIxiEEZNS1_14transform_implILb0ES3_S5_N6thrust23THRUST_200600_302600_NS6detail15normal_iteratorINS8_10device_ptrIxEEEENSA_INSB_IiEEEEZNS1_13binary_searchIS3_S5_SD_SD_SF_NS1_21upper_bound_search_opENS9_16wrapped_functionINS0_4lessIvEEbEEEE10hipError_tPvRmT1_T2_T3_mmT4_T5_P12ihipStream_tbEUlRKxE_EESM_SQ_SR_mSS_SV_bEUlT_E_NS1_11comp_targetILNS1_3genE9ELNS1_11target_archE1100ELNS1_3gpuE3ELNS1_3repE0EEENS1_30default_config_static_selectorELNS0_4arch9wavefront6targetE0EEEvSP_,"axG",@progbits,_ZN7rocprim17ROCPRIM_400000_NS6detail17trampoline_kernelINS0_14default_configENS1_27upper_bound_config_selectorIxiEEZNS1_14transform_implILb0ES3_S5_N6thrust23THRUST_200600_302600_NS6detail15normal_iteratorINS8_10device_ptrIxEEEENSA_INSB_IiEEEEZNS1_13binary_searchIS3_S5_SD_SD_SF_NS1_21upper_bound_search_opENS9_16wrapped_functionINS0_4lessIvEEbEEEE10hipError_tPvRmT1_T2_T3_mmT4_T5_P12ihipStream_tbEUlRKxE_EESM_SQ_SR_mSS_SV_bEUlT_E_NS1_11comp_targetILNS1_3genE9ELNS1_11target_archE1100ELNS1_3gpuE3ELNS1_3repE0EEENS1_30default_config_static_selectorELNS0_4arch9wavefront6targetE0EEEvSP_,comdat
.Lfunc_end382:
	.size	_ZN7rocprim17ROCPRIM_400000_NS6detail17trampoline_kernelINS0_14default_configENS1_27upper_bound_config_selectorIxiEEZNS1_14transform_implILb0ES3_S5_N6thrust23THRUST_200600_302600_NS6detail15normal_iteratorINS8_10device_ptrIxEEEENSA_INSB_IiEEEEZNS1_13binary_searchIS3_S5_SD_SD_SF_NS1_21upper_bound_search_opENS9_16wrapped_functionINS0_4lessIvEEbEEEE10hipError_tPvRmT1_T2_T3_mmT4_T5_P12ihipStream_tbEUlRKxE_EESM_SQ_SR_mSS_SV_bEUlT_E_NS1_11comp_targetILNS1_3genE9ELNS1_11target_archE1100ELNS1_3gpuE3ELNS1_3repE0EEENS1_30default_config_static_selectorELNS0_4arch9wavefront6targetE0EEEvSP_, .Lfunc_end382-_ZN7rocprim17ROCPRIM_400000_NS6detail17trampoline_kernelINS0_14default_configENS1_27upper_bound_config_selectorIxiEEZNS1_14transform_implILb0ES3_S5_N6thrust23THRUST_200600_302600_NS6detail15normal_iteratorINS8_10device_ptrIxEEEENSA_INSB_IiEEEEZNS1_13binary_searchIS3_S5_SD_SD_SF_NS1_21upper_bound_search_opENS9_16wrapped_functionINS0_4lessIvEEbEEEE10hipError_tPvRmT1_T2_T3_mmT4_T5_P12ihipStream_tbEUlRKxE_EESM_SQ_SR_mSS_SV_bEUlT_E_NS1_11comp_targetILNS1_3genE9ELNS1_11target_archE1100ELNS1_3gpuE3ELNS1_3repE0EEENS1_30default_config_static_selectorELNS0_4arch9wavefront6targetE0EEEvSP_
                                        ; -- End function
	.section	.AMDGPU.csdata,"",@progbits
; Kernel info:
; codeLenInByte = 9560
; NumSgprs: 30
; NumVgprs: 42
; ScratchSize: 0
; MemoryBound: 0
; FloatMode: 240
; IeeeMode: 1
; LDSByteSize: 0 bytes/workgroup (compile time only)
; SGPRBlocks: 3
; VGPRBlocks: 5
; NumSGPRsForWavesPerEU: 30
; NumVGPRsForWavesPerEU: 42
; Occupancy: 16
; WaveLimiterHint : 1
; COMPUTE_PGM_RSRC2:SCRATCH_EN: 0
; COMPUTE_PGM_RSRC2:USER_SGPR: 15
; COMPUTE_PGM_RSRC2:TRAP_HANDLER: 0
; COMPUTE_PGM_RSRC2:TGID_X_EN: 1
; COMPUTE_PGM_RSRC2:TGID_Y_EN: 0
; COMPUTE_PGM_RSRC2:TGID_Z_EN: 0
; COMPUTE_PGM_RSRC2:TIDIG_COMP_CNT: 0
	.section	.text._ZN7rocprim17ROCPRIM_400000_NS6detail17trampoline_kernelINS0_14default_configENS1_27upper_bound_config_selectorIxiEEZNS1_14transform_implILb0ES3_S5_N6thrust23THRUST_200600_302600_NS6detail15normal_iteratorINS8_10device_ptrIxEEEENSA_INSB_IiEEEEZNS1_13binary_searchIS3_S5_SD_SD_SF_NS1_21upper_bound_search_opENS9_16wrapped_functionINS0_4lessIvEEbEEEE10hipError_tPvRmT1_T2_T3_mmT4_T5_P12ihipStream_tbEUlRKxE_EESM_SQ_SR_mSS_SV_bEUlT_E_NS1_11comp_targetILNS1_3genE8ELNS1_11target_archE1030ELNS1_3gpuE2ELNS1_3repE0EEENS1_30default_config_static_selectorELNS0_4arch9wavefront6targetE0EEEvSP_,"axG",@progbits,_ZN7rocprim17ROCPRIM_400000_NS6detail17trampoline_kernelINS0_14default_configENS1_27upper_bound_config_selectorIxiEEZNS1_14transform_implILb0ES3_S5_N6thrust23THRUST_200600_302600_NS6detail15normal_iteratorINS8_10device_ptrIxEEEENSA_INSB_IiEEEEZNS1_13binary_searchIS3_S5_SD_SD_SF_NS1_21upper_bound_search_opENS9_16wrapped_functionINS0_4lessIvEEbEEEE10hipError_tPvRmT1_T2_T3_mmT4_T5_P12ihipStream_tbEUlRKxE_EESM_SQ_SR_mSS_SV_bEUlT_E_NS1_11comp_targetILNS1_3genE8ELNS1_11target_archE1030ELNS1_3gpuE2ELNS1_3repE0EEENS1_30default_config_static_selectorELNS0_4arch9wavefront6targetE0EEEvSP_,comdat
	.protected	_ZN7rocprim17ROCPRIM_400000_NS6detail17trampoline_kernelINS0_14default_configENS1_27upper_bound_config_selectorIxiEEZNS1_14transform_implILb0ES3_S5_N6thrust23THRUST_200600_302600_NS6detail15normal_iteratorINS8_10device_ptrIxEEEENSA_INSB_IiEEEEZNS1_13binary_searchIS3_S5_SD_SD_SF_NS1_21upper_bound_search_opENS9_16wrapped_functionINS0_4lessIvEEbEEEE10hipError_tPvRmT1_T2_T3_mmT4_T5_P12ihipStream_tbEUlRKxE_EESM_SQ_SR_mSS_SV_bEUlT_E_NS1_11comp_targetILNS1_3genE8ELNS1_11target_archE1030ELNS1_3gpuE2ELNS1_3repE0EEENS1_30default_config_static_selectorELNS0_4arch9wavefront6targetE0EEEvSP_ ; -- Begin function _ZN7rocprim17ROCPRIM_400000_NS6detail17trampoline_kernelINS0_14default_configENS1_27upper_bound_config_selectorIxiEEZNS1_14transform_implILb0ES3_S5_N6thrust23THRUST_200600_302600_NS6detail15normal_iteratorINS8_10device_ptrIxEEEENSA_INSB_IiEEEEZNS1_13binary_searchIS3_S5_SD_SD_SF_NS1_21upper_bound_search_opENS9_16wrapped_functionINS0_4lessIvEEbEEEE10hipError_tPvRmT1_T2_T3_mmT4_T5_P12ihipStream_tbEUlRKxE_EESM_SQ_SR_mSS_SV_bEUlT_E_NS1_11comp_targetILNS1_3genE8ELNS1_11target_archE1030ELNS1_3gpuE2ELNS1_3repE0EEENS1_30default_config_static_selectorELNS0_4arch9wavefront6targetE0EEEvSP_
	.globl	_ZN7rocprim17ROCPRIM_400000_NS6detail17trampoline_kernelINS0_14default_configENS1_27upper_bound_config_selectorIxiEEZNS1_14transform_implILb0ES3_S5_N6thrust23THRUST_200600_302600_NS6detail15normal_iteratorINS8_10device_ptrIxEEEENSA_INSB_IiEEEEZNS1_13binary_searchIS3_S5_SD_SD_SF_NS1_21upper_bound_search_opENS9_16wrapped_functionINS0_4lessIvEEbEEEE10hipError_tPvRmT1_T2_T3_mmT4_T5_P12ihipStream_tbEUlRKxE_EESM_SQ_SR_mSS_SV_bEUlT_E_NS1_11comp_targetILNS1_3genE8ELNS1_11target_archE1030ELNS1_3gpuE2ELNS1_3repE0EEENS1_30default_config_static_selectorELNS0_4arch9wavefront6targetE0EEEvSP_
	.p2align	8
	.type	_ZN7rocprim17ROCPRIM_400000_NS6detail17trampoline_kernelINS0_14default_configENS1_27upper_bound_config_selectorIxiEEZNS1_14transform_implILb0ES3_S5_N6thrust23THRUST_200600_302600_NS6detail15normal_iteratorINS8_10device_ptrIxEEEENSA_INSB_IiEEEEZNS1_13binary_searchIS3_S5_SD_SD_SF_NS1_21upper_bound_search_opENS9_16wrapped_functionINS0_4lessIvEEbEEEE10hipError_tPvRmT1_T2_T3_mmT4_T5_P12ihipStream_tbEUlRKxE_EESM_SQ_SR_mSS_SV_bEUlT_E_NS1_11comp_targetILNS1_3genE8ELNS1_11target_archE1030ELNS1_3gpuE2ELNS1_3repE0EEENS1_30default_config_static_selectorELNS0_4arch9wavefront6targetE0EEEvSP_,@function
_ZN7rocprim17ROCPRIM_400000_NS6detail17trampoline_kernelINS0_14default_configENS1_27upper_bound_config_selectorIxiEEZNS1_14transform_implILb0ES3_S5_N6thrust23THRUST_200600_302600_NS6detail15normal_iteratorINS8_10device_ptrIxEEEENSA_INSB_IiEEEEZNS1_13binary_searchIS3_S5_SD_SD_SF_NS1_21upper_bound_search_opENS9_16wrapped_functionINS0_4lessIvEEbEEEE10hipError_tPvRmT1_T2_T3_mmT4_T5_P12ihipStream_tbEUlRKxE_EESM_SQ_SR_mSS_SV_bEUlT_E_NS1_11comp_targetILNS1_3genE8ELNS1_11target_archE1030ELNS1_3gpuE2ELNS1_3repE0EEENS1_30default_config_static_selectorELNS0_4arch9wavefront6targetE0EEEvSP_: ; @_ZN7rocprim17ROCPRIM_400000_NS6detail17trampoline_kernelINS0_14default_configENS1_27upper_bound_config_selectorIxiEEZNS1_14transform_implILb0ES3_S5_N6thrust23THRUST_200600_302600_NS6detail15normal_iteratorINS8_10device_ptrIxEEEENSA_INSB_IiEEEEZNS1_13binary_searchIS3_S5_SD_SD_SF_NS1_21upper_bound_search_opENS9_16wrapped_functionINS0_4lessIvEEbEEEE10hipError_tPvRmT1_T2_T3_mmT4_T5_P12ihipStream_tbEUlRKxE_EESM_SQ_SR_mSS_SV_bEUlT_E_NS1_11comp_targetILNS1_3genE8ELNS1_11target_archE1030ELNS1_3gpuE2ELNS1_3repE0EEENS1_30default_config_static_selectorELNS0_4arch9wavefront6targetE0EEEvSP_
; %bb.0:
	.section	.rodata,"a",@progbits
	.p2align	6, 0x0
	.amdhsa_kernel _ZN7rocprim17ROCPRIM_400000_NS6detail17trampoline_kernelINS0_14default_configENS1_27upper_bound_config_selectorIxiEEZNS1_14transform_implILb0ES3_S5_N6thrust23THRUST_200600_302600_NS6detail15normal_iteratorINS8_10device_ptrIxEEEENSA_INSB_IiEEEEZNS1_13binary_searchIS3_S5_SD_SD_SF_NS1_21upper_bound_search_opENS9_16wrapped_functionINS0_4lessIvEEbEEEE10hipError_tPvRmT1_T2_T3_mmT4_T5_P12ihipStream_tbEUlRKxE_EESM_SQ_SR_mSS_SV_bEUlT_E_NS1_11comp_targetILNS1_3genE8ELNS1_11target_archE1030ELNS1_3gpuE2ELNS1_3repE0EEENS1_30default_config_static_selectorELNS0_4arch9wavefront6targetE0EEEvSP_
		.amdhsa_group_segment_fixed_size 0
		.amdhsa_private_segment_fixed_size 0
		.amdhsa_kernarg_size 56
		.amdhsa_user_sgpr_count 15
		.amdhsa_user_sgpr_dispatch_ptr 0
		.amdhsa_user_sgpr_queue_ptr 0
		.amdhsa_user_sgpr_kernarg_segment_ptr 1
		.amdhsa_user_sgpr_dispatch_id 0
		.amdhsa_user_sgpr_private_segment_size 0
		.amdhsa_wavefront_size32 1
		.amdhsa_uses_dynamic_stack 0
		.amdhsa_enable_private_segment 0
		.amdhsa_system_sgpr_workgroup_id_x 1
		.amdhsa_system_sgpr_workgroup_id_y 0
		.amdhsa_system_sgpr_workgroup_id_z 0
		.amdhsa_system_sgpr_workgroup_info 0
		.amdhsa_system_vgpr_workitem_id 0
		.amdhsa_next_free_vgpr 1
		.amdhsa_next_free_sgpr 1
		.amdhsa_reserve_vcc 0
		.amdhsa_float_round_mode_32 0
		.amdhsa_float_round_mode_16_64 0
		.amdhsa_float_denorm_mode_32 3
		.amdhsa_float_denorm_mode_16_64 3
		.amdhsa_dx10_clamp 1
		.amdhsa_ieee_mode 1
		.amdhsa_fp16_overflow 0
		.amdhsa_workgroup_processor_mode 1
		.amdhsa_memory_ordered 1
		.amdhsa_forward_progress 0
		.amdhsa_shared_vgpr_count 0
		.amdhsa_exception_fp_ieee_invalid_op 0
		.amdhsa_exception_fp_denorm_src 0
		.amdhsa_exception_fp_ieee_div_zero 0
		.amdhsa_exception_fp_ieee_overflow 0
		.amdhsa_exception_fp_ieee_underflow 0
		.amdhsa_exception_fp_ieee_inexact 0
		.amdhsa_exception_int_div_zero 0
	.end_amdhsa_kernel
	.section	.text._ZN7rocprim17ROCPRIM_400000_NS6detail17trampoline_kernelINS0_14default_configENS1_27upper_bound_config_selectorIxiEEZNS1_14transform_implILb0ES3_S5_N6thrust23THRUST_200600_302600_NS6detail15normal_iteratorINS8_10device_ptrIxEEEENSA_INSB_IiEEEEZNS1_13binary_searchIS3_S5_SD_SD_SF_NS1_21upper_bound_search_opENS9_16wrapped_functionINS0_4lessIvEEbEEEE10hipError_tPvRmT1_T2_T3_mmT4_T5_P12ihipStream_tbEUlRKxE_EESM_SQ_SR_mSS_SV_bEUlT_E_NS1_11comp_targetILNS1_3genE8ELNS1_11target_archE1030ELNS1_3gpuE2ELNS1_3repE0EEENS1_30default_config_static_selectorELNS0_4arch9wavefront6targetE0EEEvSP_,"axG",@progbits,_ZN7rocprim17ROCPRIM_400000_NS6detail17trampoline_kernelINS0_14default_configENS1_27upper_bound_config_selectorIxiEEZNS1_14transform_implILb0ES3_S5_N6thrust23THRUST_200600_302600_NS6detail15normal_iteratorINS8_10device_ptrIxEEEENSA_INSB_IiEEEEZNS1_13binary_searchIS3_S5_SD_SD_SF_NS1_21upper_bound_search_opENS9_16wrapped_functionINS0_4lessIvEEbEEEE10hipError_tPvRmT1_T2_T3_mmT4_T5_P12ihipStream_tbEUlRKxE_EESM_SQ_SR_mSS_SV_bEUlT_E_NS1_11comp_targetILNS1_3genE8ELNS1_11target_archE1030ELNS1_3gpuE2ELNS1_3repE0EEENS1_30default_config_static_selectorELNS0_4arch9wavefront6targetE0EEEvSP_,comdat
.Lfunc_end383:
	.size	_ZN7rocprim17ROCPRIM_400000_NS6detail17trampoline_kernelINS0_14default_configENS1_27upper_bound_config_selectorIxiEEZNS1_14transform_implILb0ES3_S5_N6thrust23THRUST_200600_302600_NS6detail15normal_iteratorINS8_10device_ptrIxEEEENSA_INSB_IiEEEEZNS1_13binary_searchIS3_S5_SD_SD_SF_NS1_21upper_bound_search_opENS9_16wrapped_functionINS0_4lessIvEEbEEEE10hipError_tPvRmT1_T2_T3_mmT4_T5_P12ihipStream_tbEUlRKxE_EESM_SQ_SR_mSS_SV_bEUlT_E_NS1_11comp_targetILNS1_3genE8ELNS1_11target_archE1030ELNS1_3gpuE2ELNS1_3repE0EEENS1_30default_config_static_selectorELNS0_4arch9wavefront6targetE0EEEvSP_, .Lfunc_end383-_ZN7rocprim17ROCPRIM_400000_NS6detail17trampoline_kernelINS0_14default_configENS1_27upper_bound_config_selectorIxiEEZNS1_14transform_implILb0ES3_S5_N6thrust23THRUST_200600_302600_NS6detail15normal_iteratorINS8_10device_ptrIxEEEENSA_INSB_IiEEEEZNS1_13binary_searchIS3_S5_SD_SD_SF_NS1_21upper_bound_search_opENS9_16wrapped_functionINS0_4lessIvEEbEEEE10hipError_tPvRmT1_T2_T3_mmT4_T5_P12ihipStream_tbEUlRKxE_EESM_SQ_SR_mSS_SV_bEUlT_E_NS1_11comp_targetILNS1_3genE8ELNS1_11target_archE1030ELNS1_3gpuE2ELNS1_3repE0EEENS1_30default_config_static_selectorELNS0_4arch9wavefront6targetE0EEEvSP_
                                        ; -- End function
	.section	.AMDGPU.csdata,"",@progbits
; Kernel info:
; codeLenInByte = 0
; NumSgprs: 0
; NumVgprs: 0
; ScratchSize: 0
; MemoryBound: 0
; FloatMode: 240
; IeeeMode: 1
; LDSByteSize: 0 bytes/workgroup (compile time only)
; SGPRBlocks: 0
; VGPRBlocks: 0
; NumSGPRsForWavesPerEU: 1
; NumVGPRsForWavesPerEU: 1
; Occupancy: 16
; WaveLimiterHint : 0
; COMPUTE_PGM_RSRC2:SCRATCH_EN: 0
; COMPUTE_PGM_RSRC2:USER_SGPR: 15
; COMPUTE_PGM_RSRC2:TRAP_HANDLER: 0
; COMPUTE_PGM_RSRC2:TGID_X_EN: 1
; COMPUTE_PGM_RSRC2:TGID_Y_EN: 0
; COMPUTE_PGM_RSRC2:TGID_Z_EN: 0
; COMPUTE_PGM_RSRC2:TIDIG_COMP_CNT: 0
	.section	.text._ZN7rocprim17ROCPRIM_400000_NS6detail17trampoline_kernelINS0_14default_configENS1_27upper_bound_config_selectorIiiEEZNS1_14transform_implILb0ES3_S5_N6thrust23THRUST_200600_302600_NS6detail15normal_iteratorINS8_10device_ptrIiEEEESD_ZNS1_13binary_searchIS3_S5_SD_SD_SD_NS1_21upper_bound_search_opENS9_16wrapped_functionINS0_4lessIvEEbEEEE10hipError_tPvRmT1_T2_T3_mmT4_T5_P12ihipStream_tbEUlRKiE_EESK_SO_SP_mSQ_ST_bEUlT_E_NS1_11comp_targetILNS1_3genE0ELNS1_11target_archE4294967295ELNS1_3gpuE0ELNS1_3repE0EEENS1_30default_config_static_selectorELNS0_4arch9wavefront6targetE0EEEvSN_,"axG",@progbits,_ZN7rocprim17ROCPRIM_400000_NS6detail17trampoline_kernelINS0_14default_configENS1_27upper_bound_config_selectorIiiEEZNS1_14transform_implILb0ES3_S5_N6thrust23THRUST_200600_302600_NS6detail15normal_iteratorINS8_10device_ptrIiEEEESD_ZNS1_13binary_searchIS3_S5_SD_SD_SD_NS1_21upper_bound_search_opENS9_16wrapped_functionINS0_4lessIvEEbEEEE10hipError_tPvRmT1_T2_T3_mmT4_T5_P12ihipStream_tbEUlRKiE_EESK_SO_SP_mSQ_ST_bEUlT_E_NS1_11comp_targetILNS1_3genE0ELNS1_11target_archE4294967295ELNS1_3gpuE0ELNS1_3repE0EEENS1_30default_config_static_selectorELNS0_4arch9wavefront6targetE0EEEvSN_,comdat
	.protected	_ZN7rocprim17ROCPRIM_400000_NS6detail17trampoline_kernelINS0_14default_configENS1_27upper_bound_config_selectorIiiEEZNS1_14transform_implILb0ES3_S5_N6thrust23THRUST_200600_302600_NS6detail15normal_iteratorINS8_10device_ptrIiEEEESD_ZNS1_13binary_searchIS3_S5_SD_SD_SD_NS1_21upper_bound_search_opENS9_16wrapped_functionINS0_4lessIvEEbEEEE10hipError_tPvRmT1_T2_T3_mmT4_T5_P12ihipStream_tbEUlRKiE_EESK_SO_SP_mSQ_ST_bEUlT_E_NS1_11comp_targetILNS1_3genE0ELNS1_11target_archE4294967295ELNS1_3gpuE0ELNS1_3repE0EEENS1_30default_config_static_selectorELNS0_4arch9wavefront6targetE0EEEvSN_ ; -- Begin function _ZN7rocprim17ROCPRIM_400000_NS6detail17trampoline_kernelINS0_14default_configENS1_27upper_bound_config_selectorIiiEEZNS1_14transform_implILb0ES3_S5_N6thrust23THRUST_200600_302600_NS6detail15normal_iteratorINS8_10device_ptrIiEEEESD_ZNS1_13binary_searchIS3_S5_SD_SD_SD_NS1_21upper_bound_search_opENS9_16wrapped_functionINS0_4lessIvEEbEEEE10hipError_tPvRmT1_T2_T3_mmT4_T5_P12ihipStream_tbEUlRKiE_EESK_SO_SP_mSQ_ST_bEUlT_E_NS1_11comp_targetILNS1_3genE0ELNS1_11target_archE4294967295ELNS1_3gpuE0ELNS1_3repE0EEENS1_30default_config_static_selectorELNS0_4arch9wavefront6targetE0EEEvSN_
	.globl	_ZN7rocprim17ROCPRIM_400000_NS6detail17trampoline_kernelINS0_14default_configENS1_27upper_bound_config_selectorIiiEEZNS1_14transform_implILb0ES3_S5_N6thrust23THRUST_200600_302600_NS6detail15normal_iteratorINS8_10device_ptrIiEEEESD_ZNS1_13binary_searchIS3_S5_SD_SD_SD_NS1_21upper_bound_search_opENS9_16wrapped_functionINS0_4lessIvEEbEEEE10hipError_tPvRmT1_T2_T3_mmT4_T5_P12ihipStream_tbEUlRKiE_EESK_SO_SP_mSQ_ST_bEUlT_E_NS1_11comp_targetILNS1_3genE0ELNS1_11target_archE4294967295ELNS1_3gpuE0ELNS1_3repE0EEENS1_30default_config_static_selectorELNS0_4arch9wavefront6targetE0EEEvSN_
	.p2align	8
	.type	_ZN7rocprim17ROCPRIM_400000_NS6detail17trampoline_kernelINS0_14default_configENS1_27upper_bound_config_selectorIiiEEZNS1_14transform_implILb0ES3_S5_N6thrust23THRUST_200600_302600_NS6detail15normal_iteratorINS8_10device_ptrIiEEEESD_ZNS1_13binary_searchIS3_S5_SD_SD_SD_NS1_21upper_bound_search_opENS9_16wrapped_functionINS0_4lessIvEEbEEEE10hipError_tPvRmT1_T2_T3_mmT4_T5_P12ihipStream_tbEUlRKiE_EESK_SO_SP_mSQ_ST_bEUlT_E_NS1_11comp_targetILNS1_3genE0ELNS1_11target_archE4294967295ELNS1_3gpuE0ELNS1_3repE0EEENS1_30default_config_static_selectorELNS0_4arch9wavefront6targetE0EEEvSN_,@function
_ZN7rocprim17ROCPRIM_400000_NS6detail17trampoline_kernelINS0_14default_configENS1_27upper_bound_config_selectorIiiEEZNS1_14transform_implILb0ES3_S5_N6thrust23THRUST_200600_302600_NS6detail15normal_iteratorINS8_10device_ptrIiEEEESD_ZNS1_13binary_searchIS3_S5_SD_SD_SD_NS1_21upper_bound_search_opENS9_16wrapped_functionINS0_4lessIvEEbEEEE10hipError_tPvRmT1_T2_T3_mmT4_T5_P12ihipStream_tbEUlRKiE_EESK_SO_SP_mSQ_ST_bEUlT_E_NS1_11comp_targetILNS1_3genE0ELNS1_11target_archE4294967295ELNS1_3gpuE0ELNS1_3repE0EEENS1_30default_config_static_selectorELNS0_4arch9wavefront6targetE0EEEvSN_: ; @_ZN7rocprim17ROCPRIM_400000_NS6detail17trampoline_kernelINS0_14default_configENS1_27upper_bound_config_selectorIiiEEZNS1_14transform_implILb0ES3_S5_N6thrust23THRUST_200600_302600_NS6detail15normal_iteratorINS8_10device_ptrIiEEEESD_ZNS1_13binary_searchIS3_S5_SD_SD_SD_NS1_21upper_bound_search_opENS9_16wrapped_functionINS0_4lessIvEEbEEEE10hipError_tPvRmT1_T2_T3_mmT4_T5_P12ihipStream_tbEUlRKiE_EESK_SO_SP_mSQ_ST_bEUlT_E_NS1_11comp_targetILNS1_3genE0ELNS1_11target_archE4294967295ELNS1_3gpuE0ELNS1_3repE0EEENS1_30default_config_static_selectorELNS0_4arch9wavefront6targetE0EEEvSN_
; %bb.0:
	.section	.rodata,"a",@progbits
	.p2align	6, 0x0
	.amdhsa_kernel _ZN7rocprim17ROCPRIM_400000_NS6detail17trampoline_kernelINS0_14default_configENS1_27upper_bound_config_selectorIiiEEZNS1_14transform_implILb0ES3_S5_N6thrust23THRUST_200600_302600_NS6detail15normal_iteratorINS8_10device_ptrIiEEEESD_ZNS1_13binary_searchIS3_S5_SD_SD_SD_NS1_21upper_bound_search_opENS9_16wrapped_functionINS0_4lessIvEEbEEEE10hipError_tPvRmT1_T2_T3_mmT4_T5_P12ihipStream_tbEUlRKiE_EESK_SO_SP_mSQ_ST_bEUlT_E_NS1_11comp_targetILNS1_3genE0ELNS1_11target_archE4294967295ELNS1_3gpuE0ELNS1_3repE0EEENS1_30default_config_static_selectorELNS0_4arch9wavefront6targetE0EEEvSN_
		.amdhsa_group_segment_fixed_size 0
		.amdhsa_private_segment_fixed_size 0
		.amdhsa_kernarg_size 56
		.amdhsa_user_sgpr_count 15
		.amdhsa_user_sgpr_dispatch_ptr 0
		.amdhsa_user_sgpr_queue_ptr 0
		.amdhsa_user_sgpr_kernarg_segment_ptr 1
		.amdhsa_user_sgpr_dispatch_id 0
		.amdhsa_user_sgpr_private_segment_size 0
		.amdhsa_wavefront_size32 1
		.amdhsa_uses_dynamic_stack 0
		.amdhsa_enable_private_segment 0
		.amdhsa_system_sgpr_workgroup_id_x 1
		.amdhsa_system_sgpr_workgroup_id_y 0
		.amdhsa_system_sgpr_workgroup_id_z 0
		.amdhsa_system_sgpr_workgroup_info 0
		.amdhsa_system_vgpr_workitem_id 0
		.amdhsa_next_free_vgpr 1
		.amdhsa_next_free_sgpr 1
		.amdhsa_reserve_vcc 0
		.amdhsa_float_round_mode_32 0
		.amdhsa_float_round_mode_16_64 0
		.amdhsa_float_denorm_mode_32 3
		.amdhsa_float_denorm_mode_16_64 3
		.amdhsa_dx10_clamp 1
		.amdhsa_ieee_mode 1
		.amdhsa_fp16_overflow 0
		.amdhsa_workgroup_processor_mode 1
		.amdhsa_memory_ordered 1
		.amdhsa_forward_progress 0
		.amdhsa_shared_vgpr_count 0
		.amdhsa_exception_fp_ieee_invalid_op 0
		.amdhsa_exception_fp_denorm_src 0
		.amdhsa_exception_fp_ieee_div_zero 0
		.amdhsa_exception_fp_ieee_overflow 0
		.amdhsa_exception_fp_ieee_underflow 0
		.amdhsa_exception_fp_ieee_inexact 0
		.amdhsa_exception_int_div_zero 0
	.end_amdhsa_kernel
	.section	.text._ZN7rocprim17ROCPRIM_400000_NS6detail17trampoline_kernelINS0_14default_configENS1_27upper_bound_config_selectorIiiEEZNS1_14transform_implILb0ES3_S5_N6thrust23THRUST_200600_302600_NS6detail15normal_iteratorINS8_10device_ptrIiEEEESD_ZNS1_13binary_searchIS3_S5_SD_SD_SD_NS1_21upper_bound_search_opENS9_16wrapped_functionINS0_4lessIvEEbEEEE10hipError_tPvRmT1_T2_T3_mmT4_T5_P12ihipStream_tbEUlRKiE_EESK_SO_SP_mSQ_ST_bEUlT_E_NS1_11comp_targetILNS1_3genE0ELNS1_11target_archE4294967295ELNS1_3gpuE0ELNS1_3repE0EEENS1_30default_config_static_selectorELNS0_4arch9wavefront6targetE0EEEvSN_,"axG",@progbits,_ZN7rocprim17ROCPRIM_400000_NS6detail17trampoline_kernelINS0_14default_configENS1_27upper_bound_config_selectorIiiEEZNS1_14transform_implILb0ES3_S5_N6thrust23THRUST_200600_302600_NS6detail15normal_iteratorINS8_10device_ptrIiEEEESD_ZNS1_13binary_searchIS3_S5_SD_SD_SD_NS1_21upper_bound_search_opENS9_16wrapped_functionINS0_4lessIvEEbEEEE10hipError_tPvRmT1_T2_T3_mmT4_T5_P12ihipStream_tbEUlRKiE_EESK_SO_SP_mSQ_ST_bEUlT_E_NS1_11comp_targetILNS1_3genE0ELNS1_11target_archE4294967295ELNS1_3gpuE0ELNS1_3repE0EEENS1_30default_config_static_selectorELNS0_4arch9wavefront6targetE0EEEvSN_,comdat
.Lfunc_end384:
	.size	_ZN7rocprim17ROCPRIM_400000_NS6detail17trampoline_kernelINS0_14default_configENS1_27upper_bound_config_selectorIiiEEZNS1_14transform_implILb0ES3_S5_N6thrust23THRUST_200600_302600_NS6detail15normal_iteratorINS8_10device_ptrIiEEEESD_ZNS1_13binary_searchIS3_S5_SD_SD_SD_NS1_21upper_bound_search_opENS9_16wrapped_functionINS0_4lessIvEEbEEEE10hipError_tPvRmT1_T2_T3_mmT4_T5_P12ihipStream_tbEUlRKiE_EESK_SO_SP_mSQ_ST_bEUlT_E_NS1_11comp_targetILNS1_3genE0ELNS1_11target_archE4294967295ELNS1_3gpuE0ELNS1_3repE0EEENS1_30default_config_static_selectorELNS0_4arch9wavefront6targetE0EEEvSN_, .Lfunc_end384-_ZN7rocprim17ROCPRIM_400000_NS6detail17trampoline_kernelINS0_14default_configENS1_27upper_bound_config_selectorIiiEEZNS1_14transform_implILb0ES3_S5_N6thrust23THRUST_200600_302600_NS6detail15normal_iteratorINS8_10device_ptrIiEEEESD_ZNS1_13binary_searchIS3_S5_SD_SD_SD_NS1_21upper_bound_search_opENS9_16wrapped_functionINS0_4lessIvEEbEEEE10hipError_tPvRmT1_T2_T3_mmT4_T5_P12ihipStream_tbEUlRKiE_EESK_SO_SP_mSQ_ST_bEUlT_E_NS1_11comp_targetILNS1_3genE0ELNS1_11target_archE4294967295ELNS1_3gpuE0ELNS1_3repE0EEENS1_30default_config_static_selectorELNS0_4arch9wavefront6targetE0EEEvSN_
                                        ; -- End function
	.section	.AMDGPU.csdata,"",@progbits
; Kernel info:
; codeLenInByte = 0
; NumSgprs: 0
; NumVgprs: 0
; ScratchSize: 0
; MemoryBound: 0
; FloatMode: 240
; IeeeMode: 1
; LDSByteSize: 0 bytes/workgroup (compile time only)
; SGPRBlocks: 0
; VGPRBlocks: 0
; NumSGPRsForWavesPerEU: 1
; NumVGPRsForWavesPerEU: 1
; Occupancy: 16
; WaveLimiterHint : 0
; COMPUTE_PGM_RSRC2:SCRATCH_EN: 0
; COMPUTE_PGM_RSRC2:USER_SGPR: 15
; COMPUTE_PGM_RSRC2:TRAP_HANDLER: 0
; COMPUTE_PGM_RSRC2:TGID_X_EN: 1
; COMPUTE_PGM_RSRC2:TGID_Y_EN: 0
; COMPUTE_PGM_RSRC2:TGID_Z_EN: 0
; COMPUTE_PGM_RSRC2:TIDIG_COMP_CNT: 0
	.section	.text._ZN7rocprim17ROCPRIM_400000_NS6detail17trampoline_kernelINS0_14default_configENS1_27upper_bound_config_selectorIiiEEZNS1_14transform_implILb0ES3_S5_N6thrust23THRUST_200600_302600_NS6detail15normal_iteratorINS8_10device_ptrIiEEEESD_ZNS1_13binary_searchIS3_S5_SD_SD_SD_NS1_21upper_bound_search_opENS9_16wrapped_functionINS0_4lessIvEEbEEEE10hipError_tPvRmT1_T2_T3_mmT4_T5_P12ihipStream_tbEUlRKiE_EESK_SO_SP_mSQ_ST_bEUlT_E_NS1_11comp_targetILNS1_3genE5ELNS1_11target_archE942ELNS1_3gpuE9ELNS1_3repE0EEENS1_30default_config_static_selectorELNS0_4arch9wavefront6targetE0EEEvSN_,"axG",@progbits,_ZN7rocprim17ROCPRIM_400000_NS6detail17trampoline_kernelINS0_14default_configENS1_27upper_bound_config_selectorIiiEEZNS1_14transform_implILb0ES3_S5_N6thrust23THRUST_200600_302600_NS6detail15normal_iteratorINS8_10device_ptrIiEEEESD_ZNS1_13binary_searchIS3_S5_SD_SD_SD_NS1_21upper_bound_search_opENS9_16wrapped_functionINS0_4lessIvEEbEEEE10hipError_tPvRmT1_T2_T3_mmT4_T5_P12ihipStream_tbEUlRKiE_EESK_SO_SP_mSQ_ST_bEUlT_E_NS1_11comp_targetILNS1_3genE5ELNS1_11target_archE942ELNS1_3gpuE9ELNS1_3repE0EEENS1_30default_config_static_selectorELNS0_4arch9wavefront6targetE0EEEvSN_,comdat
	.protected	_ZN7rocprim17ROCPRIM_400000_NS6detail17trampoline_kernelINS0_14default_configENS1_27upper_bound_config_selectorIiiEEZNS1_14transform_implILb0ES3_S5_N6thrust23THRUST_200600_302600_NS6detail15normal_iteratorINS8_10device_ptrIiEEEESD_ZNS1_13binary_searchIS3_S5_SD_SD_SD_NS1_21upper_bound_search_opENS9_16wrapped_functionINS0_4lessIvEEbEEEE10hipError_tPvRmT1_T2_T3_mmT4_T5_P12ihipStream_tbEUlRKiE_EESK_SO_SP_mSQ_ST_bEUlT_E_NS1_11comp_targetILNS1_3genE5ELNS1_11target_archE942ELNS1_3gpuE9ELNS1_3repE0EEENS1_30default_config_static_selectorELNS0_4arch9wavefront6targetE0EEEvSN_ ; -- Begin function _ZN7rocprim17ROCPRIM_400000_NS6detail17trampoline_kernelINS0_14default_configENS1_27upper_bound_config_selectorIiiEEZNS1_14transform_implILb0ES3_S5_N6thrust23THRUST_200600_302600_NS6detail15normal_iteratorINS8_10device_ptrIiEEEESD_ZNS1_13binary_searchIS3_S5_SD_SD_SD_NS1_21upper_bound_search_opENS9_16wrapped_functionINS0_4lessIvEEbEEEE10hipError_tPvRmT1_T2_T3_mmT4_T5_P12ihipStream_tbEUlRKiE_EESK_SO_SP_mSQ_ST_bEUlT_E_NS1_11comp_targetILNS1_3genE5ELNS1_11target_archE942ELNS1_3gpuE9ELNS1_3repE0EEENS1_30default_config_static_selectorELNS0_4arch9wavefront6targetE0EEEvSN_
	.globl	_ZN7rocprim17ROCPRIM_400000_NS6detail17trampoline_kernelINS0_14default_configENS1_27upper_bound_config_selectorIiiEEZNS1_14transform_implILb0ES3_S5_N6thrust23THRUST_200600_302600_NS6detail15normal_iteratorINS8_10device_ptrIiEEEESD_ZNS1_13binary_searchIS3_S5_SD_SD_SD_NS1_21upper_bound_search_opENS9_16wrapped_functionINS0_4lessIvEEbEEEE10hipError_tPvRmT1_T2_T3_mmT4_T5_P12ihipStream_tbEUlRKiE_EESK_SO_SP_mSQ_ST_bEUlT_E_NS1_11comp_targetILNS1_3genE5ELNS1_11target_archE942ELNS1_3gpuE9ELNS1_3repE0EEENS1_30default_config_static_selectorELNS0_4arch9wavefront6targetE0EEEvSN_
	.p2align	8
	.type	_ZN7rocprim17ROCPRIM_400000_NS6detail17trampoline_kernelINS0_14default_configENS1_27upper_bound_config_selectorIiiEEZNS1_14transform_implILb0ES3_S5_N6thrust23THRUST_200600_302600_NS6detail15normal_iteratorINS8_10device_ptrIiEEEESD_ZNS1_13binary_searchIS3_S5_SD_SD_SD_NS1_21upper_bound_search_opENS9_16wrapped_functionINS0_4lessIvEEbEEEE10hipError_tPvRmT1_T2_T3_mmT4_T5_P12ihipStream_tbEUlRKiE_EESK_SO_SP_mSQ_ST_bEUlT_E_NS1_11comp_targetILNS1_3genE5ELNS1_11target_archE942ELNS1_3gpuE9ELNS1_3repE0EEENS1_30default_config_static_selectorELNS0_4arch9wavefront6targetE0EEEvSN_,@function
_ZN7rocprim17ROCPRIM_400000_NS6detail17trampoline_kernelINS0_14default_configENS1_27upper_bound_config_selectorIiiEEZNS1_14transform_implILb0ES3_S5_N6thrust23THRUST_200600_302600_NS6detail15normal_iteratorINS8_10device_ptrIiEEEESD_ZNS1_13binary_searchIS3_S5_SD_SD_SD_NS1_21upper_bound_search_opENS9_16wrapped_functionINS0_4lessIvEEbEEEE10hipError_tPvRmT1_T2_T3_mmT4_T5_P12ihipStream_tbEUlRKiE_EESK_SO_SP_mSQ_ST_bEUlT_E_NS1_11comp_targetILNS1_3genE5ELNS1_11target_archE942ELNS1_3gpuE9ELNS1_3repE0EEENS1_30default_config_static_selectorELNS0_4arch9wavefront6targetE0EEEvSN_: ; @_ZN7rocprim17ROCPRIM_400000_NS6detail17trampoline_kernelINS0_14default_configENS1_27upper_bound_config_selectorIiiEEZNS1_14transform_implILb0ES3_S5_N6thrust23THRUST_200600_302600_NS6detail15normal_iteratorINS8_10device_ptrIiEEEESD_ZNS1_13binary_searchIS3_S5_SD_SD_SD_NS1_21upper_bound_search_opENS9_16wrapped_functionINS0_4lessIvEEbEEEE10hipError_tPvRmT1_T2_T3_mmT4_T5_P12ihipStream_tbEUlRKiE_EESK_SO_SP_mSQ_ST_bEUlT_E_NS1_11comp_targetILNS1_3genE5ELNS1_11target_archE942ELNS1_3gpuE9ELNS1_3repE0EEENS1_30default_config_static_selectorELNS0_4arch9wavefront6targetE0EEEvSN_
; %bb.0:
	.section	.rodata,"a",@progbits
	.p2align	6, 0x0
	.amdhsa_kernel _ZN7rocprim17ROCPRIM_400000_NS6detail17trampoline_kernelINS0_14default_configENS1_27upper_bound_config_selectorIiiEEZNS1_14transform_implILb0ES3_S5_N6thrust23THRUST_200600_302600_NS6detail15normal_iteratorINS8_10device_ptrIiEEEESD_ZNS1_13binary_searchIS3_S5_SD_SD_SD_NS1_21upper_bound_search_opENS9_16wrapped_functionINS0_4lessIvEEbEEEE10hipError_tPvRmT1_T2_T3_mmT4_T5_P12ihipStream_tbEUlRKiE_EESK_SO_SP_mSQ_ST_bEUlT_E_NS1_11comp_targetILNS1_3genE5ELNS1_11target_archE942ELNS1_3gpuE9ELNS1_3repE0EEENS1_30default_config_static_selectorELNS0_4arch9wavefront6targetE0EEEvSN_
		.amdhsa_group_segment_fixed_size 0
		.amdhsa_private_segment_fixed_size 0
		.amdhsa_kernarg_size 56
		.amdhsa_user_sgpr_count 15
		.amdhsa_user_sgpr_dispatch_ptr 0
		.amdhsa_user_sgpr_queue_ptr 0
		.amdhsa_user_sgpr_kernarg_segment_ptr 1
		.amdhsa_user_sgpr_dispatch_id 0
		.amdhsa_user_sgpr_private_segment_size 0
		.amdhsa_wavefront_size32 1
		.amdhsa_uses_dynamic_stack 0
		.amdhsa_enable_private_segment 0
		.amdhsa_system_sgpr_workgroup_id_x 1
		.amdhsa_system_sgpr_workgroup_id_y 0
		.amdhsa_system_sgpr_workgroup_id_z 0
		.amdhsa_system_sgpr_workgroup_info 0
		.amdhsa_system_vgpr_workitem_id 0
		.amdhsa_next_free_vgpr 1
		.amdhsa_next_free_sgpr 1
		.amdhsa_reserve_vcc 0
		.amdhsa_float_round_mode_32 0
		.amdhsa_float_round_mode_16_64 0
		.amdhsa_float_denorm_mode_32 3
		.amdhsa_float_denorm_mode_16_64 3
		.amdhsa_dx10_clamp 1
		.amdhsa_ieee_mode 1
		.amdhsa_fp16_overflow 0
		.amdhsa_workgroup_processor_mode 1
		.amdhsa_memory_ordered 1
		.amdhsa_forward_progress 0
		.amdhsa_shared_vgpr_count 0
		.amdhsa_exception_fp_ieee_invalid_op 0
		.amdhsa_exception_fp_denorm_src 0
		.amdhsa_exception_fp_ieee_div_zero 0
		.amdhsa_exception_fp_ieee_overflow 0
		.amdhsa_exception_fp_ieee_underflow 0
		.amdhsa_exception_fp_ieee_inexact 0
		.amdhsa_exception_int_div_zero 0
	.end_amdhsa_kernel
	.section	.text._ZN7rocprim17ROCPRIM_400000_NS6detail17trampoline_kernelINS0_14default_configENS1_27upper_bound_config_selectorIiiEEZNS1_14transform_implILb0ES3_S5_N6thrust23THRUST_200600_302600_NS6detail15normal_iteratorINS8_10device_ptrIiEEEESD_ZNS1_13binary_searchIS3_S5_SD_SD_SD_NS1_21upper_bound_search_opENS9_16wrapped_functionINS0_4lessIvEEbEEEE10hipError_tPvRmT1_T2_T3_mmT4_T5_P12ihipStream_tbEUlRKiE_EESK_SO_SP_mSQ_ST_bEUlT_E_NS1_11comp_targetILNS1_3genE5ELNS1_11target_archE942ELNS1_3gpuE9ELNS1_3repE0EEENS1_30default_config_static_selectorELNS0_4arch9wavefront6targetE0EEEvSN_,"axG",@progbits,_ZN7rocprim17ROCPRIM_400000_NS6detail17trampoline_kernelINS0_14default_configENS1_27upper_bound_config_selectorIiiEEZNS1_14transform_implILb0ES3_S5_N6thrust23THRUST_200600_302600_NS6detail15normal_iteratorINS8_10device_ptrIiEEEESD_ZNS1_13binary_searchIS3_S5_SD_SD_SD_NS1_21upper_bound_search_opENS9_16wrapped_functionINS0_4lessIvEEbEEEE10hipError_tPvRmT1_T2_T3_mmT4_T5_P12ihipStream_tbEUlRKiE_EESK_SO_SP_mSQ_ST_bEUlT_E_NS1_11comp_targetILNS1_3genE5ELNS1_11target_archE942ELNS1_3gpuE9ELNS1_3repE0EEENS1_30default_config_static_selectorELNS0_4arch9wavefront6targetE0EEEvSN_,comdat
.Lfunc_end385:
	.size	_ZN7rocprim17ROCPRIM_400000_NS6detail17trampoline_kernelINS0_14default_configENS1_27upper_bound_config_selectorIiiEEZNS1_14transform_implILb0ES3_S5_N6thrust23THRUST_200600_302600_NS6detail15normal_iteratorINS8_10device_ptrIiEEEESD_ZNS1_13binary_searchIS3_S5_SD_SD_SD_NS1_21upper_bound_search_opENS9_16wrapped_functionINS0_4lessIvEEbEEEE10hipError_tPvRmT1_T2_T3_mmT4_T5_P12ihipStream_tbEUlRKiE_EESK_SO_SP_mSQ_ST_bEUlT_E_NS1_11comp_targetILNS1_3genE5ELNS1_11target_archE942ELNS1_3gpuE9ELNS1_3repE0EEENS1_30default_config_static_selectorELNS0_4arch9wavefront6targetE0EEEvSN_, .Lfunc_end385-_ZN7rocprim17ROCPRIM_400000_NS6detail17trampoline_kernelINS0_14default_configENS1_27upper_bound_config_selectorIiiEEZNS1_14transform_implILb0ES3_S5_N6thrust23THRUST_200600_302600_NS6detail15normal_iteratorINS8_10device_ptrIiEEEESD_ZNS1_13binary_searchIS3_S5_SD_SD_SD_NS1_21upper_bound_search_opENS9_16wrapped_functionINS0_4lessIvEEbEEEE10hipError_tPvRmT1_T2_T3_mmT4_T5_P12ihipStream_tbEUlRKiE_EESK_SO_SP_mSQ_ST_bEUlT_E_NS1_11comp_targetILNS1_3genE5ELNS1_11target_archE942ELNS1_3gpuE9ELNS1_3repE0EEENS1_30default_config_static_selectorELNS0_4arch9wavefront6targetE0EEEvSN_
                                        ; -- End function
	.section	.AMDGPU.csdata,"",@progbits
; Kernel info:
; codeLenInByte = 0
; NumSgprs: 0
; NumVgprs: 0
; ScratchSize: 0
; MemoryBound: 0
; FloatMode: 240
; IeeeMode: 1
; LDSByteSize: 0 bytes/workgroup (compile time only)
; SGPRBlocks: 0
; VGPRBlocks: 0
; NumSGPRsForWavesPerEU: 1
; NumVGPRsForWavesPerEU: 1
; Occupancy: 16
; WaveLimiterHint : 0
; COMPUTE_PGM_RSRC2:SCRATCH_EN: 0
; COMPUTE_PGM_RSRC2:USER_SGPR: 15
; COMPUTE_PGM_RSRC2:TRAP_HANDLER: 0
; COMPUTE_PGM_RSRC2:TGID_X_EN: 1
; COMPUTE_PGM_RSRC2:TGID_Y_EN: 0
; COMPUTE_PGM_RSRC2:TGID_Z_EN: 0
; COMPUTE_PGM_RSRC2:TIDIG_COMP_CNT: 0
	.section	.text._ZN7rocprim17ROCPRIM_400000_NS6detail17trampoline_kernelINS0_14default_configENS1_27upper_bound_config_selectorIiiEEZNS1_14transform_implILb0ES3_S5_N6thrust23THRUST_200600_302600_NS6detail15normal_iteratorINS8_10device_ptrIiEEEESD_ZNS1_13binary_searchIS3_S5_SD_SD_SD_NS1_21upper_bound_search_opENS9_16wrapped_functionINS0_4lessIvEEbEEEE10hipError_tPvRmT1_T2_T3_mmT4_T5_P12ihipStream_tbEUlRKiE_EESK_SO_SP_mSQ_ST_bEUlT_E_NS1_11comp_targetILNS1_3genE4ELNS1_11target_archE910ELNS1_3gpuE8ELNS1_3repE0EEENS1_30default_config_static_selectorELNS0_4arch9wavefront6targetE0EEEvSN_,"axG",@progbits,_ZN7rocprim17ROCPRIM_400000_NS6detail17trampoline_kernelINS0_14default_configENS1_27upper_bound_config_selectorIiiEEZNS1_14transform_implILb0ES3_S5_N6thrust23THRUST_200600_302600_NS6detail15normal_iteratorINS8_10device_ptrIiEEEESD_ZNS1_13binary_searchIS3_S5_SD_SD_SD_NS1_21upper_bound_search_opENS9_16wrapped_functionINS0_4lessIvEEbEEEE10hipError_tPvRmT1_T2_T3_mmT4_T5_P12ihipStream_tbEUlRKiE_EESK_SO_SP_mSQ_ST_bEUlT_E_NS1_11comp_targetILNS1_3genE4ELNS1_11target_archE910ELNS1_3gpuE8ELNS1_3repE0EEENS1_30default_config_static_selectorELNS0_4arch9wavefront6targetE0EEEvSN_,comdat
	.protected	_ZN7rocprim17ROCPRIM_400000_NS6detail17trampoline_kernelINS0_14default_configENS1_27upper_bound_config_selectorIiiEEZNS1_14transform_implILb0ES3_S5_N6thrust23THRUST_200600_302600_NS6detail15normal_iteratorINS8_10device_ptrIiEEEESD_ZNS1_13binary_searchIS3_S5_SD_SD_SD_NS1_21upper_bound_search_opENS9_16wrapped_functionINS0_4lessIvEEbEEEE10hipError_tPvRmT1_T2_T3_mmT4_T5_P12ihipStream_tbEUlRKiE_EESK_SO_SP_mSQ_ST_bEUlT_E_NS1_11comp_targetILNS1_3genE4ELNS1_11target_archE910ELNS1_3gpuE8ELNS1_3repE0EEENS1_30default_config_static_selectorELNS0_4arch9wavefront6targetE0EEEvSN_ ; -- Begin function _ZN7rocprim17ROCPRIM_400000_NS6detail17trampoline_kernelINS0_14default_configENS1_27upper_bound_config_selectorIiiEEZNS1_14transform_implILb0ES3_S5_N6thrust23THRUST_200600_302600_NS6detail15normal_iteratorINS8_10device_ptrIiEEEESD_ZNS1_13binary_searchIS3_S5_SD_SD_SD_NS1_21upper_bound_search_opENS9_16wrapped_functionINS0_4lessIvEEbEEEE10hipError_tPvRmT1_T2_T3_mmT4_T5_P12ihipStream_tbEUlRKiE_EESK_SO_SP_mSQ_ST_bEUlT_E_NS1_11comp_targetILNS1_3genE4ELNS1_11target_archE910ELNS1_3gpuE8ELNS1_3repE0EEENS1_30default_config_static_selectorELNS0_4arch9wavefront6targetE0EEEvSN_
	.globl	_ZN7rocprim17ROCPRIM_400000_NS6detail17trampoline_kernelINS0_14default_configENS1_27upper_bound_config_selectorIiiEEZNS1_14transform_implILb0ES3_S5_N6thrust23THRUST_200600_302600_NS6detail15normal_iteratorINS8_10device_ptrIiEEEESD_ZNS1_13binary_searchIS3_S5_SD_SD_SD_NS1_21upper_bound_search_opENS9_16wrapped_functionINS0_4lessIvEEbEEEE10hipError_tPvRmT1_T2_T3_mmT4_T5_P12ihipStream_tbEUlRKiE_EESK_SO_SP_mSQ_ST_bEUlT_E_NS1_11comp_targetILNS1_3genE4ELNS1_11target_archE910ELNS1_3gpuE8ELNS1_3repE0EEENS1_30default_config_static_selectorELNS0_4arch9wavefront6targetE0EEEvSN_
	.p2align	8
	.type	_ZN7rocprim17ROCPRIM_400000_NS6detail17trampoline_kernelINS0_14default_configENS1_27upper_bound_config_selectorIiiEEZNS1_14transform_implILb0ES3_S5_N6thrust23THRUST_200600_302600_NS6detail15normal_iteratorINS8_10device_ptrIiEEEESD_ZNS1_13binary_searchIS3_S5_SD_SD_SD_NS1_21upper_bound_search_opENS9_16wrapped_functionINS0_4lessIvEEbEEEE10hipError_tPvRmT1_T2_T3_mmT4_T5_P12ihipStream_tbEUlRKiE_EESK_SO_SP_mSQ_ST_bEUlT_E_NS1_11comp_targetILNS1_3genE4ELNS1_11target_archE910ELNS1_3gpuE8ELNS1_3repE0EEENS1_30default_config_static_selectorELNS0_4arch9wavefront6targetE0EEEvSN_,@function
_ZN7rocprim17ROCPRIM_400000_NS6detail17trampoline_kernelINS0_14default_configENS1_27upper_bound_config_selectorIiiEEZNS1_14transform_implILb0ES3_S5_N6thrust23THRUST_200600_302600_NS6detail15normal_iteratorINS8_10device_ptrIiEEEESD_ZNS1_13binary_searchIS3_S5_SD_SD_SD_NS1_21upper_bound_search_opENS9_16wrapped_functionINS0_4lessIvEEbEEEE10hipError_tPvRmT1_T2_T3_mmT4_T5_P12ihipStream_tbEUlRKiE_EESK_SO_SP_mSQ_ST_bEUlT_E_NS1_11comp_targetILNS1_3genE4ELNS1_11target_archE910ELNS1_3gpuE8ELNS1_3repE0EEENS1_30default_config_static_selectorELNS0_4arch9wavefront6targetE0EEEvSN_: ; @_ZN7rocprim17ROCPRIM_400000_NS6detail17trampoline_kernelINS0_14default_configENS1_27upper_bound_config_selectorIiiEEZNS1_14transform_implILb0ES3_S5_N6thrust23THRUST_200600_302600_NS6detail15normal_iteratorINS8_10device_ptrIiEEEESD_ZNS1_13binary_searchIS3_S5_SD_SD_SD_NS1_21upper_bound_search_opENS9_16wrapped_functionINS0_4lessIvEEbEEEE10hipError_tPvRmT1_T2_T3_mmT4_T5_P12ihipStream_tbEUlRKiE_EESK_SO_SP_mSQ_ST_bEUlT_E_NS1_11comp_targetILNS1_3genE4ELNS1_11target_archE910ELNS1_3gpuE8ELNS1_3repE0EEENS1_30default_config_static_selectorELNS0_4arch9wavefront6targetE0EEEvSN_
; %bb.0:
	.section	.rodata,"a",@progbits
	.p2align	6, 0x0
	.amdhsa_kernel _ZN7rocprim17ROCPRIM_400000_NS6detail17trampoline_kernelINS0_14default_configENS1_27upper_bound_config_selectorIiiEEZNS1_14transform_implILb0ES3_S5_N6thrust23THRUST_200600_302600_NS6detail15normal_iteratorINS8_10device_ptrIiEEEESD_ZNS1_13binary_searchIS3_S5_SD_SD_SD_NS1_21upper_bound_search_opENS9_16wrapped_functionINS0_4lessIvEEbEEEE10hipError_tPvRmT1_T2_T3_mmT4_T5_P12ihipStream_tbEUlRKiE_EESK_SO_SP_mSQ_ST_bEUlT_E_NS1_11comp_targetILNS1_3genE4ELNS1_11target_archE910ELNS1_3gpuE8ELNS1_3repE0EEENS1_30default_config_static_selectorELNS0_4arch9wavefront6targetE0EEEvSN_
		.amdhsa_group_segment_fixed_size 0
		.amdhsa_private_segment_fixed_size 0
		.amdhsa_kernarg_size 56
		.amdhsa_user_sgpr_count 15
		.amdhsa_user_sgpr_dispatch_ptr 0
		.amdhsa_user_sgpr_queue_ptr 0
		.amdhsa_user_sgpr_kernarg_segment_ptr 1
		.amdhsa_user_sgpr_dispatch_id 0
		.amdhsa_user_sgpr_private_segment_size 0
		.amdhsa_wavefront_size32 1
		.amdhsa_uses_dynamic_stack 0
		.amdhsa_enable_private_segment 0
		.amdhsa_system_sgpr_workgroup_id_x 1
		.amdhsa_system_sgpr_workgroup_id_y 0
		.amdhsa_system_sgpr_workgroup_id_z 0
		.amdhsa_system_sgpr_workgroup_info 0
		.amdhsa_system_vgpr_workitem_id 0
		.amdhsa_next_free_vgpr 1
		.amdhsa_next_free_sgpr 1
		.amdhsa_reserve_vcc 0
		.amdhsa_float_round_mode_32 0
		.amdhsa_float_round_mode_16_64 0
		.amdhsa_float_denorm_mode_32 3
		.amdhsa_float_denorm_mode_16_64 3
		.amdhsa_dx10_clamp 1
		.amdhsa_ieee_mode 1
		.amdhsa_fp16_overflow 0
		.amdhsa_workgroup_processor_mode 1
		.amdhsa_memory_ordered 1
		.amdhsa_forward_progress 0
		.amdhsa_shared_vgpr_count 0
		.amdhsa_exception_fp_ieee_invalid_op 0
		.amdhsa_exception_fp_denorm_src 0
		.amdhsa_exception_fp_ieee_div_zero 0
		.amdhsa_exception_fp_ieee_overflow 0
		.amdhsa_exception_fp_ieee_underflow 0
		.amdhsa_exception_fp_ieee_inexact 0
		.amdhsa_exception_int_div_zero 0
	.end_amdhsa_kernel
	.section	.text._ZN7rocprim17ROCPRIM_400000_NS6detail17trampoline_kernelINS0_14default_configENS1_27upper_bound_config_selectorIiiEEZNS1_14transform_implILb0ES3_S5_N6thrust23THRUST_200600_302600_NS6detail15normal_iteratorINS8_10device_ptrIiEEEESD_ZNS1_13binary_searchIS3_S5_SD_SD_SD_NS1_21upper_bound_search_opENS9_16wrapped_functionINS0_4lessIvEEbEEEE10hipError_tPvRmT1_T2_T3_mmT4_T5_P12ihipStream_tbEUlRKiE_EESK_SO_SP_mSQ_ST_bEUlT_E_NS1_11comp_targetILNS1_3genE4ELNS1_11target_archE910ELNS1_3gpuE8ELNS1_3repE0EEENS1_30default_config_static_selectorELNS0_4arch9wavefront6targetE0EEEvSN_,"axG",@progbits,_ZN7rocprim17ROCPRIM_400000_NS6detail17trampoline_kernelINS0_14default_configENS1_27upper_bound_config_selectorIiiEEZNS1_14transform_implILb0ES3_S5_N6thrust23THRUST_200600_302600_NS6detail15normal_iteratorINS8_10device_ptrIiEEEESD_ZNS1_13binary_searchIS3_S5_SD_SD_SD_NS1_21upper_bound_search_opENS9_16wrapped_functionINS0_4lessIvEEbEEEE10hipError_tPvRmT1_T2_T3_mmT4_T5_P12ihipStream_tbEUlRKiE_EESK_SO_SP_mSQ_ST_bEUlT_E_NS1_11comp_targetILNS1_3genE4ELNS1_11target_archE910ELNS1_3gpuE8ELNS1_3repE0EEENS1_30default_config_static_selectorELNS0_4arch9wavefront6targetE0EEEvSN_,comdat
.Lfunc_end386:
	.size	_ZN7rocprim17ROCPRIM_400000_NS6detail17trampoline_kernelINS0_14default_configENS1_27upper_bound_config_selectorIiiEEZNS1_14transform_implILb0ES3_S5_N6thrust23THRUST_200600_302600_NS6detail15normal_iteratorINS8_10device_ptrIiEEEESD_ZNS1_13binary_searchIS3_S5_SD_SD_SD_NS1_21upper_bound_search_opENS9_16wrapped_functionINS0_4lessIvEEbEEEE10hipError_tPvRmT1_T2_T3_mmT4_T5_P12ihipStream_tbEUlRKiE_EESK_SO_SP_mSQ_ST_bEUlT_E_NS1_11comp_targetILNS1_3genE4ELNS1_11target_archE910ELNS1_3gpuE8ELNS1_3repE0EEENS1_30default_config_static_selectorELNS0_4arch9wavefront6targetE0EEEvSN_, .Lfunc_end386-_ZN7rocprim17ROCPRIM_400000_NS6detail17trampoline_kernelINS0_14default_configENS1_27upper_bound_config_selectorIiiEEZNS1_14transform_implILb0ES3_S5_N6thrust23THRUST_200600_302600_NS6detail15normal_iteratorINS8_10device_ptrIiEEEESD_ZNS1_13binary_searchIS3_S5_SD_SD_SD_NS1_21upper_bound_search_opENS9_16wrapped_functionINS0_4lessIvEEbEEEE10hipError_tPvRmT1_T2_T3_mmT4_T5_P12ihipStream_tbEUlRKiE_EESK_SO_SP_mSQ_ST_bEUlT_E_NS1_11comp_targetILNS1_3genE4ELNS1_11target_archE910ELNS1_3gpuE8ELNS1_3repE0EEENS1_30default_config_static_selectorELNS0_4arch9wavefront6targetE0EEEvSN_
                                        ; -- End function
	.section	.AMDGPU.csdata,"",@progbits
; Kernel info:
; codeLenInByte = 0
; NumSgprs: 0
; NumVgprs: 0
; ScratchSize: 0
; MemoryBound: 0
; FloatMode: 240
; IeeeMode: 1
; LDSByteSize: 0 bytes/workgroup (compile time only)
; SGPRBlocks: 0
; VGPRBlocks: 0
; NumSGPRsForWavesPerEU: 1
; NumVGPRsForWavesPerEU: 1
; Occupancy: 16
; WaveLimiterHint : 0
; COMPUTE_PGM_RSRC2:SCRATCH_EN: 0
; COMPUTE_PGM_RSRC2:USER_SGPR: 15
; COMPUTE_PGM_RSRC2:TRAP_HANDLER: 0
; COMPUTE_PGM_RSRC2:TGID_X_EN: 1
; COMPUTE_PGM_RSRC2:TGID_Y_EN: 0
; COMPUTE_PGM_RSRC2:TGID_Z_EN: 0
; COMPUTE_PGM_RSRC2:TIDIG_COMP_CNT: 0
	.section	.text._ZN7rocprim17ROCPRIM_400000_NS6detail17trampoline_kernelINS0_14default_configENS1_27upper_bound_config_selectorIiiEEZNS1_14transform_implILb0ES3_S5_N6thrust23THRUST_200600_302600_NS6detail15normal_iteratorINS8_10device_ptrIiEEEESD_ZNS1_13binary_searchIS3_S5_SD_SD_SD_NS1_21upper_bound_search_opENS9_16wrapped_functionINS0_4lessIvEEbEEEE10hipError_tPvRmT1_T2_T3_mmT4_T5_P12ihipStream_tbEUlRKiE_EESK_SO_SP_mSQ_ST_bEUlT_E_NS1_11comp_targetILNS1_3genE3ELNS1_11target_archE908ELNS1_3gpuE7ELNS1_3repE0EEENS1_30default_config_static_selectorELNS0_4arch9wavefront6targetE0EEEvSN_,"axG",@progbits,_ZN7rocprim17ROCPRIM_400000_NS6detail17trampoline_kernelINS0_14default_configENS1_27upper_bound_config_selectorIiiEEZNS1_14transform_implILb0ES3_S5_N6thrust23THRUST_200600_302600_NS6detail15normal_iteratorINS8_10device_ptrIiEEEESD_ZNS1_13binary_searchIS3_S5_SD_SD_SD_NS1_21upper_bound_search_opENS9_16wrapped_functionINS0_4lessIvEEbEEEE10hipError_tPvRmT1_T2_T3_mmT4_T5_P12ihipStream_tbEUlRKiE_EESK_SO_SP_mSQ_ST_bEUlT_E_NS1_11comp_targetILNS1_3genE3ELNS1_11target_archE908ELNS1_3gpuE7ELNS1_3repE0EEENS1_30default_config_static_selectorELNS0_4arch9wavefront6targetE0EEEvSN_,comdat
	.protected	_ZN7rocprim17ROCPRIM_400000_NS6detail17trampoline_kernelINS0_14default_configENS1_27upper_bound_config_selectorIiiEEZNS1_14transform_implILb0ES3_S5_N6thrust23THRUST_200600_302600_NS6detail15normal_iteratorINS8_10device_ptrIiEEEESD_ZNS1_13binary_searchIS3_S5_SD_SD_SD_NS1_21upper_bound_search_opENS9_16wrapped_functionINS0_4lessIvEEbEEEE10hipError_tPvRmT1_T2_T3_mmT4_T5_P12ihipStream_tbEUlRKiE_EESK_SO_SP_mSQ_ST_bEUlT_E_NS1_11comp_targetILNS1_3genE3ELNS1_11target_archE908ELNS1_3gpuE7ELNS1_3repE0EEENS1_30default_config_static_selectorELNS0_4arch9wavefront6targetE0EEEvSN_ ; -- Begin function _ZN7rocprim17ROCPRIM_400000_NS6detail17trampoline_kernelINS0_14default_configENS1_27upper_bound_config_selectorIiiEEZNS1_14transform_implILb0ES3_S5_N6thrust23THRUST_200600_302600_NS6detail15normal_iteratorINS8_10device_ptrIiEEEESD_ZNS1_13binary_searchIS3_S5_SD_SD_SD_NS1_21upper_bound_search_opENS9_16wrapped_functionINS0_4lessIvEEbEEEE10hipError_tPvRmT1_T2_T3_mmT4_T5_P12ihipStream_tbEUlRKiE_EESK_SO_SP_mSQ_ST_bEUlT_E_NS1_11comp_targetILNS1_3genE3ELNS1_11target_archE908ELNS1_3gpuE7ELNS1_3repE0EEENS1_30default_config_static_selectorELNS0_4arch9wavefront6targetE0EEEvSN_
	.globl	_ZN7rocprim17ROCPRIM_400000_NS6detail17trampoline_kernelINS0_14default_configENS1_27upper_bound_config_selectorIiiEEZNS1_14transform_implILb0ES3_S5_N6thrust23THRUST_200600_302600_NS6detail15normal_iteratorINS8_10device_ptrIiEEEESD_ZNS1_13binary_searchIS3_S5_SD_SD_SD_NS1_21upper_bound_search_opENS9_16wrapped_functionINS0_4lessIvEEbEEEE10hipError_tPvRmT1_T2_T3_mmT4_T5_P12ihipStream_tbEUlRKiE_EESK_SO_SP_mSQ_ST_bEUlT_E_NS1_11comp_targetILNS1_3genE3ELNS1_11target_archE908ELNS1_3gpuE7ELNS1_3repE0EEENS1_30default_config_static_selectorELNS0_4arch9wavefront6targetE0EEEvSN_
	.p2align	8
	.type	_ZN7rocprim17ROCPRIM_400000_NS6detail17trampoline_kernelINS0_14default_configENS1_27upper_bound_config_selectorIiiEEZNS1_14transform_implILb0ES3_S5_N6thrust23THRUST_200600_302600_NS6detail15normal_iteratorINS8_10device_ptrIiEEEESD_ZNS1_13binary_searchIS3_S5_SD_SD_SD_NS1_21upper_bound_search_opENS9_16wrapped_functionINS0_4lessIvEEbEEEE10hipError_tPvRmT1_T2_T3_mmT4_T5_P12ihipStream_tbEUlRKiE_EESK_SO_SP_mSQ_ST_bEUlT_E_NS1_11comp_targetILNS1_3genE3ELNS1_11target_archE908ELNS1_3gpuE7ELNS1_3repE0EEENS1_30default_config_static_selectorELNS0_4arch9wavefront6targetE0EEEvSN_,@function
_ZN7rocprim17ROCPRIM_400000_NS6detail17trampoline_kernelINS0_14default_configENS1_27upper_bound_config_selectorIiiEEZNS1_14transform_implILb0ES3_S5_N6thrust23THRUST_200600_302600_NS6detail15normal_iteratorINS8_10device_ptrIiEEEESD_ZNS1_13binary_searchIS3_S5_SD_SD_SD_NS1_21upper_bound_search_opENS9_16wrapped_functionINS0_4lessIvEEbEEEE10hipError_tPvRmT1_T2_T3_mmT4_T5_P12ihipStream_tbEUlRKiE_EESK_SO_SP_mSQ_ST_bEUlT_E_NS1_11comp_targetILNS1_3genE3ELNS1_11target_archE908ELNS1_3gpuE7ELNS1_3repE0EEENS1_30default_config_static_selectorELNS0_4arch9wavefront6targetE0EEEvSN_: ; @_ZN7rocprim17ROCPRIM_400000_NS6detail17trampoline_kernelINS0_14default_configENS1_27upper_bound_config_selectorIiiEEZNS1_14transform_implILb0ES3_S5_N6thrust23THRUST_200600_302600_NS6detail15normal_iteratorINS8_10device_ptrIiEEEESD_ZNS1_13binary_searchIS3_S5_SD_SD_SD_NS1_21upper_bound_search_opENS9_16wrapped_functionINS0_4lessIvEEbEEEE10hipError_tPvRmT1_T2_T3_mmT4_T5_P12ihipStream_tbEUlRKiE_EESK_SO_SP_mSQ_ST_bEUlT_E_NS1_11comp_targetILNS1_3genE3ELNS1_11target_archE908ELNS1_3gpuE7ELNS1_3repE0EEENS1_30default_config_static_selectorELNS0_4arch9wavefront6targetE0EEEvSN_
; %bb.0:
	.section	.rodata,"a",@progbits
	.p2align	6, 0x0
	.amdhsa_kernel _ZN7rocprim17ROCPRIM_400000_NS6detail17trampoline_kernelINS0_14default_configENS1_27upper_bound_config_selectorIiiEEZNS1_14transform_implILb0ES3_S5_N6thrust23THRUST_200600_302600_NS6detail15normal_iteratorINS8_10device_ptrIiEEEESD_ZNS1_13binary_searchIS3_S5_SD_SD_SD_NS1_21upper_bound_search_opENS9_16wrapped_functionINS0_4lessIvEEbEEEE10hipError_tPvRmT1_T2_T3_mmT4_T5_P12ihipStream_tbEUlRKiE_EESK_SO_SP_mSQ_ST_bEUlT_E_NS1_11comp_targetILNS1_3genE3ELNS1_11target_archE908ELNS1_3gpuE7ELNS1_3repE0EEENS1_30default_config_static_selectorELNS0_4arch9wavefront6targetE0EEEvSN_
		.amdhsa_group_segment_fixed_size 0
		.amdhsa_private_segment_fixed_size 0
		.amdhsa_kernarg_size 56
		.amdhsa_user_sgpr_count 15
		.amdhsa_user_sgpr_dispatch_ptr 0
		.amdhsa_user_sgpr_queue_ptr 0
		.amdhsa_user_sgpr_kernarg_segment_ptr 1
		.amdhsa_user_sgpr_dispatch_id 0
		.amdhsa_user_sgpr_private_segment_size 0
		.amdhsa_wavefront_size32 1
		.amdhsa_uses_dynamic_stack 0
		.amdhsa_enable_private_segment 0
		.amdhsa_system_sgpr_workgroup_id_x 1
		.amdhsa_system_sgpr_workgroup_id_y 0
		.amdhsa_system_sgpr_workgroup_id_z 0
		.amdhsa_system_sgpr_workgroup_info 0
		.amdhsa_system_vgpr_workitem_id 0
		.amdhsa_next_free_vgpr 1
		.amdhsa_next_free_sgpr 1
		.amdhsa_reserve_vcc 0
		.amdhsa_float_round_mode_32 0
		.amdhsa_float_round_mode_16_64 0
		.amdhsa_float_denorm_mode_32 3
		.amdhsa_float_denorm_mode_16_64 3
		.amdhsa_dx10_clamp 1
		.amdhsa_ieee_mode 1
		.amdhsa_fp16_overflow 0
		.amdhsa_workgroup_processor_mode 1
		.amdhsa_memory_ordered 1
		.amdhsa_forward_progress 0
		.amdhsa_shared_vgpr_count 0
		.amdhsa_exception_fp_ieee_invalid_op 0
		.amdhsa_exception_fp_denorm_src 0
		.amdhsa_exception_fp_ieee_div_zero 0
		.amdhsa_exception_fp_ieee_overflow 0
		.amdhsa_exception_fp_ieee_underflow 0
		.amdhsa_exception_fp_ieee_inexact 0
		.amdhsa_exception_int_div_zero 0
	.end_amdhsa_kernel
	.section	.text._ZN7rocprim17ROCPRIM_400000_NS6detail17trampoline_kernelINS0_14default_configENS1_27upper_bound_config_selectorIiiEEZNS1_14transform_implILb0ES3_S5_N6thrust23THRUST_200600_302600_NS6detail15normal_iteratorINS8_10device_ptrIiEEEESD_ZNS1_13binary_searchIS3_S5_SD_SD_SD_NS1_21upper_bound_search_opENS9_16wrapped_functionINS0_4lessIvEEbEEEE10hipError_tPvRmT1_T2_T3_mmT4_T5_P12ihipStream_tbEUlRKiE_EESK_SO_SP_mSQ_ST_bEUlT_E_NS1_11comp_targetILNS1_3genE3ELNS1_11target_archE908ELNS1_3gpuE7ELNS1_3repE0EEENS1_30default_config_static_selectorELNS0_4arch9wavefront6targetE0EEEvSN_,"axG",@progbits,_ZN7rocprim17ROCPRIM_400000_NS6detail17trampoline_kernelINS0_14default_configENS1_27upper_bound_config_selectorIiiEEZNS1_14transform_implILb0ES3_S5_N6thrust23THRUST_200600_302600_NS6detail15normal_iteratorINS8_10device_ptrIiEEEESD_ZNS1_13binary_searchIS3_S5_SD_SD_SD_NS1_21upper_bound_search_opENS9_16wrapped_functionINS0_4lessIvEEbEEEE10hipError_tPvRmT1_T2_T3_mmT4_T5_P12ihipStream_tbEUlRKiE_EESK_SO_SP_mSQ_ST_bEUlT_E_NS1_11comp_targetILNS1_3genE3ELNS1_11target_archE908ELNS1_3gpuE7ELNS1_3repE0EEENS1_30default_config_static_selectorELNS0_4arch9wavefront6targetE0EEEvSN_,comdat
.Lfunc_end387:
	.size	_ZN7rocprim17ROCPRIM_400000_NS6detail17trampoline_kernelINS0_14default_configENS1_27upper_bound_config_selectorIiiEEZNS1_14transform_implILb0ES3_S5_N6thrust23THRUST_200600_302600_NS6detail15normal_iteratorINS8_10device_ptrIiEEEESD_ZNS1_13binary_searchIS3_S5_SD_SD_SD_NS1_21upper_bound_search_opENS9_16wrapped_functionINS0_4lessIvEEbEEEE10hipError_tPvRmT1_T2_T3_mmT4_T5_P12ihipStream_tbEUlRKiE_EESK_SO_SP_mSQ_ST_bEUlT_E_NS1_11comp_targetILNS1_3genE3ELNS1_11target_archE908ELNS1_3gpuE7ELNS1_3repE0EEENS1_30default_config_static_selectorELNS0_4arch9wavefront6targetE0EEEvSN_, .Lfunc_end387-_ZN7rocprim17ROCPRIM_400000_NS6detail17trampoline_kernelINS0_14default_configENS1_27upper_bound_config_selectorIiiEEZNS1_14transform_implILb0ES3_S5_N6thrust23THRUST_200600_302600_NS6detail15normal_iteratorINS8_10device_ptrIiEEEESD_ZNS1_13binary_searchIS3_S5_SD_SD_SD_NS1_21upper_bound_search_opENS9_16wrapped_functionINS0_4lessIvEEbEEEE10hipError_tPvRmT1_T2_T3_mmT4_T5_P12ihipStream_tbEUlRKiE_EESK_SO_SP_mSQ_ST_bEUlT_E_NS1_11comp_targetILNS1_3genE3ELNS1_11target_archE908ELNS1_3gpuE7ELNS1_3repE0EEENS1_30default_config_static_selectorELNS0_4arch9wavefront6targetE0EEEvSN_
                                        ; -- End function
	.section	.AMDGPU.csdata,"",@progbits
; Kernel info:
; codeLenInByte = 0
; NumSgprs: 0
; NumVgprs: 0
; ScratchSize: 0
; MemoryBound: 0
; FloatMode: 240
; IeeeMode: 1
; LDSByteSize: 0 bytes/workgroup (compile time only)
; SGPRBlocks: 0
; VGPRBlocks: 0
; NumSGPRsForWavesPerEU: 1
; NumVGPRsForWavesPerEU: 1
; Occupancy: 16
; WaveLimiterHint : 0
; COMPUTE_PGM_RSRC2:SCRATCH_EN: 0
; COMPUTE_PGM_RSRC2:USER_SGPR: 15
; COMPUTE_PGM_RSRC2:TRAP_HANDLER: 0
; COMPUTE_PGM_RSRC2:TGID_X_EN: 1
; COMPUTE_PGM_RSRC2:TGID_Y_EN: 0
; COMPUTE_PGM_RSRC2:TGID_Z_EN: 0
; COMPUTE_PGM_RSRC2:TIDIG_COMP_CNT: 0
	.section	.text._ZN7rocprim17ROCPRIM_400000_NS6detail17trampoline_kernelINS0_14default_configENS1_27upper_bound_config_selectorIiiEEZNS1_14transform_implILb0ES3_S5_N6thrust23THRUST_200600_302600_NS6detail15normal_iteratorINS8_10device_ptrIiEEEESD_ZNS1_13binary_searchIS3_S5_SD_SD_SD_NS1_21upper_bound_search_opENS9_16wrapped_functionINS0_4lessIvEEbEEEE10hipError_tPvRmT1_T2_T3_mmT4_T5_P12ihipStream_tbEUlRKiE_EESK_SO_SP_mSQ_ST_bEUlT_E_NS1_11comp_targetILNS1_3genE2ELNS1_11target_archE906ELNS1_3gpuE6ELNS1_3repE0EEENS1_30default_config_static_selectorELNS0_4arch9wavefront6targetE0EEEvSN_,"axG",@progbits,_ZN7rocprim17ROCPRIM_400000_NS6detail17trampoline_kernelINS0_14default_configENS1_27upper_bound_config_selectorIiiEEZNS1_14transform_implILb0ES3_S5_N6thrust23THRUST_200600_302600_NS6detail15normal_iteratorINS8_10device_ptrIiEEEESD_ZNS1_13binary_searchIS3_S5_SD_SD_SD_NS1_21upper_bound_search_opENS9_16wrapped_functionINS0_4lessIvEEbEEEE10hipError_tPvRmT1_T2_T3_mmT4_T5_P12ihipStream_tbEUlRKiE_EESK_SO_SP_mSQ_ST_bEUlT_E_NS1_11comp_targetILNS1_3genE2ELNS1_11target_archE906ELNS1_3gpuE6ELNS1_3repE0EEENS1_30default_config_static_selectorELNS0_4arch9wavefront6targetE0EEEvSN_,comdat
	.protected	_ZN7rocprim17ROCPRIM_400000_NS6detail17trampoline_kernelINS0_14default_configENS1_27upper_bound_config_selectorIiiEEZNS1_14transform_implILb0ES3_S5_N6thrust23THRUST_200600_302600_NS6detail15normal_iteratorINS8_10device_ptrIiEEEESD_ZNS1_13binary_searchIS3_S5_SD_SD_SD_NS1_21upper_bound_search_opENS9_16wrapped_functionINS0_4lessIvEEbEEEE10hipError_tPvRmT1_T2_T3_mmT4_T5_P12ihipStream_tbEUlRKiE_EESK_SO_SP_mSQ_ST_bEUlT_E_NS1_11comp_targetILNS1_3genE2ELNS1_11target_archE906ELNS1_3gpuE6ELNS1_3repE0EEENS1_30default_config_static_selectorELNS0_4arch9wavefront6targetE0EEEvSN_ ; -- Begin function _ZN7rocprim17ROCPRIM_400000_NS6detail17trampoline_kernelINS0_14default_configENS1_27upper_bound_config_selectorIiiEEZNS1_14transform_implILb0ES3_S5_N6thrust23THRUST_200600_302600_NS6detail15normal_iteratorINS8_10device_ptrIiEEEESD_ZNS1_13binary_searchIS3_S5_SD_SD_SD_NS1_21upper_bound_search_opENS9_16wrapped_functionINS0_4lessIvEEbEEEE10hipError_tPvRmT1_T2_T3_mmT4_T5_P12ihipStream_tbEUlRKiE_EESK_SO_SP_mSQ_ST_bEUlT_E_NS1_11comp_targetILNS1_3genE2ELNS1_11target_archE906ELNS1_3gpuE6ELNS1_3repE0EEENS1_30default_config_static_selectorELNS0_4arch9wavefront6targetE0EEEvSN_
	.globl	_ZN7rocprim17ROCPRIM_400000_NS6detail17trampoline_kernelINS0_14default_configENS1_27upper_bound_config_selectorIiiEEZNS1_14transform_implILb0ES3_S5_N6thrust23THRUST_200600_302600_NS6detail15normal_iteratorINS8_10device_ptrIiEEEESD_ZNS1_13binary_searchIS3_S5_SD_SD_SD_NS1_21upper_bound_search_opENS9_16wrapped_functionINS0_4lessIvEEbEEEE10hipError_tPvRmT1_T2_T3_mmT4_T5_P12ihipStream_tbEUlRKiE_EESK_SO_SP_mSQ_ST_bEUlT_E_NS1_11comp_targetILNS1_3genE2ELNS1_11target_archE906ELNS1_3gpuE6ELNS1_3repE0EEENS1_30default_config_static_selectorELNS0_4arch9wavefront6targetE0EEEvSN_
	.p2align	8
	.type	_ZN7rocprim17ROCPRIM_400000_NS6detail17trampoline_kernelINS0_14default_configENS1_27upper_bound_config_selectorIiiEEZNS1_14transform_implILb0ES3_S5_N6thrust23THRUST_200600_302600_NS6detail15normal_iteratorINS8_10device_ptrIiEEEESD_ZNS1_13binary_searchIS3_S5_SD_SD_SD_NS1_21upper_bound_search_opENS9_16wrapped_functionINS0_4lessIvEEbEEEE10hipError_tPvRmT1_T2_T3_mmT4_T5_P12ihipStream_tbEUlRKiE_EESK_SO_SP_mSQ_ST_bEUlT_E_NS1_11comp_targetILNS1_3genE2ELNS1_11target_archE906ELNS1_3gpuE6ELNS1_3repE0EEENS1_30default_config_static_selectorELNS0_4arch9wavefront6targetE0EEEvSN_,@function
_ZN7rocprim17ROCPRIM_400000_NS6detail17trampoline_kernelINS0_14default_configENS1_27upper_bound_config_selectorIiiEEZNS1_14transform_implILb0ES3_S5_N6thrust23THRUST_200600_302600_NS6detail15normal_iteratorINS8_10device_ptrIiEEEESD_ZNS1_13binary_searchIS3_S5_SD_SD_SD_NS1_21upper_bound_search_opENS9_16wrapped_functionINS0_4lessIvEEbEEEE10hipError_tPvRmT1_T2_T3_mmT4_T5_P12ihipStream_tbEUlRKiE_EESK_SO_SP_mSQ_ST_bEUlT_E_NS1_11comp_targetILNS1_3genE2ELNS1_11target_archE906ELNS1_3gpuE6ELNS1_3repE0EEENS1_30default_config_static_selectorELNS0_4arch9wavefront6targetE0EEEvSN_: ; @_ZN7rocprim17ROCPRIM_400000_NS6detail17trampoline_kernelINS0_14default_configENS1_27upper_bound_config_selectorIiiEEZNS1_14transform_implILb0ES3_S5_N6thrust23THRUST_200600_302600_NS6detail15normal_iteratorINS8_10device_ptrIiEEEESD_ZNS1_13binary_searchIS3_S5_SD_SD_SD_NS1_21upper_bound_search_opENS9_16wrapped_functionINS0_4lessIvEEbEEEE10hipError_tPvRmT1_T2_T3_mmT4_T5_P12ihipStream_tbEUlRKiE_EESK_SO_SP_mSQ_ST_bEUlT_E_NS1_11comp_targetILNS1_3genE2ELNS1_11target_archE906ELNS1_3gpuE6ELNS1_3repE0EEENS1_30default_config_static_selectorELNS0_4arch9wavefront6targetE0EEEvSN_
; %bb.0:
	.section	.rodata,"a",@progbits
	.p2align	6, 0x0
	.amdhsa_kernel _ZN7rocprim17ROCPRIM_400000_NS6detail17trampoline_kernelINS0_14default_configENS1_27upper_bound_config_selectorIiiEEZNS1_14transform_implILb0ES3_S5_N6thrust23THRUST_200600_302600_NS6detail15normal_iteratorINS8_10device_ptrIiEEEESD_ZNS1_13binary_searchIS3_S5_SD_SD_SD_NS1_21upper_bound_search_opENS9_16wrapped_functionINS0_4lessIvEEbEEEE10hipError_tPvRmT1_T2_T3_mmT4_T5_P12ihipStream_tbEUlRKiE_EESK_SO_SP_mSQ_ST_bEUlT_E_NS1_11comp_targetILNS1_3genE2ELNS1_11target_archE906ELNS1_3gpuE6ELNS1_3repE0EEENS1_30default_config_static_selectorELNS0_4arch9wavefront6targetE0EEEvSN_
		.amdhsa_group_segment_fixed_size 0
		.amdhsa_private_segment_fixed_size 0
		.amdhsa_kernarg_size 56
		.amdhsa_user_sgpr_count 15
		.amdhsa_user_sgpr_dispatch_ptr 0
		.amdhsa_user_sgpr_queue_ptr 0
		.amdhsa_user_sgpr_kernarg_segment_ptr 1
		.amdhsa_user_sgpr_dispatch_id 0
		.amdhsa_user_sgpr_private_segment_size 0
		.amdhsa_wavefront_size32 1
		.amdhsa_uses_dynamic_stack 0
		.amdhsa_enable_private_segment 0
		.amdhsa_system_sgpr_workgroup_id_x 1
		.amdhsa_system_sgpr_workgroup_id_y 0
		.amdhsa_system_sgpr_workgroup_id_z 0
		.amdhsa_system_sgpr_workgroup_info 0
		.amdhsa_system_vgpr_workitem_id 0
		.amdhsa_next_free_vgpr 1
		.amdhsa_next_free_sgpr 1
		.amdhsa_reserve_vcc 0
		.amdhsa_float_round_mode_32 0
		.amdhsa_float_round_mode_16_64 0
		.amdhsa_float_denorm_mode_32 3
		.amdhsa_float_denorm_mode_16_64 3
		.amdhsa_dx10_clamp 1
		.amdhsa_ieee_mode 1
		.amdhsa_fp16_overflow 0
		.amdhsa_workgroup_processor_mode 1
		.amdhsa_memory_ordered 1
		.amdhsa_forward_progress 0
		.amdhsa_shared_vgpr_count 0
		.amdhsa_exception_fp_ieee_invalid_op 0
		.amdhsa_exception_fp_denorm_src 0
		.amdhsa_exception_fp_ieee_div_zero 0
		.amdhsa_exception_fp_ieee_overflow 0
		.amdhsa_exception_fp_ieee_underflow 0
		.amdhsa_exception_fp_ieee_inexact 0
		.amdhsa_exception_int_div_zero 0
	.end_amdhsa_kernel
	.section	.text._ZN7rocprim17ROCPRIM_400000_NS6detail17trampoline_kernelINS0_14default_configENS1_27upper_bound_config_selectorIiiEEZNS1_14transform_implILb0ES3_S5_N6thrust23THRUST_200600_302600_NS6detail15normal_iteratorINS8_10device_ptrIiEEEESD_ZNS1_13binary_searchIS3_S5_SD_SD_SD_NS1_21upper_bound_search_opENS9_16wrapped_functionINS0_4lessIvEEbEEEE10hipError_tPvRmT1_T2_T3_mmT4_T5_P12ihipStream_tbEUlRKiE_EESK_SO_SP_mSQ_ST_bEUlT_E_NS1_11comp_targetILNS1_3genE2ELNS1_11target_archE906ELNS1_3gpuE6ELNS1_3repE0EEENS1_30default_config_static_selectorELNS0_4arch9wavefront6targetE0EEEvSN_,"axG",@progbits,_ZN7rocprim17ROCPRIM_400000_NS6detail17trampoline_kernelINS0_14default_configENS1_27upper_bound_config_selectorIiiEEZNS1_14transform_implILb0ES3_S5_N6thrust23THRUST_200600_302600_NS6detail15normal_iteratorINS8_10device_ptrIiEEEESD_ZNS1_13binary_searchIS3_S5_SD_SD_SD_NS1_21upper_bound_search_opENS9_16wrapped_functionINS0_4lessIvEEbEEEE10hipError_tPvRmT1_T2_T3_mmT4_T5_P12ihipStream_tbEUlRKiE_EESK_SO_SP_mSQ_ST_bEUlT_E_NS1_11comp_targetILNS1_3genE2ELNS1_11target_archE906ELNS1_3gpuE6ELNS1_3repE0EEENS1_30default_config_static_selectorELNS0_4arch9wavefront6targetE0EEEvSN_,comdat
.Lfunc_end388:
	.size	_ZN7rocprim17ROCPRIM_400000_NS6detail17trampoline_kernelINS0_14default_configENS1_27upper_bound_config_selectorIiiEEZNS1_14transform_implILb0ES3_S5_N6thrust23THRUST_200600_302600_NS6detail15normal_iteratorINS8_10device_ptrIiEEEESD_ZNS1_13binary_searchIS3_S5_SD_SD_SD_NS1_21upper_bound_search_opENS9_16wrapped_functionINS0_4lessIvEEbEEEE10hipError_tPvRmT1_T2_T3_mmT4_T5_P12ihipStream_tbEUlRKiE_EESK_SO_SP_mSQ_ST_bEUlT_E_NS1_11comp_targetILNS1_3genE2ELNS1_11target_archE906ELNS1_3gpuE6ELNS1_3repE0EEENS1_30default_config_static_selectorELNS0_4arch9wavefront6targetE0EEEvSN_, .Lfunc_end388-_ZN7rocprim17ROCPRIM_400000_NS6detail17trampoline_kernelINS0_14default_configENS1_27upper_bound_config_selectorIiiEEZNS1_14transform_implILb0ES3_S5_N6thrust23THRUST_200600_302600_NS6detail15normal_iteratorINS8_10device_ptrIiEEEESD_ZNS1_13binary_searchIS3_S5_SD_SD_SD_NS1_21upper_bound_search_opENS9_16wrapped_functionINS0_4lessIvEEbEEEE10hipError_tPvRmT1_T2_T3_mmT4_T5_P12ihipStream_tbEUlRKiE_EESK_SO_SP_mSQ_ST_bEUlT_E_NS1_11comp_targetILNS1_3genE2ELNS1_11target_archE906ELNS1_3gpuE6ELNS1_3repE0EEENS1_30default_config_static_selectorELNS0_4arch9wavefront6targetE0EEEvSN_
                                        ; -- End function
	.section	.AMDGPU.csdata,"",@progbits
; Kernel info:
; codeLenInByte = 0
; NumSgprs: 0
; NumVgprs: 0
; ScratchSize: 0
; MemoryBound: 0
; FloatMode: 240
; IeeeMode: 1
; LDSByteSize: 0 bytes/workgroup (compile time only)
; SGPRBlocks: 0
; VGPRBlocks: 0
; NumSGPRsForWavesPerEU: 1
; NumVGPRsForWavesPerEU: 1
; Occupancy: 16
; WaveLimiterHint : 0
; COMPUTE_PGM_RSRC2:SCRATCH_EN: 0
; COMPUTE_PGM_RSRC2:USER_SGPR: 15
; COMPUTE_PGM_RSRC2:TRAP_HANDLER: 0
; COMPUTE_PGM_RSRC2:TGID_X_EN: 1
; COMPUTE_PGM_RSRC2:TGID_Y_EN: 0
; COMPUTE_PGM_RSRC2:TGID_Z_EN: 0
; COMPUTE_PGM_RSRC2:TIDIG_COMP_CNT: 0
	.section	.text._ZN7rocprim17ROCPRIM_400000_NS6detail17trampoline_kernelINS0_14default_configENS1_27upper_bound_config_selectorIiiEEZNS1_14transform_implILb0ES3_S5_N6thrust23THRUST_200600_302600_NS6detail15normal_iteratorINS8_10device_ptrIiEEEESD_ZNS1_13binary_searchIS3_S5_SD_SD_SD_NS1_21upper_bound_search_opENS9_16wrapped_functionINS0_4lessIvEEbEEEE10hipError_tPvRmT1_T2_T3_mmT4_T5_P12ihipStream_tbEUlRKiE_EESK_SO_SP_mSQ_ST_bEUlT_E_NS1_11comp_targetILNS1_3genE10ELNS1_11target_archE1201ELNS1_3gpuE5ELNS1_3repE0EEENS1_30default_config_static_selectorELNS0_4arch9wavefront6targetE0EEEvSN_,"axG",@progbits,_ZN7rocprim17ROCPRIM_400000_NS6detail17trampoline_kernelINS0_14default_configENS1_27upper_bound_config_selectorIiiEEZNS1_14transform_implILb0ES3_S5_N6thrust23THRUST_200600_302600_NS6detail15normal_iteratorINS8_10device_ptrIiEEEESD_ZNS1_13binary_searchIS3_S5_SD_SD_SD_NS1_21upper_bound_search_opENS9_16wrapped_functionINS0_4lessIvEEbEEEE10hipError_tPvRmT1_T2_T3_mmT4_T5_P12ihipStream_tbEUlRKiE_EESK_SO_SP_mSQ_ST_bEUlT_E_NS1_11comp_targetILNS1_3genE10ELNS1_11target_archE1201ELNS1_3gpuE5ELNS1_3repE0EEENS1_30default_config_static_selectorELNS0_4arch9wavefront6targetE0EEEvSN_,comdat
	.protected	_ZN7rocprim17ROCPRIM_400000_NS6detail17trampoline_kernelINS0_14default_configENS1_27upper_bound_config_selectorIiiEEZNS1_14transform_implILb0ES3_S5_N6thrust23THRUST_200600_302600_NS6detail15normal_iteratorINS8_10device_ptrIiEEEESD_ZNS1_13binary_searchIS3_S5_SD_SD_SD_NS1_21upper_bound_search_opENS9_16wrapped_functionINS0_4lessIvEEbEEEE10hipError_tPvRmT1_T2_T3_mmT4_T5_P12ihipStream_tbEUlRKiE_EESK_SO_SP_mSQ_ST_bEUlT_E_NS1_11comp_targetILNS1_3genE10ELNS1_11target_archE1201ELNS1_3gpuE5ELNS1_3repE0EEENS1_30default_config_static_selectorELNS0_4arch9wavefront6targetE0EEEvSN_ ; -- Begin function _ZN7rocprim17ROCPRIM_400000_NS6detail17trampoline_kernelINS0_14default_configENS1_27upper_bound_config_selectorIiiEEZNS1_14transform_implILb0ES3_S5_N6thrust23THRUST_200600_302600_NS6detail15normal_iteratorINS8_10device_ptrIiEEEESD_ZNS1_13binary_searchIS3_S5_SD_SD_SD_NS1_21upper_bound_search_opENS9_16wrapped_functionINS0_4lessIvEEbEEEE10hipError_tPvRmT1_T2_T3_mmT4_T5_P12ihipStream_tbEUlRKiE_EESK_SO_SP_mSQ_ST_bEUlT_E_NS1_11comp_targetILNS1_3genE10ELNS1_11target_archE1201ELNS1_3gpuE5ELNS1_3repE0EEENS1_30default_config_static_selectorELNS0_4arch9wavefront6targetE0EEEvSN_
	.globl	_ZN7rocprim17ROCPRIM_400000_NS6detail17trampoline_kernelINS0_14default_configENS1_27upper_bound_config_selectorIiiEEZNS1_14transform_implILb0ES3_S5_N6thrust23THRUST_200600_302600_NS6detail15normal_iteratorINS8_10device_ptrIiEEEESD_ZNS1_13binary_searchIS3_S5_SD_SD_SD_NS1_21upper_bound_search_opENS9_16wrapped_functionINS0_4lessIvEEbEEEE10hipError_tPvRmT1_T2_T3_mmT4_T5_P12ihipStream_tbEUlRKiE_EESK_SO_SP_mSQ_ST_bEUlT_E_NS1_11comp_targetILNS1_3genE10ELNS1_11target_archE1201ELNS1_3gpuE5ELNS1_3repE0EEENS1_30default_config_static_selectorELNS0_4arch9wavefront6targetE0EEEvSN_
	.p2align	8
	.type	_ZN7rocprim17ROCPRIM_400000_NS6detail17trampoline_kernelINS0_14default_configENS1_27upper_bound_config_selectorIiiEEZNS1_14transform_implILb0ES3_S5_N6thrust23THRUST_200600_302600_NS6detail15normal_iteratorINS8_10device_ptrIiEEEESD_ZNS1_13binary_searchIS3_S5_SD_SD_SD_NS1_21upper_bound_search_opENS9_16wrapped_functionINS0_4lessIvEEbEEEE10hipError_tPvRmT1_T2_T3_mmT4_T5_P12ihipStream_tbEUlRKiE_EESK_SO_SP_mSQ_ST_bEUlT_E_NS1_11comp_targetILNS1_3genE10ELNS1_11target_archE1201ELNS1_3gpuE5ELNS1_3repE0EEENS1_30default_config_static_selectorELNS0_4arch9wavefront6targetE0EEEvSN_,@function
_ZN7rocprim17ROCPRIM_400000_NS6detail17trampoline_kernelINS0_14default_configENS1_27upper_bound_config_selectorIiiEEZNS1_14transform_implILb0ES3_S5_N6thrust23THRUST_200600_302600_NS6detail15normal_iteratorINS8_10device_ptrIiEEEESD_ZNS1_13binary_searchIS3_S5_SD_SD_SD_NS1_21upper_bound_search_opENS9_16wrapped_functionINS0_4lessIvEEbEEEE10hipError_tPvRmT1_T2_T3_mmT4_T5_P12ihipStream_tbEUlRKiE_EESK_SO_SP_mSQ_ST_bEUlT_E_NS1_11comp_targetILNS1_3genE10ELNS1_11target_archE1201ELNS1_3gpuE5ELNS1_3repE0EEENS1_30default_config_static_selectorELNS0_4arch9wavefront6targetE0EEEvSN_: ; @_ZN7rocprim17ROCPRIM_400000_NS6detail17trampoline_kernelINS0_14default_configENS1_27upper_bound_config_selectorIiiEEZNS1_14transform_implILb0ES3_S5_N6thrust23THRUST_200600_302600_NS6detail15normal_iteratorINS8_10device_ptrIiEEEESD_ZNS1_13binary_searchIS3_S5_SD_SD_SD_NS1_21upper_bound_search_opENS9_16wrapped_functionINS0_4lessIvEEbEEEE10hipError_tPvRmT1_T2_T3_mmT4_T5_P12ihipStream_tbEUlRKiE_EESK_SO_SP_mSQ_ST_bEUlT_E_NS1_11comp_targetILNS1_3genE10ELNS1_11target_archE1201ELNS1_3gpuE5ELNS1_3repE0EEENS1_30default_config_static_selectorELNS0_4arch9wavefront6targetE0EEEvSN_
; %bb.0:
	.section	.rodata,"a",@progbits
	.p2align	6, 0x0
	.amdhsa_kernel _ZN7rocprim17ROCPRIM_400000_NS6detail17trampoline_kernelINS0_14default_configENS1_27upper_bound_config_selectorIiiEEZNS1_14transform_implILb0ES3_S5_N6thrust23THRUST_200600_302600_NS6detail15normal_iteratorINS8_10device_ptrIiEEEESD_ZNS1_13binary_searchIS3_S5_SD_SD_SD_NS1_21upper_bound_search_opENS9_16wrapped_functionINS0_4lessIvEEbEEEE10hipError_tPvRmT1_T2_T3_mmT4_T5_P12ihipStream_tbEUlRKiE_EESK_SO_SP_mSQ_ST_bEUlT_E_NS1_11comp_targetILNS1_3genE10ELNS1_11target_archE1201ELNS1_3gpuE5ELNS1_3repE0EEENS1_30default_config_static_selectorELNS0_4arch9wavefront6targetE0EEEvSN_
		.amdhsa_group_segment_fixed_size 0
		.amdhsa_private_segment_fixed_size 0
		.amdhsa_kernarg_size 56
		.amdhsa_user_sgpr_count 15
		.amdhsa_user_sgpr_dispatch_ptr 0
		.amdhsa_user_sgpr_queue_ptr 0
		.amdhsa_user_sgpr_kernarg_segment_ptr 1
		.amdhsa_user_sgpr_dispatch_id 0
		.amdhsa_user_sgpr_private_segment_size 0
		.amdhsa_wavefront_size32 1
		.amdhsa_uses_dynamic_stack 0
		.amdhsa_enable_private_segment 0
		.amdhsa_system_sgpr_workgroup_id_x 1
		.amdhsa_system_sgpr_workgroup_id_y 0
		.amdhsa_system_sgpr_workgroup_id_z 0
		.amdhsa_system_sgpr_workgroup_info 0
		.amdhsa_system_vgpr_workitem_id 0
		.amdhsa_next_free_vgpr 1
		.amdhsa_next_free_sgpr 1
		.amdhsa_reserve_vcc 0
		.amdhsa_float_round_mode_32 0
		.amdhsa_float_round_mode_16_64 0
		.amdhsa_float_denorm_mode_32 3
		.amdhsa_float_denorm_mode_16_64 3
		.amdhsa_dx10_clamp 1
		.amdhsa_ieee_mode 1
		.amdhsa_fp16_overflow 0
		.amdhsa_workgroup_processor_mode 1
		.amdhsa_memory_ordered 1
		.amdhsa_forward_progress 0
		.amdhsa_shared_vgpr_count 0
		.amdhsa_exception_fp_ieee_invalid_op 0
		.amdhsa_exception_fp_denorm_src 0
		.amdhsa_exception_fp_ieee_div_zero 0
		.amdhsa_exception_fp_ieee_overflow 0
		.amdhsa_exception_fp_ieee_underflow 0
		.amdhsa_exception_fp_ieee_inexact 0
		.amdhsa_exception_int_div_zero 0
	.end_amdhsa_kernel
	.section	.text._ZN7rocprim17ROCPRIM_400000_NS6detail17trampoline_kernelINS0_14default_configENS1_27upper_bound_config_selectorIiiEEZNS1_14transform_implILb0ES3_S5_N6thrust23THRUST_200600_302600_NS6detail15normal_iteratorINS8_10device_ptrIiEEEESD_ZNS1_13binary_searchIS3_S5_SD_SD_SD_NS1_21upper_bound_search_opENS9_16wrapped_functionINS0_4lessIvEEbEEEE10hipError_tPvRmT1_T2_T3_mmT4_T5_P12ihipStream_tbEUlRKiE_EESK_SO_SP_mSQ_ST_bEUlT_E_NS1_11comp_targetILNS1_3genE10ELNS1_11target_archE1201ELNS1_3gpuE5ELNS1_3repE0EEENS1_30default_config_static_selectorELNS0_4arch9wavefront6targetE0EEEvSN_,"axG",@progbits,_ZN7rocprim17ROCPRIM_400000_NS6detail17trampoline_kernelINS0_14default_configENS1_27upper_bound_config_selectorIiiEEZNS1_14transform_implILb0ES3_S5_N6thrust23THRUST_200600_302600_NS6detail15normal_iteratorINS8_10device_ptrIiEEEESD_ZNS1_13binary_searchIS3_S5_SD_SD_SD_NS1_21upper_bound_search_opENS9_16wrapped_functionINS0_4lessIvEEbEEEE10hipError_tPvRmT1_T2_T3_mmT4_T5_P12ihipStream_tbEUlRKiE_EESK_SO_SP_mSQ_ST_bEUlT_E_NS1_11comp_targetILNS1_3genE10ELNS1_11target_archE1201ELNS1_3gpuE5ELNS1_3repE0EEENS1_30default_config_static_selectorELNS0_4arch9wavefront6targetE0EEEvSN_,comdat
.Lfunc_end389:
	.size	_ZN7rocprim17ROCPRIM_400000_NS6detail17trampoline_kernelINS0_14default_configENS1_27upper_bound_config_selectorIiiEEZNS1_14transform_implILb0ES3_S5_N6thrust23THRUST_200600_302600_NS6detail15normal_iteratorINS8_10device_ptrIiEEEESD_ZNS1_13binary_searchIS3_S5_SD_SD_SD_NS1_21upper_bound_search_opENS9_16wrapped_functionINS0_4lessIvEEbEEEE10hipError_tPvRmT1_T2_T3_mmT4_T5_P12ihipStream_tbEUlRKiE_EESK_SO_SP_mSQ_ST_bEUlT_E_NS1_11comp_targetILNS1_3genE10ELNS1_11target_archE1201ELNS1_3gpuE5ELNS1_3repE0EEENS1_30default_config_static_selectorELNS0_4arch9wavefront6targetE0EEEvSN_, .Lfunc_end389-_ZN7rocprim17ROCPRIM_400000_NS6detail17trampoline_kernelINS0_14default_configENS1_27upper_bound_config_selectorIiiEEZNS1_14transform_implILb0ES3_S5_N6thrust23THRUST_200600_302600_NS6detail15normal_iteratorINS8_10device_ptrIiEEEESD_ZNS1_13binary_searchIS3_S5_SD_SD_SD_NS1_21upper_bound_search_opENS9_16wrapped_functionINS0_4lessIvEEbEEEE10hipError_tPvRmT1_T2_T3_mmT4_T5_P12ihipStream_tbEUlRKiE_EESK_SO_SP_mSQ_ST_bEUlT_E_NS1_11comp_targetILNS1_3genE10ELNS1_11target_archE1201ELNS1_3gpuE5ELNS1_3repE0EEENS1_30default_config_static_selectorELNS0_4arch9wavefront6targetE0EEEvSN_
                                        ; -- End function
	.section	.AMDGPU.csdata,"",@progbits
; Kernel info:
; codeLenInByte = 0
; NumSgprs: 0
; NumVgprs: 0
; ScratchSize: 0
; MemoryBound: 0
; FloatMode: 240
; IeeeMode: 1
; LDSByteSize: 0 bytes/workgroup (compile time only)
; SGPRBlocks: 0
; VGPRBlocks: 0
; NumSGPRsForWavesPerEU: 1
; NumVGPRsForWavesPerEU: 1
; Occupancy: 16
; WaveLimiterHint : 0
; COMPUTE_PGM_RSRC2:SCRATCH_EN: 0
; COMPUTE_PGM_RSRC2:USER_SGPR: 15
; COMPUTE_PGM_RSRC2:TRAP_HANDLER: 0
; COMPUTE_PGM_RSRC2:TGID_X_EN: 1
; COMPUTE_PGM_RSRC2:TGID_Y_EN: 0
; COMPUTE_PGM_RSRC2:TGID_Z_EN: 0
; COMPUTE_PGM_RSRC2:TIDIG_COMP_CNT: 0
	.section	.text._ZN7rocprim17ROCPRIM_400000_NS6detail17trampoline_kernelINS0_14default_configENS1_27upper_bound_config_selectorIiiEEZNS1_14transform_implILb0ES3_S5_N6thrust23THRUST_200600_302600_NS6detail15normal_iteratorINS8_10device_ptrIiEEEESD_ZNS1_13binary_searchIS3_S5_SD_SD_SD_NS1_21upper_bound_search_opENS9_16wrapped_functionINS0_4lessIvEEbEEEE10hipError_tPvRmT1_T2_T3_mmT4_T5_P12ihipStream_tbEUlRKiE_EESK_SO_SP_mSQ_ST_bEUlT_E_NS1_11comp_targetILNS1_3genE10ELNS1_11target_archE1200ELNS1_3gpuE4ELNS1_3repE0EEENS1_30default_config_static_selectorELNS0_4arch9wavefront6targetE0EEEvSN_,"axG",@progbits,_ZN7rocprim17ROCPRIM_400000_NS6detail17trampoline_kernelINS0_14default_configENS1_27upper_bound_config_selectorIiiEEZNS1_14transform_implILb0ES3_S5_N6thrust23THRUST_200600_302600_NS6detail15normal_iteratorINS8_10device_ptrIiEEEESD_ZNS1_13binary_searchIS3_S5_SD_SD_SD_NS1_21upper_bound_search_opENS9_16wrapped_functionINS0_4lessIvEEbEEEE10hipError_tPvRmT1_T2_T3_mmT4_T5_P12ihipStream_tbEUlRKiE_EESK_SO_SP_mSQ_ST_bEUlT_E_NS1_11comp_targetILNS1_3genE10ELNS1_11target_archE1200ELNS1_3gpuE4ELNS1_3repE0EEENS1_30default_config_static_selectorELNS0_4arch9wavefront6targetE0EEEvSN_,comdat
	.protected	_ZN7rocprim17ROCPRIM_400000_NS6detail17trampoline_kernelINS0_14default_configENS1_27upper_bound_config_selectorIiiEEZNS1_14transform_implILb0ES3_S5_N6thrust23THRUST_200600_302600_NS6detail15normal_iteratorINS8_10device_ptrIiEEEESD_ZNS1_13binary_searchIS3_S5_SD_SD_SD_NS1_21upper_bound_search_opENS9_16wrapped_functionINS0_4lessIvEEbEEEE10hipError_tPvRmT1_T2_T3_mmT4_T5_P12ihipStream_tbEUlRKiE_EESK_SO_SP_mSQ_ST_bEUlT_E_NS1_11comp_targetILNS1_3genE10ELNS1_11target_archE1200ELNS1_3gpuE4ELNS1_3repE0EEENS1_30default_config_static_selectorELNS0_4arch9wavefront6targetE0EEEvSN_ ; -- Begin function _ZN7rocprim17ROCPRIM_400000_NS6detail17trampoline_kernelINS0_14default_configENS1_27upper_bound_config_selectorIiiEEZNS1_14transform_implILb0ES3_S5_N6thrust23THRUST_200600_302600_NS6detail15normal_iteratorINS8_10device_ptrIiEEEESD_ZNS1_13binary_searchIS3_S5_SD_SD_SD_NS1_21upper_bound_search_opENS9_16wrapped_functionINS0_4lessIvEEbEEEE10hipError_tPvRmT1_T2_T3_mmT4_T5_P12ihipStream_tbEUlRKiE_EESK_SO_SP_mSQ_ST_bEUlT_E_NS1_11comp_targetILNS1_3genE10ELNS1_11target_archE1200ELNS1_3gpuE4ELNS1_3repE0EEENS1_30default_config_static_selectorELNS0_4arch9wavefront6targetE0EEEvSN_
	.globl	_ZN7rocprim17ROCPRIM_400000_NS6detail17trampoline_kernelINS0_14default_configENS1_27upper_bound_config_selectorIiiEEZNS1_14transform_implILb0ES3_S5_N6thrust23THRUST_200600_302600_NS6detail15normal_iteratorINS8_10device_ptrIiEEEESD_ZNS1_13binary_searchIS3_S5_SD_SD_SD_NS1_21upper_bound_search_opENS9_16wrapped_functionINS0_4lessIvEEbEEEE10hipError_tPvRmT1_T2_T3_mmT4_T5_P12ihipStream_tbEUlRKiE_EESK_SO_SP_mSQ_ST_bEUlT_E_NS1_11comp_targetILNS1_3genE10ELNS1_11target_archE1200ELNS1_3gpuE4ELNS1_3repE0EEENS1_30default_config_static_selectorELNS0_4arch9wavefront6targetE0EEEvSN_
	.p2align	8
	.type	_ZN7rocprim17ROCPRIM_400000_NS6detail17trampoline_kernelINS0_14default_configENS1_27upper_bound_config_selectorIiiEEZNS1_14transform_implILb0ES3_S5_N6thrust23THRUST_200600_302600_NS6detail15normal_iteratorINS8_10device_ptrIiEEEESD_ZNS1_13binary_searchIS3_S5_SD_SD_SD_NS1_21upper_bound_search_opENS9_16wrapped_functionINS0_4lessIvEEbEEEE10hipError_tPvRmT1_T2_T3_mmT4_T5_P12ihipStream_tbEUlRKiE_EESK_SO_SP_mSQ_ST_bEUlT_E_NS1_11comp_targetILNS1_3genE10ELNS1_11target_archE1200ELNS1_3gpuE4ELNS1_3repE0EEENS1_30default_config_static_selectorELNS0_4arch9wavefront6targetE0EEEvSN_,@function
_ZN7rocprim17ROCPRIM_400000_NS6detail17trampoline_kernelINS0_14default_configENS1_27upper_bound_config_selectorIiiEEZNS1_14transform_implILb0ES3_S5_N6thrust23THRUST_200600_302600_NS6detail15normal_iteratorINS8_10device_ptrIiEEEESD_ZNS1_13binary_searchIS3_S5_SD_SD_SD_NS1_21upper_bound_search_opENS9_16wrapped_functionINS0_4lessIvEEbEEEE10hipError_tPvRmT1_T2_T3_mmT4_T5_P12ihipStream_tbEUlRKiE_EESK_SO_SP_mSQ_ST_bEUlT_E_NS1_11comp_targetILNS1_3genE10ELNS1_11target_archE1200ELNS1_3gpuE4ELNS1_3repE0EEENS1_30default_config_static_selectorELNS0_4arch9wavefront6targetE0EEEvSN_: ; @_ZN7rocprim17ROCPRIM_400000_NS6detail17trampoline_kernelINS0_14default_configENS1_27upper_bound_config_selectorIiiEEZNS1_14transform_implILb0ES3_S5_N6thrust23THRUST_200600_302600_NS6detail15normal_iteratorINS8_10device_ptrIiEEEESD_ZNS1_13binary_searchIS3_S5_SD_SD_SD_NS1_21upper_bound_search_opENS9_16wrapped_functionINS0_4lessIvEEbEEEE10hipError_tPvRmT1_T2_T3_mmT4_T5_P12ihipStream_tbEUlRKiE_EESK_SO_SP_mSQ_ST_bEUlT_E_NS1_11comp_targetILNS1_3genE10ELNS1_11target_archE1200ELNS1_3gpuE4ELNS1_3repE0EEENS1_30default_config_static_selectorELNS0_4arch9wavefront6targetE0EEEvSN_
; %bb.0:
	.section	.rodata,"a",@progbits
	.p2align	6, 0x0
	.amdhsa_kernel _ZN7rocprim17ROCPRIM_400000_NS6detail17trampoline_kernelINS0_14default_configENS1_27upper_bound_config_selectorIiiEEZNS1_14transform_implILb0ES3_S5_N6thrust23THRUST_200600_302600_NS6detail15normal_iteratorINS8_10device_ptrIiEEEESD_ZNS1_13binary_searchIS3_S5_SD_SD_SD_NS1_21upper_bound_search_opENS9_16wrapped_functionINS0_4lessIvEEbEEEE10hipError_tPvRmT1_T2_T3_mmT4_T5_P12ihipStream_tbEUlRKiE_EESK_SO_SP_mSQ_ST_bEUlT_E_NS1_11comp_targetILNS1_3genE10ELNS1_11target_archE1200ELNS1_3gpuE4ELNS1_3repE0EEENS1_30default_config_static_selectorELNS0_4arch9wavefront6targetE0EEEvSN_
		.amdhsa_group_segment_fixed_size 0
		.amdhsa_private_segment_fixed_size 0
		.amdhsa_kernarg_size 56
		.amdhsa_user_sgpr_count 15
		.amdhsa_user_sgpr_dispatch_ptr 0
		.amdhsa_user_sgpr_queue_ptr 0
		.amdhsa_user_sgpr_kernarg_segment_ptr 1
		.amdhsa_user_sgpr_dispatch_id 0
		.amdhsa_user_sgpr_private_segment_size 0
		.amdhsa_wavefront_size32 1
		.amdhsa_uses_dynamic_stack 0
		.amdhsa_enable_private_segment 0
		.amdhsa_system_sgpr_workgroup_id_x 1
		.amdhsa_system_sgpr_workgroup_id_y 0
		.amdhsa_system_sgpr_workgroup_id_z 0
		.amdhsa_system_sgpr_workgroup_info 0
		.amdhsa_system_vgpr_workitem_id 0
		.amdhsa_next_free_vgpr 1
		.amdhsa_next_free_sgpr 1
		.amdhsa_reserve_vcc 0
		.amdhsa_float_round_mode_32 0
		.amdhsa_float_round_mode_16_64 0
		.amdhsa_float_denorm_mode_32 3
		.amdhsa_float_denorm_mode_16_64 3
		.amdhsa_dx10_clamp 1
		.amdhsa_ieee_mode 1
		.amdhsa_fp16_overflow 0
		.amdhsa_workgroup_processor_mode 1
		.amdhsa_memory_ordered 1
		.amdhsa_forward_progress 0
		.amdhsa_shared_vgpr_count 0
		.amdhsa_exception_fp_ieee_invalid_op 0
		.amdhsa_exception_fp_denorm_src 0
		.amdhsa_exception_fp_ieee_div_zero 0
		.amdhsa_exception_fp_ieee_overflow 0
		.amdhsa_exception_fp_ieee_underflow 0
		.amdhsa_exception_fp_ieee_inexact 0
		.amdhsa_exception_int_div_zero 0
	.end_amdhsa_kernel
	.section	.text._ZN7rocprim17ROCPRIM_400000_NS6detail17trampoline_kernelINS0_14default_configENS1_27upper_bound_config_selectorIiiEEZNS1_14transform_implILb0ES3_S5_N6thrust23THRUST_200600_302600_NS6detail15normal_iteratorINS8_10device_ptrIiEEEESD_ZNS1_13binary_searchIS3_S5_SD_SD_SD_NS1_21upper_bound_search_opENS9_16wrapped_functionINS0_4lessIvEEbEEEE10hipError_tPvRmT1_T2_T3_mmT4_T5_P12ihipStream_tbEUlRKiE_EESK_SO_SP_mSQ_ST_bEUlT_E_NS1_11comp_targetILNS1_3genE10ELNS1_11target_archE1200ELNS1_3gpuE4ELNS1_3repE0EEENS1_30default_config_static_selectorELNS0_4arch9wavefront6targetE0EEEvSN_,"axG",@progbits,_ZN7rocprim17ROCPRIM_400000_NS6detail17trampoline_kernelINS0_14default_configENS1_27upper_bound_config_selectorIiiEEZNS1_14transform_implILb0ES3_S5_N6thrust23THRUST_200600_302600_NS6detail15normal_iteratorINS8_10device_ptrIiEEEESD_ZNS1_13binary_searchIS3_S5_SD_SD_SD_NS1_21upper_bound_search_opENS9_16wrapped_functionINS0_4lessIvEEbEEEE10hipError_tPvRmT1_T2_T3_mmT4_T5_P12ihipStream_tbEUlRKiE_EESK_SO_SP_mSQ_ST_bEUlT_E_NS1_11comp_targetILNS1_3genE10ELNS1_11target_archE1200ELNS1_3gpuE4ELNS1_3repE0EEENS1_30default_config_static_selectorELNS0_4arch9wavefront6targetE0EEEvSN_,comdat
.Lfunc_end390:
	.size	_ZN7rocprim17ROCPRIM_400000_NS6detail17trampoline_kernelINS0_14default_configENS1_27upper_bound_config_selectorIiiEEZNS1_14transform_implILb0ES3_S5_N6thrust23THRUST_200600_302600_NS6detail15normal_iteratorINS8_10device_ptrIiEEEESD_ZNS1_13binary_searchIS3_S5_SD_SD_SD_NS1_21upper_bound_search_opENS9_16wrapped_functionINS0_4lessIvEEbEEEE10hipError_tPvRmT1_T2_T3_mmT4_T5_P12ihipStream_tbEUlRKiE_EESK_SO_SP_mSQ_ST_bEUlT_E_NS1_11comp_targetILNS1_3genE10ELNS1_11target_archE1200ELNS1_3gpuE4ELNS1_3repE0EEENS1_30default_config_static_selectorELNS0_4arch9wavefront6targetE0EEEvSN_, .Lfunc_end390-_ZN7rocprim17ROCPRIM_400000_NS6detail17trampoline_kernelINS0_14default_configENS1_27upper_bound_config_selectorIiiEEZNS1_14transform_implILb0ES3_S5_N6thrust23THRUST_200600_302600_NS6detail15normal_iteratorINS8_10device_ptrIiEEEESD_ZNS1_13binary_searchIS3_S5_SD_SD_SD_NS1_21upper_bound_search_opENS9_16wrapped_functionINS0_4lessIvEEbEEEE10hipError_tPvRmT1_T2_T3_mmT4_T5_P12ihipStream_tbEUlRKiE_EESK_SO_SP_mSQ_ST_bEUlT_E_NS1_11comp_targetILNS1_3genE10ELNS1_11target_archE1200ELNS1_3gpuE4ELNS1_3repE0EEENS1_30default_config_static_selectorELNS0_4arch9wavefront6targetE0EEEvSN_
                                        ; -- End function
	.section	.AMDGPU.csdata,"",@progbits
; Kernel info:
; codeLenInByte = 0
; NumSgprs: 0
; NumVgprs: 0
; ScratchSize: 0
; MemoryBound: 0
; FloatMode: 240
; IeeeMode: 1
; LDSByteSize: 0 bytes/workgroup (compile time only)
; SGPRBlocks: 0
; VGPRBlocks: 0
; NumSGPRsForWavesPerEU: 1
; NumVGPRsForWavesPerEU: 1
; Occupancy: 16
; WaveLimiterHint : 0
; COMPUTE_PGM_RSRC2:SCRATCH_EN: 0
; COMPUTE_PGM_RSRC2:USER_SGPR: 15
; COMPUTE_PGM_RSRC2:TRAP_HANDLER: 0
; COMPUTE_PGM_RSRC2:TGID_X_EN: 1
; COMPUTE_PGM_RSRC2:TGID_Y_EN: 0
; COMPUTE_PGM_RSRC2:TGID_Z_EN: 0
; COMPUTE_PGM_RSRC2:TIDIG_COMP_CNT: 0
	.section	.text._ZN7rocprim17ROCPRIM_400000_NS6detail17trampoline_kernelINS0_14default_configENS1_27upper_bound_config_selectorIiiEEZNS1_14transform_implILb0ES3_S5_N6thrust23THRUST_200600_302600_NS6detail15normal_iteratorINS8_10device_ptrIiEEEESD_ZNS1_13binary_searchIS3_S5_SD_SD_SD_NS1_21upper_bound_search_opENS9_16wrapped_functionINS0_4lessIvEEbEEEE10hipError_tPvRmT1_T2_T3_mmT4_T5_P12ihipStream_tbEUlRKiE_EESK_SO_SP_mSQ_ST_bEUlT_E_NS1_11comp_targetILNS1_3genE9ELNS1_11target_archE1100ELNS1_3gpuE3ELNS1_3repE0EEENS1_30default_config_static_selectorELNS0_4arch9wavefront6targetE0EEEvSN_,"axG",@progbits,_ZN7rocprim17ROCPRIM_400000_NS6detail17trampoline_kernelINS0_14default_configENS1_27upper_bound_config_selectorIiiEEZNS1_14transform_implILb0ES3_S5_N6thrust23THRUST_200600_302600_NS6detail15normal_iteratorINS8_10device_ptrIiEEEESD_ZNS1_13binary_searchIS3_S5_SD_SD_SD_NS1_21upper_bound_search_opENS9_16wrapped_functionINS0_4lessIvEEbEEEE10hipError_tPvRmT1_T2_T3_mmT4_T5_P12ihipStream_tbEUlRKiE_EESK_SO_SP_mSQ_ST_bEUlT_E_NS1_11comp_targetILNS1_3genE9ELNS1_11target_archE1100ELNS1_3gpuE3ELNS1_3repE0EEENS1_30default_config_static_selectorELNS0_4arch9wavefront6targetE0EEEvSN_,comdat
	.protected	_ZN7rocprim17ROCPRIM_400000_NS6detail17trampoline_kernelINS0_14default_configENS1_27upper_bound_config_selectorIiiEEZNS1_14transform_implILb0ES3_S5_N6thrust23THRUST_200600_302600_NS6detail15normal_iteratorINS8_10device_ptrIiEEEESD_ZNS1_13binary_searchIS3_S5_SD_SD_SD_NS1_21upper_bound_search_opENS9_16wrapped_functionINS0_4lessIvEEbEEEE10hipError_tPvRmT1_T2_T3_mmT4_T5_P12ihipStream_tbEUlRKiE_EESK_SO_SP_mSQ_ST_bEUlT_E_NS1_11comp_targetILNS1_3genE9ELNS1_11target_archE1100ELNS1_3gpuE3ELNS1_3repE0EEENS1_30default_config_static_selectorELNS0_4arch9wavefront6targetE0EEEvSN_ ; -- Begin function _ZN7rocprim17ROCPRIM_400000_NS6detail17trampoline_kernelINS0_14default_configENS1_27upper_bound_config_selectorIiiEEZNS1_14transform_implILb0ES3_S5_N6thrust23THRUST_200600_302600_NS6detail15normal_iteratorINS8_10device_ptrIiEEEESD_ZNS1_13binary_searchIS3_S5_SD_SD_SD_NS1_21upper_bound_search_opENS9_16wrapped_functionINS0_4lessIvEEbEEEE10hipError_tPvRmT1_T2_T3_mmT4_T5_P12ihipStream_tbEUlRKiE_EESK_SO_SP_mSQ_ST_bEUlT_E_NS1_11comp_targetILNS1_3genE9ELNS1_11target_archE1100ELNS1_3gpuE3ELNS1_3repE0EEENS1_30default_config_static_selectorELNS0_4arch9wavefront6targetE0EEEvSN_
	.globl	_ZN7rocprim17ROCPRIM_400000_NS6detail17trampoline_kernelINS0_14default_configENS1_27upper_bound_config_selectorIiiEEZNS1_14transform_implILb0ES3_S5_N6thrust23THRUST_200600_302600_NS6detail15normal_iteratorINS8_10device_ptrIiEEEESD_ZNS1_13binary_searchIS3_S5_SD_SD_SD_NS1_21upper_bound_search_opENS9_16wrapped_functionINS0_4lessIvEEbEEEE10hipError_tPvRmT1_T2_T3_mmT4_T5_P12ihipStream_tbEUlRKiE_EESK_SO_SP_mSQ_ST_bEUlT_E_NS1_11comp_targetILNS1_3genE9ELNS1_11target_archE1100ELNS1_3gpuE3ELNS1_3repE0EEENS1_30default_config_static_selectorELNS0_4arch9wavefront6targetE0EEEvSN_
	.p2align	8
	.type	_ZN7rocprim17ROCPRIM_400000_NS6detail17trampoline_kernelINS0_14default_configENS1_27upper_bound_config_selectorIiiEEZNS1_14transform_implILb0ES3_S5_N6thrust23THRUST_200600_302600_NS6detail15normal_iteratorINS8_10device_ptrIiEEEESD_ZNS1_13binary_searchIS3_S5_SD_SD_SD_NS1_21upper_bound_search_opENS9_16wrapped_functionINS0_4lessIvEEbEEEE10hipError_tPvRmT1_T2_T3_mmT4_T5_P12ihipStream_tbEUlRKiE_EESK_SO_SP_mSQ_ST_bEUlT_E_NS1_11comp_targetILNS1_3genE9ELNS1_11target_archE1100ELNS1_3gpuE3ELNS1_3repE0EEENS1_30default_config_static_selectorELNS0_4arch9wavefront6targetE0EEEvSN_,@function
_ZN7rocprim17ROCPRIM_400000_NS6detail17trampoline_kernelINS0_14default_configENS1_27upper_bound_config_selectorIiiEEZNS1_14transform_implILb0ES3_S5_N6thrust23THRUST_200600_302600_NS6detail15normal_iteratorINS8_10device_ptrIiEEEESD_ZNS1_13binary_searchIS3_S5_SD_SD_SD_NS1_21upper_bound_search_opENS9_16wrapped_functionINS0_4lessIvEEbEEEE10hipError_tPvRmT1_T2_T3_mmT4_T5_P12ihipStream_tbEUlRKiE_EESK_SO_SP_mSQ_ST_bEUlT_E_NS1_11comp_targetILNS1_3genE9ELNS1_11target_archE1100ELNS1_3gpuE3ELNS1_3repE0EEENS1_30default_config_static_selectorELNS0_4arch9wavefront6targetE0EEEvSN_: ; @_ZN7rocprim17ROCPRIM_400000_NS6detail17trampoline_kernelINS0_14default_configENS1_27upper_bound_config_selectorIiiEEZNS1_14transform_implILb0ES3_S5_N6thrust23THRUST_200600_302600_NS6detail15normal_iteratorINS8_10device_ptrIiEEEESD_ZNS1_13binary_searchIS3_S5_SD_SD_SD_NS1_21upper_bound_search_opENS9_16wrapped_functionINS0_4lessIvEEbEEEE10hipError_tPvRmT1_T2_T3_mmT4_T5_P12ihipStream_tbEUlRKiE_EESK_SO_SP_mSQ_ST_bEUlT_E_NS1_11comp_targetILNS1_3genE9ELNS1_11target_archE1100ELNS1_3gpuE3ELNS1_3repE0EEENS1_30default_config_static_selectorELNS0_4arch9wavefront6targetE0EEEvSN_
; %bb.0:
	s_clause 0x3
	s_load_b128 s[16:19], s[0:1], 0x0
	s_load_b128 s[4:7], s[0:1], 0x18
	s_load_b32 s12, s[0:1], 0x38
	s_load_b64 s[8:9], s[0:1], 0x28
	s_waitcnt lgkmcnt(0)
	s_lshl_b64 s[2:3], s[18:19], 2
	s_delay_alu instid0(SALU_CYCLE_1)
	s_add_u32 s10, s16, s2
	s_addc_u32 s11, s17, s3
	s_add_u32 s4, s4, s2
	s_addc_u32 s5, s5, s3
	s_add_i32 s12, s12, -1
	s_lshl_b32 s2, s15, 8
	s_mov_b32 s3, 0
	s_cmp_lg_u32 s15, s12
	s_mov_b32 s12, -1
	s_cbranch_scc0 .LBB391_6
; %bb.1:
	v_mov_b32_e32 v1, 0
	s_cmp_eq_u64 s[8:9], 0
	s_cbranch_scc1 .LBB391_5
; %bb.2:
	v_lshlrev_b32_e32 v1, 2, v0
	s_lshl_b64 s[12:13], s[2:3], 2
	v_dual_mov_b32 v3, s8 :: v_dual_mov_b32 v4, s9
	s_add_u32 s12, s10, s12
	s_addc_u32 s13, s11, s13
	v_add_co_u32 v1, s12, s12, v1
	s_delay_alu instid0(VALU_DEP_1)
	v_add_co_ci_u32_e64 v2, null, s13, 0, s12
	s_mov_b32 s12, 0
	flat_load_b32 v5, v[1:2]
	v_mov_b32_e32 v1, 0
	v_mov_b32_e32 v2, 0
	.p2align	6
.LBB391_3:                              ; =>This Inner Loop Header: Depth=1
	s_delay_alu instid0(VALU_DEP_2) | instskip(NEXT) | instid1(VALU_DEP_2)
	v_sub_co_u32 v6, vcc_lo, v3, v1
	v_sub_co_ci_u32_e32 v7, vcc_lo, v4, v2, vcc_lo
	s_delay_alu instid0(VALU_DEP_1) | instskip(SKIP_1) | instid1(VALU_DEP_2)
	v_lshrrev_b64 v[8:9], 1, v[6:7]
	v_lshrrev_b64 v[6:7], 6, v[6:7]
	v_add_co_u32 v8, vcc_lo, v8, v1
	s_delay_alu instid0(VALU_DEP_3) | instskip(NEXT) | instid1(VALU_DEP_2)
	v_add_co_ci_u32_e32 v9, vcc_lo, v9, v2, vcc_lo
	v_add_co_u32 v6, vcc_lo, v8, v6
	s_delay_alu instid0(VALU_DEP_2) | instskip(NEXT) | instid1(VALU_DEP_1)
	v_add_co_ci_u32_e32 v7, vcc_lo, v9, v7, vcc_lo
	v_lshlrev_b64 v[8:9], 2, v[6:7]
	s_delay_alu instid0(VALU_DEP_1) | instskip(NEXT) | instid1(VALU_DEP_2)
	v_add_co_u32 v8, vcc_lo, s6, v8
	v_add_co_ci_u32_e32 v9, vcc_lo, s7, v9, vcc_lo
	global_load_b32 v8, v[8:9], off
	v_add_co_u32 v9, vcc_lo, v6, 1
	v_add_co_ci_u32_e32 v10, vcc_lo, 0, v7, vcc_lo
	s_waitcnt vmcnt(0) lgkmcnt(0)
	v_cmp_gt_i32_e32 vcc_lo, v8, v5
	v_dual_cndmask_b32 v4, v4, v7 :: v_dual_cndmask_b32 v3, v3, v6
	s_delay_alu instid0(VALU_DEP_3) | instskip(NEXT) | instid1(VALU_DEP_1)
	v_dual_cndmask_b32 v2, v10, v2 :: v_dual_cndmask_b32 v1, v9, v1
	v_cmp_ge_u64_e32 vcc_lo, v[1:2], v[3:4]
	s_or_b32 s12, vcc_lo, s12
	s_delay_alu instid0(SALU_CYCLE_1)
	s_and_not1_b32 exec_lo, exec_lo, s12
	s_cbranch_execnz .LBB391_3
; %bb.4:
	s_or_b32 exec_lo, exec_lo, s12
.LBB391_5:
	v_lshlrev_b32_e32 v2, 2, v0
	s_lshl_b64 s[12:13], s[2:3], 2
	s_delay_alu instid0(SALU_CYCLE_1) | instskip(SKIP_1) | instid1(VALU_DEP_1)
	s_add_u32 s12, s4, s12
	s_addc_u32 s13, s5, s13
	v_add_co_u32 v2, s12, s12, v2
	s_delay_alu instid0(VALU_DEP_1)
	v_add_co_ci_u32_e64 v3, null, s13, 0, s12
	s_mov_b32 s12, 0
	flat_store_b32 v[2:3], v1
.LBB391_6:
	s_and_b32 vcc_lo, exec_lo, s12
	s_cbranch_vccz .LBB391_11
; %bb.7:
	s_load_b32 s0, s[0:1], 0x10
                                        ; implicit-def: $vgpr5
	s_waitcnt lgkmcnt(0)
	s_sub_i32 s0, s0, s2
	s_delay_alu instid0(SALU_CYCLE_1)
	v_cmp_gt_u32_e32 vcc_lo, s0, v0
	s_and_saveexec_b32 s0, vcc_lo
	s_cbranch_execnz .LBB391_12
; %bb.8:
	s_or_b32 exec_lo, exec_lo, s0
                                        ; implicit-def: $vgpr1
	s_and_saveexec_b32 s1, vcc_lo
	s_cbranch_execnz .LBB391_13
.LBB391_9:
	s_or_b32 exec_lo, exec_lo, s1
	s_and_saveexec_b32 s0, vcc_lo
	s_cbranch_execz .LBB391_11
.LBB391_10:
	v_lshlrev_b32_e32 v0, 2, v0
	s_lshl_b64 s[0:1], s[2:3], 2
	s_delay_alu instid0(SALU_CYCLE_1) | instskip(SKIP_1) | instid1(VALU_DEP_1)
	s_add_u32 s0, s4, s0
	s_addc_u32 s1, s5, s1
	v_add_co_u32 v2, s0, s0, v0
	s_delay_alu instid0(VALU_DEP_1)
	v_add_co_ci_u32_e64 v3, null, s1, 0, s0
	flat_store_b32 v[2:3], v1
.LBB391_11:
	s_endpgm
.LBB391_12:
	v_lshlrev_b32_e32 v1, 2, v0
	s_lshl_b64 s[12:13], s[2:3], 2
	s_delay_alu instid0(SALU_CYCLE_1) | instskip(SKIP_1) | instid1(VALU_DEP_1)
	s_add_u32 s1, s10, s12
	s_addc_u32 s10, s11, s13
	v_add_co_u32 v1, s1, s1, v1
	s_delay_alu instid0(VALU_DEP_1)
	v_add_co_ci_u32_e64 v2, null, s10, 0, s1
	flat_load_b32 v5, v[1:2]
	s_or_b32 exec_lo, exec_lo, s0
                                        ; implicit-def: $vgpr1
	s_and_saveexec_b32 s1, vcc_lo
	s_cbranch_execz .LBB391_9
.LBB391_13:
	s_cmp_eq_u64 s[8:9], 0
	s_cbranch_scc1 .LBB391_17
; %bb.14:
	v_mov_b32_e32 v1, 0
	v_dual_mov_b32 v2, 0 :: v_dual_mov_b32 v3, s8
	v_mov_b32_e32 v4, s9
	s_mov_b32 s8, 0
	s_set_inst_prefetch_distance 0x1
	.p2align	6
.LBB391_15:                             ; =>This Inner Loop Header: Depth=1
	s_delay_alu instid0(VALU_DEP_2) | instskip(NEXT) | instid1(VALU_DEP_1)
	v_sub_co_u32 v6, s0, v3, v1
	v_sub_co_ci_u32_e64 v7, s0, v4, v2, s0
	s_delay_alu instid0(VALU_DEP_1) | instskip(SKIP_1) | instid1(VALU_DEP_2)
	v_lshrrev_b64 v[8:9], 1, v[6:7]
	v_lshrrev_b64 v[6:7], 6, v[6:7]
	v_add_co_u32 v8, s0, v8, v1
	s_delay_alu instid0(VALU_DEP_1) | instskip(NEXT) | instid1(VALU_DEP_2)
	v_add_co_ci_u32_e64 v9, s0, v9, v2, s0
	v_add_co_u32 v6, s0, v8, v6
	s_delay_alu instid0(VALU_DEP_1) | instskip(NEXT) | instid1(VALU_DEP_1)
	v_add_co_ci_u32_e64 v7, s0, v9, v7, s0
	v_lshlrev_b64 v[8:9], 2, v[6:7]
	s_delay_alu instid0(VALU_DEP_1) | instskip(NEXT) | instid1(VALU_DEP_1)
	v_add_co_u32 v8, s0, s6, v8
	v_add_co_ci_u32_e64 v9, s0, s7, v9, s0
	global_load_b32 v8, v[8:9], off
	v_add_co_u32 v9, s0, v6, 1
	s_delay_alu instid0(VALU_DEP_1) | instskip(SKIP_2) | instid1(VALU_DEP_1)
	v_add_co_ci_u32_e64 v10, s0, 0, v7, s0
	s_waitcnt vmcnt(0) lgkmcnt(0)
	v_cmp_gt_i32_e64 s0, v8, v5
	v_cndmask_b32_e64 v4, v4, v7, s0
	v_cndmask_b32_e64 v3, v3, v6, s0
	;; [unrolled: 1-line block ×4, first 2 shown]
	s_delay_alu instid0(VALU_DEP_1) | instskip(NEXT) | instid1(VALU_DEP_1)
	v_cmp_ge_u64_e64 s0, v[1:2], v[3:4]
	s_or_b32 s8, s0, s8
	s_delay_alu instid0(SALU_CYCLE_1)
	s_and_not1_b32 exec_lo, exec_lo, s8
	s_cbranch_execnz .LBB391_15
; %bb.16:
	s_set_inst_prefetch_distance 0x2
	s_or_b32 exec_lo, exec_lo, s8
	s_delay_alu instid0(SALU_CYCLE_1)
	s_or_b32 exec_lo, exec_lo, s1
	s_and_saveexec_b32 s0, vcc_lo
	s_cbranch_execnz .LBB391_10
	s_branch .LBB391_11
.LBB391_17:
	v_mov_b32_e32 v1, 0
	s_or_b32 exec_lo, exec_lo, s1
	s_and_saveexec_b32 s0, vcc_lo
	s_cbranch_execnz .LBB391_10
	s_branch .LBB391_11
	.section	.rodata,"a",@progbits
	.p2align	6, 0x0
	.amdhsa_kernel _ZN7rocprim17ROCPRIM_400000_NS6detail17trampoline_kernelINS0_14default_configENS1_27upper_bound_config_selectorIiiEEZNS1_14transform_implILb0ES3_S5_N6thrust23THRUST_200600_302600_NS6detail15normal_iteratorINS8_10device_ptrIiEEEESD_ZNS1_13binary_searchIS3_S5_SD_SD_SD_NS1_21upper_bound_search_opENS9_16wrapped_functionINS0_4lessIvEEbEEEE10hipError_tPvRmT1_T2_T3_mmT4_T5_P12ihipStream_tbEUlRKiE_EESK_SO_SP_mSQ_ST_bEUlT_E_NS1_11comp_targetILNS1_3genE9ELNS1_11target_archE1100ELNS1_3gpuE3ELNS1_3repE0EEENS1_30default_config_static_selectorELNS0_4arch9wavefront6targetE0EEEvSN_
		.amdhsa_group_segment_fixed_size 0
		.amdhsa_private_segment_fixed_size 0
		.amdhsa_kernarg_size 312
		.amdhsa_user_sgpr_count 15
		.amdhsa_user_sgpr_dispatch_ptr 0
		.amdhsa_user_sgpr_queue_ptr 0
		.amdhsa_user_sgpr_kernarg_segment_ptr 1
		.amdhsa_user_sgpr_dispatch_id 0
		.amdhsa_user_sgpr_private_segment_size 0
		.amdhsa_wavefront_size32 1
		.amdhsa_uses_dynamic_stack 0
		.amdhsa_enable_private_segment 0
		.amdhsa_system_sgpr_workgroup_id_x 1
		.amdhsa_system_sgpr_workgroup_id_y 0
		.amdhsa_system_sgpr_workgroup_id_z 0
		.amdhsa_system_sgpr_workgroup_info 0
		.amdhsa_system_vgpr_workitem_id 0
		.amdhsa_next_free_vgpr 11
		.amdhsa_next_free_sgpr 20
		.amdhsa_reserve_vcc 1
		.amdhsa_float_round_mode_32 0
		.amdhsa_float_round_mode_16_64 0
		.amdhsa_float_denorm_mode_32 3
		.amdhsa_float_denorm_mode_16_64 3
		.amdhsa_dx10_clamp 1
		.amdhsa_ieee_mode 1
		.amdhsa_fp16_overflow 0
		.amdhsa_workgroup_processor_mode 1
		.amdhsa_memory_ordered 1
		.amdhsa_forward_progress 0
		.amdhsa_shared_vgpr_count 0
		.amdhsa_exception_fp_ieee_invalid_op 0
		.amdhsa_exception_fp_denorm_src 0
		.amdhsa_exception_fp_ieee_div_zero 0
		.amdhsa_exception_fp_ieee_overflow 0
		.amdhsa_exception_fp_ieee_underflow 0
		.amdhsa_exception_fp_ieee_inexact 0
		.amdhsa_exception_int_div_zero 0
	.end_amdhsa_kernel
	.section	.text._ZN7rocprim17ROCPRIM_400000_NS6detail17trampoline_kernelINS0_14default_configENS1_27upper_bound_config_selectorIiiEEZNS1_14transform_implILb0ES3_S5_N6thrust23THRUST_200600_302600_NS6detail15normal_iteratorINS8_10device_ptrIiEEEESD_ZNS1_13binary_searchIS3_S5_SD_SD_SD_NS1_21upper_bound_search_opENS9_16wrapped_functionINS0_4lessIvEEbEEEE10hipError_tPvRmT1_T2_T3_mmT4_T5_P12ihipStream_tbEUlRKiE_EESK_SO_SP_mSQ_ST_bEUlT_E_NS1_11comp_targetILNS1_3genE9ELNS1_11target_archE1100ELNS1_3gpuE3ELNS1_3repE0EEENS1_30default_config_static_selectorELNS0_4arch9wavefront6targetE0EEEvSN_,"axG",@progbits,_ZN7rocprim17ROCPRIM_400000_NS6detail17trampoline_kernelINS0_14default_configENS1_27upper_bound_config_selectorIiiEEZNS1_14transform_implILb0ES3_S5_N6thrust23THRUST_200600_302600_NS6detail15normal_iteratorINS8_10device_ptrIiEEEESD_ZNS1_13binary_searchIS3_S5_SD_SD_SD_NS1_21upper_bound_search_opENS9_16wrapped_functionINS0_4lessIvEEbEEEE10hipError_tPvRmT1_T2_T3_mmT4_T5_P12ihipStream_tbEUlRKiE_EESK_SO_SP_mSQ_ST_bEUlT_E_NS1_11comp_targetILNS1_3genE9ELNS1_11target_archE1100ELNS1_3gpuE3ELNS1_3repE0EEENS1_30default_config_static_selectorELNS0_4arch9wavefront6targetE0EEEvSN_,comdat
.Lfunc_end391:
	.size	_ZN7rocprim17ROCPRIM_400000_NS6detail17trampoline_kernelINS0_14default_configENS1_27upper_bound_config_selectorIiiEEZNS1_14transform_implILb0ES3_S5_N6thrust23THRUST_200600_302600_NS6detail15normal_iteratorINS8_10device_ptrIiEEEESD_ZNS1_13binary_searchIS3_S5_SD_SD_SD_NS1_21upper_bound_search_opENS9_16wrapped_functionINS0_4lessIvEEbEEEE10hipError_tPvRmT1_T2_T3_mmT4_T5_P12ihipStream_tbEUlRKiE_EESK_SO_SP_mSQ_ST_bEUlT_E_NS1_11comp_targetILNS1_3genE9ELNS1_11target_archE1100ELNS1_3gpuE3ELNS1_3repE0EEENS1_30default_config_static_selectorELNS0_4arch9wavefront6targetE0EEEvSN_, .Lfunc_end391-_ZN7rocprim17ROCPRIM_400000_NS6detail17trampoline_kernelINS0_14default_configENS1_27upper_bound_config_selectorIiiEEZNS1_14transform_implILb0ES3_S5_N6thrust23THRUST_200600_302600_NS6detail15normal_iteratorINS8_10device_ptrIiEEEESD_ZNS1_13binary_searchIS3_S5_SD_SD_SD_NS1_21upper_bound_search_opENS9_16wrapped_functionINS0_4lessIvEEbEEEE10hipError_tPvRmT1_T2_T3_mmT4_T5_P12ihipStream_tbEUlRKiE_EESK_SO_SP_mSQ_ST_bEUlT_E_NS1_11comp_targetILNS1_3genE9ELNS1_11target_archE1100ELNS1_3gpuE3ELNS1_3repE0EEENS1_30default_config_static_selectorELNS0_4arch9wavefront6targetE0EEEvSN_
                                        ; -- End function
	.section	.AMDGPU.csdata,"",@progbits
; Kernel info:
; codeLenInByte = 844
; NumSgprs: 22
; NumVgprs: 11
; ScratchSize: 0
; MemoryBound: 0
; FloatMode: 240
; IeeeMode: 1
; LDSByteSize: 0 bytes/workgroup (compile time only)
; SGPRBlocks: 2
; VGPRBlocks: 1
; NumSGPRsForWavesPerEU: 22
; NumVGPRsForWavesPerEU: 11
; Occupancy: 16
; WaveLimiterHint : 0
; COMPUTE_PGM_RSRC2:SCRATCH_EN: 0
; COMPUTE_PGM_RSRC2:USER_SGPR: 15
; COMPUTE_PGM_RSRC2:TRAP_HANDLER: 0
; COMPUTE_PGM_RSRC2:TGID_X_EN: 1
; COMPUTE_PGM_RSRC2:TGID_Y_EN: 0
; COMPUTE_PGM_RSRC2:TGID_Z_EN: 0
; COMPUTE_PGM_RSRC2:TIDIG_COMP_CNT: 0
	.section	.text._ZN7rocprim17ROCPRIM_400000_NS6detail17trampoline_kernelINS0_14default_configENS1_27upper_bound_config_selectorIiiEEZNS1_14transform_implILb0ES3_S5_N6thrust23THRUST_200600_302600_NS6detail15normal_iteratorINS8_10device_ptrIiEEEESD_ZNS1_13binary_searchIS3_S5_SD_SD_SD_NS1_21upper_bound_search_opENS9_16wrapped_functionINS0_4lessIvEEbEEEE10hipError_tPvRmT1_T2_T3_mmT4_T5_P12ihipStream_tbEUlRKiE_EESK_SO_SP_mSQ_ST_bEUlT_E_NS1_11comp_targetILNS1_3genE8ELNS1_11target_archE1030ELNS1_3gpuE2ELNS1_3repE0EEENS1_30default_config_static_selectorELNS0_4arch9wavefront6targetE0EEEvSN_,"axG",@progbits,_ZN7rocprim17ROCPRIM_400000_NS6detail17trampoline_kernelINS0_14default_configENS1_27upper_bound_config_selectorIiiEEZNS1_14transform_implILb0ES3_S5_N6thrust23THRUST_200600_302600_NS6detail15normal_iteratorINS8_10device_ptrIiEEEESD_ZNS1_13binary_searchIS3_S5_SD_SD_SD_NS1_21upper_bound_search_opENS9_16wrapped_functionINS0_4lessIvEEbEEEE10hipError_tPvRmT1_T2_T3_mmT4_T5_P12ihipStream_tbEUlRKiE_EESK_SO_SP_mSQ_ST_bEUlT_E_NS1_11comp_targetILNS1_3genE8ELNS1_11target_archE1030ELNS1_3gpuE2ELNS1_3repE0EEENS1_30default_config_static_selectorELNS0_4arch9wavefront6targetE0EEEvSN_,comdat
	.protected	_ZN7rocprim17ROCPRIM_400000_NS6detail17trampoline_kernelINS0_14default_configENS1_27upper_bound_config_selectorIiiEEZNS1_14transform_implILb0ES3_S5_N6thrust23THRUST_200600_302600_NS6detail15normal_iteratorINS8_10device_ptrIiEEEESD_ZNS1_13binary_searchIS3_S5_SD_SD_SD_NS1_21upper_bound_search_opENS9_16wrapped_functionINS0_4lessIvEEbEEEE10hipError_tPvRmT1_T2_T3_mmT4_T5_P12ihipStream_tbEUlRKiE_EESK_SO_SP_mSQ_ST_bEUlT_E_NS1_11comp_targetILNS1_3genE8ELNS1_11target_archE1030ELNS1_3gpuE2ELNS1_3repE0EEENS1_30default_config_static_selectorELNS0_4arch9wavefront6targetE0EEEvSN_ ; -- Begin function _ZN7rocprim17ROCPRIM_400000_NS6detail17trampoline_kernelINS0_14default_configENS1_27upper_bound_config_selectorIiiEEZNS1_14transform_implILb0ES3_S5_N6thrust23THRUST_200600_302600_NS6detail15normal_iteratorINS8_10device_ptrIiEEEESD_ZNS1_13binary_searchIS3_S5_SD_SD_SD_NS1_21upper_bound_search_opENS9_16wrapped_functionINS0_4lessIvEEbEEEE10hipError_tPvRmT1_T2_T3_mmT4_T5_P12ihipStream_tbEUlRKiE_EESK_SO_SP_mSQ_ST_bEUlT_E_NS1_11comp_targetILNS1_3genE8ELNS1_11target_archE1030ELNS1_3gpuE2ELNS1_3repE0EEENS1_30default_config_static_selectorELNS0_4arch9wavefront6targetE0EEEvSN_
	.globl	_ZN7rocprim17ROCPRIM_400000_NS6detail17trampoline_kernelINS0_14default_configENS1_27upper_bound_config_selectorIiiEEZNS1_14transform_implILb0ES3_S5_N6thrust23THRUST_200600_302600_NS6detail15normal_iteratorINS8_10device_ptrIiEEEESD_ZNS1_13binary_searchIS3_S5_SD_SD_SD_NS1_21upper_bound_search_opENS9_16wrapped_functionINS0_4lessIvEEbEEEE10hipError_tPvRmT1_T2_T3_mmT4_T5_P12ihipStream_tbEUlRKiE_EESK_SO_SP_mSQ_ST_bEUlT_E_NS1_11comp_targetILNS1_3genE8ELNS1_11target_archE1030ELNS1_3gpuE2ELNS1_3repE0EEENS1_30default_config_static_selectorELNS0_4arch9wavefront6targetE0EEEvSN_
	.p2align	8
	.type	_ZN7rocprim17ROCPRIM_400000_NS6detail17trampoline_kernelINS0_14default_configENS1_27upper_bound_config_selectorIiiEEZNS1_14transform_implILb0ES3_S5_N6thrust23THRUST_200600_302600_NS6detail15normal_iteratorINS8_10device_ptrIiEEEESD_ZNS1_13binary_searchIS3_S5_SD_SD_SD_NS1_21upper_bound_search_opENS9_16wrapped_functionINS0_4lessIvEEbEEEE10hipError_tPvRmT1_T2_T3_mmT4_T5_P12ihipStream_tbEUlRKiE_EESK_SO_SP_mSQ_ST_bEUlT_E_NS1_11comp_targetILNS1_3genE8ELNS1_11target_archE1030ELNS1_3gpuE2ELNS1_3repE0EEENS1_30default_config_static_selectorELNS0_4arch9wavefront6targetE0EEEvSN_,@function
_ZN7rocprim17ROCPRIM_400000_NS6detail17trampoline_kernelINS0_14default_configENS1_27upper_bound_config_selectorIiiEEZNS1_14transform_implILb0ES3_S5_N6thrust23THRUST_200600_302600_NS6detail15normal_iteratorINS8_10device_ptrIiEEEESD_ZNS1_13binary_searchIS3_S5_SD_SD_SD_NS1_21upper_bound_search_opENS9_16wrapped_functionINS0_4lessIvEEbEEEE10hipError_tPvRmT1_T2_T3_mmT4_T5_P12ihipStream_tbEUlRKiE_EESK_SO_SP_mSQ_ST_bEUlT_E_NS1_11comp_targetILNS1_3genE8ELNS1_11target_archE1030ELNS1_3gpuE2ELNS1_3repE0EEENS1_30default_config_static_selectorELNS0_4arch9wavefront6targetE0EEEvSN_: ; @_ZN7rocprim17ROCPRIM_400000_NS6detail17trampoline_kernelINS0_14default_configENS1_27upper_bound_config_selectorIiiEEZNS1_14transform_implILb0ES3_S5_N6thrust23THRUST_200600_302600_NS6detail15normal_iteratorINS8_10device_ptrIiEEEESD_ZNS1_13binary_searchIS3_S5_SD_SD_SD_NS1_21upper_bound_search_opENS9_16wrapped_functionINS0_4lessIvEEbEEEE10hipError_tPvRmT1_T2_T3_mmT4_T5_P12ihipStream_tbEUlRKiE_EESK_SO_SP_mSQ_ST_bEUlT_E_NS1_11comp_targetILNS1_3genE8ELNS1_11target_archE1030ELNS1_3gpuE2ELNS1_3repE0EEENS1_30default_config_static_selectorELNS0_4arch9wavefront6targetE0EEEvSN_
; %bb.0:
	.section	.rodata,"a",@progbits
	.p2align	6, 0x0
	.amdhsa_kernel _ZN7rocprim17ROCPRIM_400000_NS6detail17trampoline_kernelINS0_14default_configENS1_27upper_bound_config_selectorIiiEEZNS1_14transform_implILb0ES3_S5_N6thrust23THRUST_200600_302600_NS6detail15normal_iteratorINS8_10device_ptrIiEEEESD_ZNS1_13binary_searchIS3_S5_SD_SD_SD_NS1_21upper_bound_search_opENS9_16wrapped_functionINS0_4lessIvEEbEEEE10hipError_tPvRmT1_T2_T3_mmT4_T5_P12ihipStream_tbEUlRKiE_EESK_SO_SP_mSQ_ST_bEUlT_E_NS1_11comp_targetILNS1_3genE8ELNS1_11target_archE1030ELNS1_3gpuE2ELNS1_3repE0EEENS1_30default_config_static_selectorELNS0_4arch9wavefront6targetE0EEEvSN_
		.amdhsa_group_segment_fixed_size 0
		.amdhsa_private_segment_fixed_size 0
		.amdhsa_kernarg_size 56
		.amdhsa_user_sgpr_count 15
		.amdhsa_user_sgpr_dispatch_ptr 0
		.amdhsa_user_sgpr_queue_ptr 0
		.amdhsa_user_sgpr_kernarg_segment_ptr 1
		.amdhsa_user_sgpr_dispatch_id 0
		.amdhsa_user_sgpr_private_segment_size 0
		.amdhsa_wavefront_size32 1
		.amdhsa_uses_dynamic_stack 0
		.amdhsa_enable_private_segment 0
		.amdhsa_system_sgpr_workgroup_id_x 1
		.amdhsa_system_sgpr_workgroup_id_y 0
		.amdhsa_system_sgpr_workgroup_id_z 0
		.amdhsa_system_sgpr_workgroup_info 0
		.amdhsa_system_vgpr_workitem_id 0
		.amdhsa_next_free_vgpr 1
		.amdhsa_next_free_sgpr 1
		.amdhsa_reserve_vcc 0
		.amdhsa_float_round_mode_32 0
		.amdhsa_float_round_mode_16_64 0
		.amdhsa_float_denorm_mode_32 3
		.amdhsa_float_denorm_mode_16_64 3
		.amdhsa_dx10_clamp 1
		.amdhsa_ieee_mode 1
		.amdhsa_fp16_overflow 0
		.amdhsa_workgroup_processor_mode 1
		.amdhsa_memory_ordered 1
		.amdhsa_forward_progress 0
		.amdhsa_shared_vgpr_count 0
		.amdhsa_exception_fp_ieee_invalid_op 0
		.amdhsa_exception_fp_denorm_src 0
		.amdhsa_exception_fp_ieee_div_zero 0
		.amdhsa_exception_fp_ieee_overflow 0
		.amdhsa_exception_fp_ieee_underflow 0
		.amdhsa_exception_fp_ieee_inexact 0
		.amdhsa_exception_int_div_zero 0
	.end_amdhsa_kernel
	.section	.text._ZN7rocprim17ROCPRIM_400000_NS6detail17trampoline_kernelINS0_14default_configENS1_27upper_bound_config_selectorIiiEEZNS1_14transform_implILb0ES3_S5_N6thrust23THRUST_200600_302600_NS6detail15normal_iteratorINS8_10device_ptrIiEEEESD_ZNS1_13binary_searchIS3_S5_SD_SD_SD_NS1_21upper_bound_search_opENS9_16wrapped_functionINS0_4lessIvEEbEEEE10hipError_tPvRmT1_T2_T3_mmT4_T5_P12ihipStream_tbEUlRKiE_EESK_SO_SP_mSQ_ST_bEUlT_E_NS1_11comp_targetILNS1_3genE8ELNS1_11target_archE1030ELNS1_3gpuE2ELNS1_3repE0EEENS1_30default_config_static_selectorELNS0_4arch9wavefront6targetE0EEEvSN_,"axG",@progbits,_ZN7rocprim17ROCPRIM_400000_NS6detail17trampoline_kernelINS0_14default_configENS1_27upper_bound_config_selectorIiiEEZNS1_14transform_implILb0ES3_S5_N6thrust23THRUST_200600_302600_NS6detail15normal_iteratorINS8_10device_ptrIiEEEESD_ZNS1_13binary_searchIS3_S5_SD_SD_SD_NS1_21upper_bound_search_opENS9_16wrapped_functionINS0_4lessIvEEbEEEE10hipError_tPvRmT1_T2_T3_mmT4_T5_P12ihipStream_tbEUlRKiE_EESK_SO_SP_mSQ_ST_bEUlT_E_NS1_11comp_targetILNS1_3genE8ELNS1_11target_archE1030ELNS1_3gpuE2ELNS1_3repE0EEENS1_30default_config_static_selectorELNS0_4arch9wavefront6targetE0EEEvSN_,comdat
.Lfunc_end392:
	.size	_ZN7rocprim17ROCPRIM_400000_NS6detail17trampoline_kernelINS0_14default_configENS1_27upper_bound_config_selectorIiiEEZNS1_14transform_implILb0ES3_S5_N6thrust23THRUST_200600_302600_NS6detail15normal_iteratorINS8_10device_ptrIiEEEESD_ZNS1_13binary_searchIS3_S5_SD_SD_SD_NS1_21upper_bound_search_opENS9_16wrapped_functionINS0_4lessIvEEbEEEE10hipError_tPvRmT1_T2_T3_mmT4_T5_P12ihipStream_tbEUlRKiE_EESK_SO_SP_mSQ_ST_bEUlT_E_NS1_11comp_targetILNS1_3genE8ELNS1_11target_archE1030ELNS1_3gpuE2ELNS1_3repE0EEENS1_30default_config_static_selectorELNS0_4arch9wavefront6targetE0EEEvSN_, .Lfunc_end392-_ZN7rocprim17ROCPRIM_400000_NS6detail17trampoline_kernelINS0_14default_configENS1_27upper_bound_config_selectorIiiEEZNS1_14transform_implILb0ES3_S5_N6thrust23THRUST_200600_302600_NS6detail15normal_iteratorINS8_10device_ptrIiEEEESD_ZNS1_13binary_searchIS3_S5_SD_SD_SD_NS1_21upper_bound_search_opENS9_16wrapped_functionINS0_4lessIvEEbEEEE10hipError_tPvRmT1_T2_T3_mmT4_T5_P12ihipStream_tbEUlRKiE_EESK_SO_SP_mSQ_ST_bEUlT_E_NS1_11comp_targetILNS1_3genE8ELNS1_11target_archE1030ELNS1_3gpuE2ELNS1_3repE0EEENS1_30default_config_static_selectorELNS0_4arch9wavefront6targetE0EEEvSN_
                                        ; -- End function
	.section	.AMDGPU.csdata,"",@progbits
; Kernel info:
; codeLenInByte = 0
; NumSgprs: 0
; NumVgprs: 0
; ScratchSize: 0
; MemoryBound: 0
; FloatMode: 240
; IeeeMode: 1
; LDSByteSize: 0 bytes/workgroup (compile time only)
; SGPRBlocks: 0
; VGPRBlocks: 0
; NumSGPRsForWavesPerEU: 1
; NumVGPRsForWavesPerEU: 1
; Occupancy: 16
; WaveLimiterHint : 0
; COMPUTE_PGM_RSRC2:SCRATCH_EN: 0
; COMPUTE_PGM_RSRC2:USER_SGPR: 15
; COMPUTE_PGM_RSRC2:TRAP_HANDLER: 0
; COMPUTE_PGM_RSRC2:TGID_X_EN: 1
; COMPUTE_PGM_RSRC2:TGID_Y_EN: 0
; COMPUTE_PGM_RSRC2:TGID_Z_EN: 0
; COMPUTE_PGM_RSRC2:TIDIG_COMP_CNT: 0
	.section	.text._ZN7rocprim17ROCPRIM_400000_NS6detail17trampoline_kernelINS0_14default_configENS1_27upper_bound_config_selectorIsiEEZNS1_14transform_implILb0ES3_S5_N6thrust23THRUST_200600_302600_NS6detail15normal_iteratorINS8_10device_ptrIsEEEENSA_INSB_IiEEEEZNS1_13binary_searchIS3_S5_SD_SD_SF_NS1_21upper_bound_search_opENS9_16wrapped_functionINS0_4lessIvEEbEEEE10hipError_tPvRmT1_T2_T3_mmT4_T5_P12ihipStream_tbEUlRKsE_EESM_SQ_SR_mSS_SV_bEUlT_E_NS1_11comp_targetILNS1_3genE0ELNS1_11target_archE4294967295ELNS1_3gpuE0ELNS1_3repE0EEENS1_30default_config_static_selectorELNS0_4arch9wavefront6targetE0EEEvSP_,"axG",@progbits,_ZN7rocprim17ROCPRIM_400000_NS6detail17trampoline_kernelINS0_14default_configENS1_27upper_bound_config_selectorIsiEEZNS1_14transform_implILb0ES3_S5_N6thrust23THRUST_200600_302600_NS6detail15normal_iteratorINS8_10device_ptrIsEEEENSA_INSB_IiEEEEZNS1_13binary_searchIS3_S5_SD_SD_SF_NS1_21upper_bound_search_opENS9_16wrapped_functionINS0_4lessIvEEbEEEE10hipError_tPvRmT1_T2_T3_mmT4_T5_P12ihipStream_tbEUlRKsE_EESM_SQ_SR_mSS_SV_bEUlT_E_NS1_11comp_targetILNS1_3genE0ELNS1_11target_archE4294967295ELNS1_3gpuE0ELNS1_3repE0EEENS1_30default_config_static_selectorELNS0_4arch9wavefront6targetE0EEEvSP_,comdat
	.protected	_ZN7rocprim17ROCPRIM_400000_NS6detail17trampoline_kernelINS0_14default_configENS1_27upper_bound_config_selectorIsiEEZNS1_14transform_implILb0ES3_S5_N6thrust23THRUST_200600_302600_NS6detail15normal_iteratorINS8_10device_ptrIsEEEENSA_INSB_IiEEEEZNS1_13binary_searchIS3_S5_SD_SD_SF_NS1_21upper_bound_search_opENS9_16wrapped_functionINS0_4lessIvEEbEEEE10hipError_tPvRmT1_T2_T3_mmT4_T5_P12ihipStream_tbEUlRKsE_EESM_SQ_SR_mSS_SV_bEUlT_E_NS1_11comp_targetILNS1_3genE0ELNS1_11target_archE4294967295ELNS1_3gpuE0ELNS1_3repE0EEENS1_30default_config_static_selectorELNS0_4arch9wavefront6targetE0EEEvSP_ ; -- Begin function _ZN7rocprim17ROCPRIM_400000_NS6detail17trampoline_kernelINS0_14default_configENS1_27upper_bound_config_selectorIsiEEZNS1_14transform_implILb0ES3_S5_N6thrust23THRUST_200600_302600_NS6detail15normal_iteratorINS8_10device_ptrIsEEEENSA_INSB_IiEEEEZNS1_13binary_searchIS3_S5_SD_SD_SF_NS1_21upper_bound_search_opENS9_16wrapped_functionINS0_4lessIvEEbEEEE10hipError_tPvRmT1_T2_T3_mmT4_T5_P12ihipStream_tbEUlRKsE_EESM_SQ_SR_mSS_SV_bEUlT_E_NS1_11comp_targetILNS1_3genE0ELNS1_11target_archE4294967295ELNS1_3gpuE0ELNS1_3repE0EEENS1_30default_config_static_selectorELNS0_4arch9wavefront6targetE0EEEvSP_
	.globl	_ZN7rocprim17ROCPRIM_400000_NS6detail17trampoline_kernelINS0_14default_configENS1_27upper_bound_config_selectorIsiEEZNS1_14transform_implILb0ES3_S5_N6thrust23THRUST_200600_302600_NS6detail15normal_iteratorINS8_10device_ptrIsEEEENSA_INSB_IiEEEEZNS1_13binary_searchIS3_S5_SD_SD_SF_NS1_21upper_bound_search_opENS9_16wrapped_functionINS0_4lessIvEEbEEEE10hipError_tPvRmT1_T2_T3_mmT4_T5_P12ihipStream_tbEUlRKsE_EESM_SQ_SR_mSS_SV_bEUlT_E_NS1_11comp_targetILNS1_3genE0ELNS1_11target_archE4294967295ELNS1_3gpuE0ELNS1_3repE0EEENS1_30default_config_static_selectorELNS0_4arch9wavefront6targetE0EEEvSP_
	.p2align	8
	.type	_ZN7rocprim17ROCPRIM_400000_NS6detail17trampoline_kernelINS0_14default_configENS1_27upper_bound_config_selectorIsiEEZNS1_14transform_implILb0ES3_S5_N6thrust23THRUST_200600_302600_NS6detail15normal_iteratorINS8_10device_ptrIsEEEENSA_INSB_IiEEEEZNS1_13binary_searchIS3_S5_SD_SD_SF_NS1_21upper_bound_search_opENS9_16wrapped_functionINS0_4lessIvEEbEEEE10hipError_tPvRmT1_T2_T3_mmT4_T5_P12ihipStream_tbEUlRKsE_EESM_SQ_SR_mSS_SV_bEUlT_E_NS1_11comp_targetILNS1_3genE0ELNS1_11target_archE4294967295ELNS1_3gpuE0ELNS1_3repE0EEENS1_30default_config_static_selectorELNS0_4arch9wavefront6targetE0EEEvSP_,@function
_ZN7rocprim17ROCPRIM_400000_NS6detail17trampoline_kernelINS0_14default_configENS1_27upper_bound_config_selectorIsiEEZNS1_14transform_implILb0ES3_S5_N6thrust23THRUST_200600_302600_NS6detail15normal_iteratorINS8_10device_ptrIsEEEENSA_INSB_IiEEEEZNS1_13binary_searchIS3_S5_SD_SD_SF_NS1_21upper_bound_search_opENS9_16wrapped_functionINS0_4lessIvEEbEEEE10hipError_tPvRmT1_T2_T3_mmT4_T5_P12ihipStream_tbEUlRKsE_EESM_SQ_SR_mSS_SV_bEUlT_E_NS1_11comp_targetILNS1_3genE0ELNS1_11target_archE4294967295ELNS1_3gpuE0ELNS1_3repE0EEENS1_30default_config_static_selectorELNS0_4arch9wavefront6targetE0EEEvSP_: ; @_ZN7rocprim17ROCPRIM_400000_NS6detail17trampoline_kernelINS0_14default_configENS1_27upper_bound_config_selectorIsiEEZNS1_14transform_implILb0ES3_S5_N6thrust23THRUST_200600_302600_NS6detail15normal_iteratorINS8_10device_ptrIsEEEENSA_INSB_IiEEEEZNS1_13binary_searchIS3_S5_SD_SD_SF_NS1_21upper_bound_search_opENS9_16wrapped_functionINS0_4lessIvEEbEEEE10hipError_tPvRmT1_T2_T3_mmT4_T5_P12ihipStream_tbEUlRKsE_EESM_SQ_SR_mSS_SV_bEUlT_E_NS1_11comp_targetILNS1_3genE0ELNS1_11target_archE4294967295ELNS1_3gpuE0ELNS1_3repE0EEENS1_30default_config_static_selectorELNS0_4arch9wavefront6targetE0EEEvSP_
; %bb.0:
	.section	.rodata,"a",@progbits
	.p2align	6, 0x0
	.amdhsa_kernel _ZN7rocprim17ROCPRIM_400000_NS6detail17trampoline_kernelINS0_14default_configENS1_27upper_bound_config_selectorIsiEEZNS1_14transform_implILb0ES3_S5_N6thrust23THRUST_200600_302600_NS6detail15normal_iteratorINS8_10device_ptrIsEEEENSA_INSB_IiEEEEZNS1_13binary_searchIS3_S5_SD_SD_SF_NS1_21upper_bound_search_opENS9_16wrapped_functionINS0_4lessIvEEbEEEE10hipError_tPvRmT1_T2_T3_mmT4_T5_P12ihipStream_tbEUlRKsE_EESM_SQ_SR_mSS_SV_bEUlT_E_NS1_11comp_targetILNS1_3genE0ELNS1_11target_archE4294967295ELNS1_3gpuE0ELNS1_3repE0EEENS1_30default_config_static_selectorELNS0_4arch9wavefront6targetE0EEEvSP_
		.amdhsa_group_segment_fixed_size 0
		.amdhsa_private_segment_fixed_size 0
		.amdhsa_kernarg_size 56
		.amdhsa_user_sgpr_count 15
		.amdhsa_user_sgpr_dispatch_ptr 0
		.amdhsa_user_sgpr_queue_ptr 0
		.amdhsa_user_sgpr_kernarg_segment_ptr 1
		.amdhsa_user_sgpr_dispatch_id 0
		.amdhsa_user_sgpr_private_segment_size 0
		.amdhsa_wavefront_size32 1
		.amdhsa_uses_dynamic_stack 0
		.amdhsa_enable_private_segment 0
		.amdhsa_system_sgpr_workgroup_id_x 1
		.amdhsa_system_sgpr_workgroup_id_y 0
		.amdhsa_system_sgpr_workgroup_id_z 0
		.amdhsa_system_sgpr_workgroup_info 0
		.amdhsa_system_vgpr_workitem_id 0
		.amdhsa_next_free_vgpr 1
		.amdhsa_next_free_sgpr 1
		.amdhsa_reserve_vcc 0
		.amdhsa_float_round_mode_32 0
		.amdhsa_float_round_mode_16_64 0
		.amdhsa_float_denorm_mode_32 3
		.amdhsa_float_denorm_mode_16_64 3
		.amdhsa_dx10_clamp 1
		.amdhsa_ieee_mode 1
		.amdhsa_fp16_overflow 0
		.amdhsa_workgroup_processor_mode 1
		.amdhsa_memory_ordered 1
		.amdhsa_forward_progress 0
		.amdhsa_shared_vgpr_count 0
		.amdhsa_exception_fp_ieee_invalid_op 0
		.amdhsa_exception_fp_denorm_src 0
		.amdhsa_exception_fp_ieee_div_zero 0
		.amdhsa_exception_fp_ieee_overflow 0
		.amdhsa_exception_fp_ieee_underflow 0
		.amdhsa_exception_fp_ieee_inexact 0
		.amdhsa_exception_int_div_zero 0
	.end_amdhsa_kernel
	.section	.text._ZN7rocprim17ROCPRIM_400000_NS6detail17trampoline_kernelINS0_14default_configENS1_27upper_bound_config_selectorIsiEEZNS1_14transform_implILb0ES3_S5_N6thrust23THRUST_200600_302600_NS6detail15normal_iteratorINS8_10device_ptrIsEEEENSA_INSB_IiEEEEZNS1_13binary_searchIS3_S5_SD_SD_SF_NS1_21upper_bound_search_opENS9_16wrapped_functionINS0_4lessIvEEbEEEE10hipError_tPvRmT1_T2_T3_mmT4_T5_P12ihipStream_tbEUlRKsE_EESM_SQ_SR_mSS_SV_bEUlT_E_NS1_11comp_targetILNS1_3genE0ELNS1_11target_archE4294967295ELNS1_3gpuE0ELNS1_3repE0EEENS1_30default_config_static_selectorELNS0_4arch9wavefront6targetE0EEEvSP_,"axG",@progbits,_ZN7rocprim17ROCPRIM_400000_NS6detail17trampoline_kernelINS0_14default_configENS1_27upper_bound_config_selectorIsiEEZNS1_14transform_implILb0ES3_S5_N6thrust23THRUST_200600_302600_NS6detail15normal_iteratorINS8_10device_ptrIsEEEENSA_INSB_IiEEEEZNS1_13binary_searchIS3_S5_SD_SD_SF_NS1_21upper_bound_search_opENS9_16wrapped_functionINS0_4lessIvEEbEEEE10hipError_tPvRmT1_T2_T3_mmT4_T5_P12ihipStream_tbEUlRKsE_EESM_SQ_SR_mSS_SV_bEUlT_E_NS1_11comp_targetILNS1_3genE0ELNS1_11target_archE4294967295ELNS1_3gpuE0ELNS1_3repE0EEENS1_30default_config_static_selectorELNS0_4arch9wavefront6targetE0EEEvSP_,comdat
.Lfunc_end393:
	.size	_ZN7rocprim17ROCPRIM_400000_NS6detail17trampoline_kernelINS0_14default_configENS1_27upper_bound_config_selectorIsiEEZNS1_14transform_implILb0ES3_S5_N6thrust23THRUST_200600_302600_NS6detail15normal_iteratorINS8_10device_ptrIsEEEENSA_INSB_IiEEEEZNS1_13binary_searchIS3_S5_SD_SD_SF_NS1_21upper_bound_search_opENS9_16wrapped_functionINS0_4lessIvEEbEEEE10hipError_tPvRmT1_T2_T3_mmT4_T5_P12ihipStream_tbEUlRKsE_EESM_SQ_SR_mSS_SV_bEUlT_E_NS1_11comp_targetILNS1_3genE0ELNS1_11target_archE4294967295ELNS1_3gpuE0ELNS1_3repE0EEENS1_30default_config_static_selectorELNS0_4arch9wavefront6targetE0EEEvSP_, .Lfunc_end393-_ZN7rocprim17ROCPRIM_400000_NS6detail17trampoline_kernelINS0_14default_configENS1_27upper_bound_config_selectorIsiEEZNS1_14transform_implILb0ES3_S5_N6thrust23THRUST_200600_302600_NS6detail15normal_iteratorINS8_10device_ptrIsEEEENSA_INSB_IiEEEEZNS1_13binary_searchIS3_S5_SD_SD_SF_NS1_21upper_bound_search_opENS9_16wrapped_functionINS0_4lessIvEEbEEEE10hipError_tPvRmT1_T2_T3_mmT4_T5_P12ihipStream_tbEUlRKsE_EESM_SQ_SR_mSS_SV_bEUlT_E_NS1_11comp_targetILNS1_3genE0ELNS1_11target_archE4294967295ELNS1_3gpuE0ELNS1_3repE0EEENS1_30default_config_static_selectorELNS0_4arch9wavefront6targetE0EEEvSP_
                                        ; -- End function
	.section	.AMDGPU.csdata,"",@progbits
; Kernel info:
; codeLenInByte = 0
; NumSgprs: 0
; NumVgprs: 0
; ScratchSize: 0
; MemoryBound: 0
; FloatMode: 240
; IeeeMode: 1
; LDSByteSize: 0 bytes/workgroup (compile time only)
; SGPRBlocks: 0
; VGPRBlocks: 0
; NumSGPRsForWavesPerEU: 1
; NumVGPRsForWavesPerEU: 1
; Occupancy: 16
; WaveLimiterHint : 0
; COMPUTE_PGM_RSRC2:SCRATCH_EN: 0
; COMPUTE_PGM_RSRC2:USER_SGPR: 15
; COMPUTE_PGM_RSRC2:TRAP_HANDLER: 0
; COMPUTE_PGM_RSRC2:TGID_X_EN: 1
; COMPUTE_PGM_RSRC2:TGID_Y_EN: 0
; COMPUTE_PGM_RSRC2:TGID_Z_EN: 0
; COMPUTE_PGM_RSRC2:TIDIG_COMP_CNT: 0
	.section	.text._ZN7rocprim17ROCPRIM_400000_NS6detail17trampoline_kernelINS0_14default_configENS1_27upper_bound_config_selectorIsiEEZNS1_14transform_implILb0ES3_S5_N6thrust23THRUST_200600_302600_NS6detail15normal_iteratorINS8_10device_ptrIsEEEENSA_INSB_IiEEEEZNS1_13binary_searchIS3_S5_SD_SD_SF_NS1_21upper_bound_search_opENS9_16wrapped_functionINS0_4lessIvEEbEEEE10hipError_tPvRmT1_T2_T3_mmT4_T5_P12ihipStream_tbEUlRKsE_EESM_SQ_SR_mSS_SV_bEUlT_E_NS1_11comp_targetILNS1_3genE5ELNS1_11target_archE942ELNS1_3gpuE9ELNS1_3repE0EEENS1_30default_config_static_selectorELNS0_4arch9wavefront6targetE0EEEvSP_,"axG",@progbits,_ZN7rocprim17ROCPRIM_400000_NS6detail17trampoline_kernelINS0_14default_configENS1_27upper_bound_config_selectorIsiEEZNS1_14transform_implILb0ES3_S5_N6thrust23THRUST_200600_302600_NS6detail15normal_iteratorINS8_10device_ptrIsEEEENSA_INSB_IiEEEEZNS1_13binary_searchIS3_S5_SD_SD_SF_NS1_21upper_bound_search_opENS9_16wrapped_functionINS0_4lessIvEEbEEEE10hipError_tPvRmT1_T2_T3_mmT4_T5_P12ihipStream_tbEUlRKsE_EESM_SQ_SR_mSS_SV_bEUlT_E_NS1_11comp_targetILNS1_3genE5ELNS1_11target_archE942ELNS1_3gpuE9ELNS1_3repE0EEENS1_30default_config_static_selectorELNS0_4arch9wavefront6targetE0EEEvSP_,comdat
	.protected	_ZN7rocprim17ROCPRIM_400000_NS6detail17trampoline_kernelINS0_14default_configENS1_27upper_bound_config_selectorIsiEEZNS1_14transform_implILb0ES3_S5_N6thrust23THRUST_200600_302600_NS6detail15normal_iteratorINS8_10device_ptrIsEEEENSA_INSB_IiEEEEZNS1_13binary_searchIS3_S5_SD_SD_SF_NS1_21upper_bound_search_opENS9_16wrapped_functionINS0_4lessIvEEbEEEE10hipError_tPvRmT1_T2_T3_mmT4_T5_P12ihipStream_tbEUlRKsE_EESM_SQ_SR_mSS_SV_bEUlT_E_NS1_11comp_targetILNS1_3genE5ELNS1_11target_archE942ELNS1_3gpuE9ELNS1_3repE0EEENS1_30default_config_static_selectorELNS0_4arch9wavefront6targetE0EEEvSP_ ; -- Begin function _ZN7rocprim17ROCPRIM_400000_NS6detail17trampoline_kernelINS0_14default_configENS1_27upper_bound_config_selectorIsiEEZNS1_14transform_implILb0ES3_S5_N6thrust23THRUST_200600_302600_NS6detail15normal_iteratorINS8_10device_ptrIsEEEENSA_INSB_IiEEEEZNS1_13binary_searchIS3_S5_SD_SD_SF_NS1_21upper_bound_search_opENS9_16wrapped_functionINS0_4lessIvEEbEEEE10hipError_tPvRmT1_T2_T3_mmT4_T5_P12ihipStream_tbEUlRKsE_EESM_SQ_SR_mSS_SV_bEUlT_E_NS1_11comp_targetILNS1_3genE5ELNS1_11target_archE942ELNS1_3gpuE9ELNS1_3repE0EEENS1_30default_config_static_selectorELNS0_4arch9wavefront6targetE0EEEvSP_
	.globl	_ZN7rocprim17ROCPRIM_400000_NS6detail17trampoline_kernelINS0_14default_configENS1_27upper_bound_config_selectorIsiEEZNS1_14transform_implILb0ES3_S5_N6thrust23THRUST_200600_302600_NS6detail15normal_iteratorINS8_10device_ptrIsEEEENSA_INSB_IiEEEEZNS1_13binary_searchIS3_S5_SD_SD_SF_NS1_21upper_bound_search_opENS9_16wrapped_functionINS0_4lessIvEEbEEEE10hipError_tPvRmT1_T2_T3_mmT4_T5_P12ihipStream_tbEUlRKsE_EESM_SQ_SR_mSS_SV_bEUlT_E_NS1_11comp_targetILNS1_3genE5ELNS1_11target_archE942ELNS1_3gpuE9ELNS1_3repE0EEENS1_30default_config_static_selectorELNS0_4arch9wavefront6targetE0EEEvSP_
	.p2align	8
	.type	_ZN7rocprim17ROCPRIM_400000_NS6detail17trampoline_kernelINS0_14default_configENS1_27upper_bound_config_selectorIsiEEZNS1_14transform_implILb0ES3_S5_N6thrust23THRUST_200600_302600_NS6detail15normal_iteratorINS8_10device_ptrIsEEEENSA_INSB_IiEEEEZNS1_13binary_searchIS3_S5_SD_SD_SF_NS1_21upper_bound_search_opENS9_16wrapped_functionINS0_4lessIvEEbEEEE10hipError_tPvRmT1_T2_T3_mmT4_T5_P12ihipStream_tbEUlRKsE_EESM_SQ_SR_mSS_SV_bEUlT_E_NS1_11comp_targetILNS1_3genE5ELNS1_11target_archE942ELNS1_3gpuE9ELNS1_3repE0EEENS1_30default_config_static_selectorELNS0_4arch9wavefront6targetE0EEEvSP_,@function
_ZN7rocprim17ROCPRIM_400000_NS6detail17trampoline_kernelINS0_14default_configENS1_27upper_bound_config_selectorIsiEEZNS1_14transform_implILb0ES3_S5_N6thrust23THRUST_200600_302600_NS6detail15normal_iteratorINS8_10device_ptrIsEEEENSA_INSB_IiEEEEZNS1_13binary_searchIS3_S5_SD_SD_SF_NS1_21upper_bound_search_opENS9_16wrapped_functionINS0_4lessIvEEbEEEE10hipError_tPvRmT1_T2_T3_mmT4_T5_P12ihipStream_tbEUlRKsE_EESM_SQ_SR_mSS_SV_bEUlT_E_NS1_11comp_targetILNS1_3genE5ELNS1_11target_archE942ELNS1_3gpuE9ELNS1_3repE0EEENS1_30default_config_static_selectorELNS0_4arch9wavefront6targetE0EEEvSP_: ; @_ZN7rocprim17ROCPRIM_400000_NS6detail17trampoline_kernelINS0_14default_configENS1_27upper_bound_config_selectorIsiEEZNS1_14transform_implILb0ES3_S5_N6thrust23THRUST_200600_302600_NS6detail15normal_iteratorINS8_10device_ptrIsEEEENSA_INSB_IiEEEEZNS1_13binary_searchIS3_S5_SD_SD_SF_NS1_21upper_bound_search_opENS9_16wrapped_functionINS0_4lessIvEEbEEEE10hipError_tPvRmT1_T2_T3_mmT4_T5_P12ihipStream_tbEUlRKsE_EESM_SQ_SR_mSS_SV_bEUlT_E_NS1_11comp_targetILNS1_3genE5ELNS1_11target_archE942ELNS1_3gpuE9ELNS1_3repE0EEENS1_30default_config_static_selectorELNS0_4arch9wavefront6targetE0EEEvSP_
; %bb.0:
	.section	.rodata,"a",@progbits
	.p2align	6, 0x0
	.amdhsa_kernel _ZN7rocprim17ROCPRIM_400000_NS6detail17trampoline_kernelINS0_14default_configENS1_27upper_bound_config_selectorIsiEEZNS1_14transform_implILb0ES3_S5_N6thrust23THRUST_200600_302600_NS6detail15normal_iteratorINS8_10device_ptrIsEEEENSA_INSB_IiEEEEZNS1_13binary_searchIS3_S5_SD_SD_SF_NS1_21upper_bound_search_opENS9_16wrapped_functionINS0_4lessIvEEbEEEE10hipError_tPvRmT1_T2_T3_mmT4_T5_P12ihipStream_tbEUlRKsE_EESM_SQ_SR_mSS_SV_bEUlT_E_NS1_11comp_targetILNS1_3genE5ELNS1_11target_archE942ELNS1_3gpuE9ELNS1_3repE0EEENS1_30default_config_static_selectorELNS0_4arch9wavefront6targetE0EEEvSP_
		.amdhsa_group_segment_fixed_size 0
		.amdhsa_private_segment_fixed_size 0
		.amdhsa_kernarg_size 56
		.amdhsa_user_sgpr_count 15
		.amdhsa_user_sgpr_dispatch_ptr 0
		.amdhsa_user_sgpr_queue_ptr 0
		.amdhsa_user_sgpr_kernarg_segment_ptr 1
		.amdhsa_user_sgpr_dispatch_id 0
		.amdhsa_user_sgpr_private_segment_size 0
		.amdhsa_wavefront_size32 1
		.amdhsa_uses_dynamic_stack 0
		.amdhsa_enable_private_segment 0
		.amdhsa_system_sgpr_workgroup_id_x 1
		.amdhsa_system_sgpr_workgroup_id_y 0
		.amdhsa_system_sgpr_workgroup_id_z 0
		.amdhsa_system_sgpr_workgroup_info 0
		.amdhsa_system_vgpr_workitem_id 0
		.amdhsa_next_free_vgpr 1
		.amdhsa_next_free_sgpr 1
		.amdhsa_reserve_vcc 0
		.amdhsa_float_round_mode_32 0
		.amdhsa_float_round_mode_16_64 0
		.amdhsa_float_denorm_mode_32 3
		.amdhsa_float_denorm_mode_16_64 3
		.amdhsa_dx10_clamp 1
		.amdhsa_ieee_mode 1
		.amdhsa_fp16_overflow 0
		.amdhsa_workgroup_processor_mode 1
		.amdhsa_memory_ordered 1
		.amdhsa_forward_progress 0
		.amdhsa_shared_vgpr_count 0
		.amdhsa_exception_fp_ieee_invalid_op 0
		.amdhsa_exception_fp_denorm_src 0
		.amdhsa_exception_fp_ieee_div_zero 0
		.amdhsa_exception_fp_ieee_overflow 0
		.amdhsa_exception_fp_ieee_underflow 0
		.amdhsa_exception_fp_ieee_inexact 0
		.amdhsa_exception_int_div_zero 0
	.end_amdhsa_kernel
	.section	.text._ZN7rocprim17ROCPRIM_400000_NS6detail17trampoline_kernelINS0_14default_configENS1_27upper_bound_config_selectorIsiEEZNS1_14transform_implILb0ES3_S5_N6thrust23THRUST_200600_302600_NS6detail15normal_iteratorINS8_10device_ptrIsEEEENSA_INSB_IiEEEEZNS1_13binary_searchIS3_S5_SD_SD_SF_NS1_21upper_bound_search_opENS9_16wrapped_functionINS0_4lessIvEEbEEEE10hipError_tPvRmT1_T2_T3_mmT4_T5_P12ihipStream_tbEUlRKsE_EESM_SQ_SR_mSS_SV_bEUlT_E_NS1_11comp_targetILNS1_3genE5ELNS1_11target_archE942ELNS1_3gpuE9ELNS1_3repE0EEENS1_30default_config_static_selectorELNS0_4arch9wavefront6targetE0EEEvSP_,"axG",@progbits,_ZN7rocprim17ROCPRIM_400000_NS6detail17trampoline_kernelINS0_14default_configENS1_27upper_bound_config_selectorIsiEEZNS1_14transform_implILb0ES3_S5_N6thrust23THRUST_200600_302600_NS6detail15normal_iteratorINS8_10device_ptrIsEEEENSA_INSB_IiEEEEZNS1_13binary_searchIS3_S5_SD_SD_SF_NS1_21upper_bound_search_opENS9_16wrapped_functionINS0_4lessIvEEbEEEE10hipError_tPvRmT1_T2_T3_mmT4_T5_P12ihipStream_tbEUlRKsE_EESM_SQ_SR_mSS_SV_bEUlT_E_NS1_11comp_targetILNS1_3genE5ELNS1_11target_archE942ELNS1_3gpuE9ELNS1_3repE0EEENS1_30default_config_static_selectorELNS0_4arch9wavefront6targetE0EEEvSP_,comdat
.Lfunc_end394:
	.size	_ZN7rocprim17ROCPRIM_400000_NS6detail17trampoline_kernelINS0_14default_configENS1_27upper_bound_config_selectorIsiEEZNS1_14transform_implILb0ES3_S5_N6thrust23THRUST_200600_302600_NS6detail15normal_iteratorINS8_10device_ptrIsEEEENSA_INSB_IiEEEEZNS1_13binary_searchIS3_S5_SD_SD_SF_NS1_21upper_bound_search_opENS9_16wrapped_functionINS0_4lessIvEEbEEEE10hipError_tPvRmT1_T2_T3_mmT4_T5_P12ihipStream_tbEUlRKsE_EESM_SQ_SR_mSS_SV_bEUlT_E_NS1_11comp_targetILNS1_3genE5ELNS1_11target_archE942ELNS1_3gpuE9ELNS1_3repE0EEENS1_30default_config_static_selectorELNS0_4arch9wavefront6targetE0EEEvSP_, .Lfunc_end394-_ZN7rocprim17ROCPRIM_400000_NS6detail17trampoline_kernelINS0_14default_configENS1_27upper_bound_config_selectorIsiEEZNS1_14transform_implILb0ES3_S5_N6thrust23THRUST_200600_302600_NS6detail15normal_iteratorINS8_10device_ptrIsEEEENSA_INSB_IiEEEEZNS1_13binary_searchIS3_S5_SD_SD_SF_NS1_21upper_bound_search_opENS9_16wrapped_functionINS0_4lessIvEEbEEEE10hipError_tPvRmT1_T2_T3_mmT4_T5_P12ihipStream_tbEUlRKsE_EESM_SQ_SR_mSS_SV_bEUlT_E_NS1_11comp_targetILNS1_3genE5ELNS1_11target_archE942ELNS1_3gpuE9ELNS1_3repE0EEENS1_30default_config_static_selectorELNS0_4arch9wavefront6targetE0EEEvSP_
                                        ; -- End function
	.section	.AMDGPU.csdata,"",@progbits
; Kernel info:
; codeLenInByte = 0
; NumSgprs: 0
; NumVgprs: 0
; ScratchSize: 0
; MemoryBound: 0
; FloatMode: 240
; IeeeMode: 1
; LDSByteSize: 0 bytes/workgroup (compile time only)
; SGPRBlocks: 0
; VGPRBlocks: 0
; NumSGPRsForWavesPerEU: 1
; NumVGPRsForWavesPerEU: 1
; Occupancy: 16
; WaveLimiterHint : 0
; COMPUTE_PGM_RSRC2:SCRATCH_EN: 0
; COMPUTE_PGM_RSRC2:USER_SGPR: 15
; COMPUTE_PGM_RSRC2:TRAP_HANDLER: 0
; COMPUTE_PGM_RSRC2:TGID_X_EN: 1
; COMPUTE_PGM_RSRC2:TGID_Y_EN: 0
; COMPUTE_PGM_RSRC2:TGID_Z_EN: 0
; COMPUTE_PGM_RSRC2:TIDIG_COMP_CNT: 0
	.section	.text._ZN7rocprim17ROCPRIM_400000_NS6detail17trampoline_kernelINS0_14default_configENS1_27upper_bound_config_selectorIsiEEZNS1_14transform_implILb0ES3_S5_N6thrust23THRUST_200600_302600_NS6detail15normal_iteratorINS8_10device_ptrIsEEEENSA_INSB_IiEEEEZNS1_13binary_searchIS3_S5_SD_SD_SF_NS1_21upper_bound_search_opENS9_16wrapped_functionINS0_4lessIvEEbEEEE10hipError_tPvRmT1_T2_T3_mmT4_T5_P12ihipStream_tbEUlRKsE_EESM_SQ_SR_mSS_SV_bEUlT_E_NS1_11comp_targetILNS1_3genE4ELNS1_11target_archE910ELNS1_3gpuE8ELNS1_3repE0EEENS1_30default_config_static_selectorELNS0_4arch9wavefront6targetE0EEEvSP_,"axG",@progbits,_ZN7rocprim17ROCPRIM_400000_NS6detail17trampoline_kernelINS0_14default_configENS1_27upper_bound_config_selectorIsiEEZNS1_14transform_implILb0ES3_S5_N6thrust23THRUST_200600_302600_NS6detail15normal_iteratorINS8_10device_ptrIsEEEENSA_INSB_IiEEEEZNS1_13binary_searchIS3_S5_SD_SD_SF_NS1_21upper_bound_search_opENS9_16wrapped_functionINS0_4lessIvEEbEEEE10hipError_tPvRmT1_T2_T3_mmT4_T5_P12ihipStream_tbEUlRKsE_EESM_SQ_SR_mSS_SV_bEUlT_E_NS1_11comp_targetILNS1_3genE4ELNS1_11target_archE910ELNS1_3gpuE8ELNS1_3repE0EEENS1_30default_config_static_selectorELNS0_4arch9wavefront6targetE0EEEvSP_,comdat
	.protected	_ZN7rocprim17ROCPRIM_400000_NS6detail17trampoline_kernelINS0_14default_configENS1_27upper_bound_config_selectorIsiEEZNS1_14transform_implILb0ES3_S5_N6thrust23THRUST_200600_302600_NS6detail15normal_iteratorINS8_10device_ptrIsEEEENSA_INSB_IiEEEEZNS1_13binary_searchIS3_S5_SD_SD_SF_NS1_21upper_bound_search_opENS9_16wrapped_functionINS0_4lessIvEEbEEEE10hipError_tPvRmT1_T2_T3_mmT4_T5_P12ihipStream_tbEUlRKsE_EESM_SQ_SR_mSS_SV_bEUlT_E_NS1_11comp_targetILNS1_3genE4ELNS1_11target_archE910ELNS1_3gpuE8ELNS1_3repE0EEENS1_30default_config_static_selectorELNS0_4arch9wavefront6targetE0EEEvSP_ ; -- Begin function _ZN7rocprim17ROCPRIM_400000_NS6detail17trampoline_kernelINS0_14default_configENS1_27upper_bound_config_selectorIsiEEZNS1_14transform_implILb0ES3_S5_N6thrust23THRUST_200600_302600_NS6detail15normal_iteratorINS8_10device_ptrIsEEEENSA_INSB_IiEEEEZNS1_13binary_searchIS3_S5_SD_SD_SF_NS1_21upper_bound_search_opENS9_16wrapped_functionINS0_4lessIvEEbEEEE10hipError_tPvRmT1_T2_T3_mmT4_T5_P12ihipStream_tbEUlRKsE_EESM_SQ_SR_mSS_SV_bEUlT_E_NS1_11comp_targetILNS1_3genE4ELNS1_11target_archE910ELNS1_3gpuE8ELNS1_3repE0EEENS1_30default_config_static_selectorELNS0_4arch9wavefront6targetE0EEEvSP_
	.globl	_ZN7rocprim17ROCPRIM_400000_NS6detail17trampoline_kernelINS0_14default_configENS1_27upper_bound_config_selectorIsiEEZNS1_14transform_implILb0ES3_S5_N6thrust23THRUST_200600_302600_NS6detail15normal_iteratorINS8_10device_ptrIsEEEENSA_INSB_IiEEEEZNS1_13binary_searchIS3_S5_SD_SD_SF_NS1_21upper_bound_search_opENS9_16wrapped_functionINS0_4lessIvEEbEEEE10hipError_tPvRmT1_T2_T3_mmT4_T5_P12ihipStream_tbEUlRKsE_EESM_SQ_SR_mSS_SV_bEUlT_E_NS1_11comp_targetILNS1_3genE4ELNS1_11target_archE910ELNS1_3gpuE8ELNS1_3repE0EEENS1_30default_config_static_selectorELNS0_4arch9wavefront6targetE0EEEvSP_
	.p2align	8
	.type	_ZN7rocprim17ROCPRIM_400000_NS6detail17trampoline_kernelINS0_14default_configENS1_27upper_bound_config_selectorIsiEEZNS1_14transform_implILb0ES3_S5_N6thrust23THRUST_200600_302600_NS6detail15normal_iteratorINS8_10device_ptrIsEEEENSA_INSB_IiEEEEZNS1_13binary_searchIS3_S5_SD_SD_SF_NS1_21upper_bound_search_opENS9_16wrapped_functionINS0_4lessIvEEbEEEE10hipError_tPvRmT1_T2_T3_mmT4_T5_P12ihipStream_tbEUlRKsE_EESM_SQ_SR_mSS_SV_bEUlT_E_NS1_11comp_targetILNS1_3genE4ELNS1_11target_archE910ELNS1_3gpuE8ELNS1_3repE0EEENS1_30default_config_static_selectorELNS0_4arch9wavefront6targetE0EEEvSP_,@function
_ZN7rocprim17ROCPRIM_400000_NS6detail17trampoline_kernelINS0_14default_configENS1_27upper_bound_config_selectorIsiEEZNS1_14transform_implILb0ES3_S5_N6thrust23THRUST_200600_302600_NS6detail15normal_iteratorINS8_10device_ptrIsEEEENSA_INSB_IiEEEEZNS1_13binary_searchIS3_S5_SD_SD_SF_NS1_21upper_bound_search_opENS9_16wrapped_functionINS0_4lessIvEEbEEEE10hipError_tPvRmT1_T2_T3_mmT4_T5_P12ihipStream_tbEUlRKsE_EESM_SQ_SR_mSS_SV_bEUlT_E_NS1_11comp_targetILNS1_3genE4ELNS1_11target_archE910ELNS1_3gpuE8ELNS1_3repE0EEENS1_30default_config_static_selectorELNS0_4arch9wavefront6targetE0EEEvSP_: ; @_ZN7rocprim17ROCPRIM_400000_NS6detail17trampoline_kernelINS0_14default_configENS1_27upper_bound_config_selectorIsiEEZNS1_14transform_implILb0ES3_S5_N6thrust23THRUST_200600_302600_NS6detail15normal_iteratorINS8_10device_ptrIsEEEENSA_INSB_IiEEEEZNS1_13binary_searchIS3_S5_SD_SD_SF_NS1_21upper_bound_search_opENS9_16wrapped_functionINS0_4lessIvEEbEEEE10hipError_tPvRmT1_T2_T3_mmT4_T5_P12ihipStream_tbEUlRKsE_EESM_SQ_SR_mSS_SV_bEUlT_E_NS1_11comp_targetILNS1_3genE4ELNS1_11target_archE910ELNS1_3gpuE8ELNS1_3repE0EEENS1_30default_config_static_selectorELNS0_4arch9wavefront6targetE0EEEvSP_
; %bb.0:
	.section	.rodata,"a",@progbits
	.p2align	6, 0x0
	.amdhsa_kernel _ZN7rocprim17ROCPRIM_400000_NS6detail17trampoline_kernelINS0_14default_configENS1_27upper_bound_config_selectorIsiEEZNS1_14transform_implILb0ES3_S5_N6thrust23THRUST_200600_302600_NS6detail15normal_iteratorINS8_10device_ptrIsEEEENSA_INSB_IiEEEEZNS1_13binary_searchIS3_S5_SD_SD_SF_NS1_21upper_bound_search_opENS9_16wrapped_functionINS0_4lessIvEEbEEEE10hipError_tPvRmT1_T2_T3_mmT4_T5_P12ihipStream_tbEUlRKsE_EESM_SQ_SR_mSS_SV_bEUlT_E_NS1_11comp_targetILNS1_3genE4ELNS1_11target_archE910ELNS1_3gpuE8ELNS1_3repE0EEENS1_30default_config_static_selectorELNS0_4arch9wavefront6targetE0EEEvSP_
		.amdhsa_group_segment_fixed_size 0
		.amdhsa_private_segment_fixed_size 0
		.amdhsa_kernarg_size 56
		.amdhsa_user_sgpr_count 15
		.amdhsa_user_sgpr_dispatch_ptr 0
		.amdhsa_user_sgpr_queue_ptr 0
		.amdhsa_user_sgpr_kernarg_segment_ptr 1
		.amdhsa_user_sgpr_dispatch_id 0
		.amdhsa_user_sgpr_private_segment_size 0
		.amdhsa_wavefront_size32 1
		.amdhsa_uses_dynamic_stack 0
		.amdhsa_enable_private_segment 0
		.amdhsa_system_sgpr_workgroup_id_x 1
		.amdhsa_system_sgpr_workgroup_id_y 0
		.amdhsa_system_sgpr_workgroup_id_z 0
		.amdhsa_system_sgpr_workgroup_info 0
		.amdhsa_system_vgpr_workitem_id 0
		.amdhsa_next_free_vgpr 1
		.amdhsa_next_free_sgpr 1
		.amdhsa_reserve_vcc 0
		.amdhsa_float_round_mode_32 0
		.amdhsa_float_round_mode_16_64 0
		.amdhsa_float_denorm_mode_32 3
		.amdhsa_float_denorm_mode_16_64 3
		.amdhsa_dx10_clamp 1
		.amdhsa_ieee_mode 1
		.amdhsa_fp16_overflow 0
		.amdhsa_workgroup_processor_mode 1
		.amdhsa_memory_ordered 1
		.amdhsa_forward_progress 0
		.amdhsa_shared_vgpr_count 0
		.amdhsa_exception_fp_ieee_invalid_op 0
		.amdhsa_exception_fp_denorm_src 0
		.amdhsa_exception_fp_ieee_div_zero 0
		.amdhsa_exception_fp_ieee_overflow 0
		.amdhsa_exception_fp_ieee_underflow 0
		.amdhsa_exception_fp_ieee_inexact 0
		.amdhsa_exception_int_div_zero 0
	.end_amdhsa_kernel
	.section	.text._ZN7rocprim17ROCPRIM_400000_NS6detail17trampoline_kernelINS0_14default_configENS1_27upper_bound_config_selectorIsiEEZNS1_14transform_implILb0ES3_S5_N6thrust23THRUST_200600_302600_NS6detail15normal_iteratorINS8_10device_ptrIsEEEENSA_INSB_IiEEEEZNS1_13binary_searchIS3_S5_SD_SD_SF_NS1_21upper_bound_search_opENS9_16wrapped_functionINS0_4lessIvEEbEEEE10hipError_tPvRmT1_T2_T3_mmT4_T5_P12ihipStream_tbEUlRKsE_EESM_SQ_SR_mSS_SV_bEUlT_E_NS1_11comp_targetILNS1_3genE4ELNS1_11target_archE910ELNS1_3gpuE8ELNS1_3repE0EEENS1_30default_config_static_selectorELNS0_4arch9wavefront6targetE0EEEvSP_,"axG",@progbits,_ZN7rocprim17ROCPRIM_400000_NS6detail17trampoline_kernelINS0_14default_configENS1_27upper_bound_config_selectorIsiEEZNS1_14transform_implILb0ES3_S5_N6thrust23THRUST_200600_302600_NS6detail15normal_iteratorINS8_10device_ptrIsEEEENSA_INSB_IiEEEEZNS1_13binary_searchIS3_S5_SD_SD_SF_NS1_21upper_bound_search_opENS9_16wrapped_functionINS0_4lessIvEEbEEEE10hipError_tPvRmT1_T2_T3_mmT4_T5_P12ihipStream_tbEUlRKsE_EESM_SQ_SR_mSS_SV_bEUlT_E_NS1_11comp_targetILNS1_3genE4ELNS1_11target_archE910ELNS1_3gpuE8ELNS1_3repE0EEENS1_30default_config_static_selectorELNS0_4arch9wavefront6targetE0EEEvSP_,comdat
.Lfunc_end395:
	.size	_ZN7rocprim17ROCPRIM_400000_NS6detail17trampoline_kernelINS0_14default_configENS1_27upper_bound_config_selectorIsiEEZNS1_14transform_implILb0ES3_S5_N6thrust23THRUST_200600_302600_NS6detail15normal_iteratorINS8_10device_ptrIsEEEENSA_INSB_IiEEEEZNS1_13binary_searchIS3_S5_SD_SD_SF_NS1_21upper_bound_search_opENS9_16wrapped_functionINS0_4lessIvEEbEEEE10hipError_tPvRmT1_T2_T3_mmT4_T5_P12ihipStream_tbEUlRKsE_EESM_SQ_SR_mSS_SV_bEUlT_E_NS1_11comp_targetILNS1_3genE4ELNS1_11target_archE910ELNS1_3gpuE8ELNS1_3repE0EEENS1_30default_config_static_selectorELNS0_4arch9wavefront6targetE0EEEvSP_, .Lfunc_end395-_ZN7rocprim17ROCPRIM_400000_NS6detail17trampoline_kernelINS0_14default_configENS1_27upper_bound_config_selectorIsiEEZNS1_14transform_implILb0ES3_S5_N6thrust23THRUST_200600_302600_NS6detail15normal_iteratorINS8_10device_ptrIsEEEENSA_INSB_IiEEEEZNS1_13binary_searchIS3_S5_SD_SD_SF_NS1_21upper_bound_search_opENS9_16wrapped_functionINS0_4lessIvEEbEEEE10hipError_tPvRmT1_T2_T3_mmT4_T5_P12ihipStream_tbEUlRKsE_EESM_SQ_SR_mSS_SV_bEUlT_E_NS1_11comp_targetILNS1_3genE4ELNS1_11target_archE910ELNS1_3gpuE8ELNS1_3repE0EEENS1_30default_config_static_selectorELNS0_4arch9wavefront6targetE0EEEvSP_
                                        ; -- End function
	.section	.AMDGPU.csdata,"",@progbits
; Kernel info:
; codeLenInByte = 0
; NumSgprs: 0
; NumVgprs: 0
; ScratchSize: 0
; MemoryBound: 0
; FloatMode: 240
; IeeeMode: 1
; LDSByteSize: 0 bytes/workgroup (compile time only)
; SGPRBlocks: 0
; VGPRBlocks: 0
; NumSGPRsForWavesPerEU: 1
; NumVGPRsForWavesPerEU: 1
; Occupancy: 16
; WaveLimiterHint : 0
; COMPUTE_PGM_RSRC2:SCRATCH_EN: 0
; COMPUTE_PGM_RSRC2:USER_SGPR: 15
; COMPUTE_PGM_RSRC2:TRAP_HANDLER: 0
; COMPUTE_PGM_RSRC2:TGID_X_EN: 1
; COMPUTE_PGM_RSRC2:TGID_Y_EN: 0
; COMPUTE_PGM_RSRC2:TGID_Z_EN: 0
; COMPUTE_PGM_RSRC2:TIDIG_COMP_CNT: 0
	.section	.text._ZN7rocprim17ROCPRIM_400000_NS6detail17trampoline_kernelINS0_14default_configENS1_27upper_bound_config_selectorIsiEEZNS1_14transform_implILb0ES3_S5_N6thrust23THRUST_200600_302600_NS6detail15normal_iteratorINS8_10device_ptrIsEEEENSA_INSB_IiEEEEZNS1_13binary_searchIS3_S5_SD_SD_SF_NS1_21upper_bound_search_opENS9_16wrapped_functionINS0_4lessIvEEbEEEE10hipError_tPvRmT1_T2_T3_mmT4_T5_P12ihipStream_tbEUlRKsE_EESM_SQ_SR_mSS_SV_bEUlT_E_NS1_11comp_targetILNS1_3genE3ELNS1_11target_archE908ELNS1_3gpuE7ELNS1_3repE0EEENS1_30default_config_static_selectorELNS0_4arch9wavefront6targetE0EEEvSP_,"axG",@progbits,_ZN7rocprim17ROCPRIM_400000_NS6detail17trampoline_kernelINS0_14default_configENS1_27upper_bound_config_selectorIsiEEZNS1_14transform_implILb0ES3_S5_N6thrust23THRUST_200600_302600_NS6detail15normal_iteratorINS8_10device_ptrIsEEEENSA_INSB_IiEEEEZNS1_13binary_searchIS3_S5_SD_SD_SF_NS1_21upper_bound_search_opENS9_16wrapped_functionINS0_4lessIvEEbEEEE10hipError_tPvRmT1_T2_T3_mmT4_T5_P12ihipStream_tbEUlRKsE_EESM_SQ_SR_mSS_SV_bEUlT_E_NS1_11comp_targetILNS1_3genE3ELNS1_11target_archE908ELNS1_3gpuE7ELNS1_3repE0EEENS1_30default_config_static_selectorELNS0_4arch9wavefront6targetE0EEEvSP_,comdat
	.protected	_ZN7rocprim17ROCPRIM_400000_NS6detail17trampoline_kernelINS0_14default_configENS1_27upper_bound_config_selectorIsiEEZNS1_14transform_implILb0ES3_S5_N6thrust23THRUST_200600_302600_NS6detail15normal_iteratorINS8_10device_ptrIsEEEENSA_INSB_IiEEEEZNS1_13binary_searchIS3_S5_SD_SD_SF_NS1_21upper_bound_search_opENS9_16wrapped_functionINS0_4lessIvEEbEEEE10hipError_tPvRmT1_T2_T3_mmT4_T5_P12ihipStream_tbEUlRKsE_EESM_SQ_SR_mSS_SV_bEUlT_E_NS1_11comp_targetILNS1_3genE3ELNS1_11target_archE908ELNS1_3gpuE7ELNS1_3repE0EEENS1_30default_config_static_selectorELNS0_4arch9wavefront6targetE0EEEvSP_ ; -- Begin function _ZN7rocprim17ROCPRIM_400000_NS6detail17trampoline_kernelINS0_14default_configENS1_27upper_bound_config_selectorIsiEEZNS1_14transform_implILb0ES3_S5_N6thrust23THRUST_200600_302600_NS6detail15normal_iteratorINS8_10device_ptrIsEEEENSA_INSB_IiEEEEZNS1_13binary_searchIS3_S5_SD_SD_SF_NS1_21upper_bound_search_opENS9_16wrapped_functionINS0_4lessIvEEbEEEE10hipError_tPvRmT1_T2_T3_mmT4_T5_P12ihipStream_tbEUlRKsE_EESM_SQ_SR_mSS_SV_bEUlT_E_NS1_11comp_targetILNS1_3genE3ELNS1_11target_archE908ELNS1_3gpuE7ELNS1_3repE0EEENS1_30default_config_static_selectorELNS0_4arch9wavefront6targetE0EEEvSP_
	.globl	_ZN7rocprim17ROCPRIM_400000_NS6detail17trampoline_kernelINS0_14default_configENS1_27upper_bound_config_selectorIsiEEZNS1_14transform_implILb0ES3_S5_N6thrust23THRUST_200600_302600_NS6detail15normal_iteratorINS8_10device_ptrIsEEEENSA_INSB_IiEEEEZNS1_13binary_searchIS3_S5_SD_SD_SF_NS1_21upper_bound_search_opENS9_16wrapped_functionINS0_4lessIvEEbEEEE10hipError_tPvRmT1_T2_T3_mmT4_T5_P12ihipStream_tbEUlRKsE_EESM_SQ_SR_mSS_SV_bEUlT_E_NS1_11comp_targetILNS1_3genE3ELNS1_11target_archE908ELNS1_3gpuE7ELNS1_3repE0EEENS1_30default_config_static_selectorELNS0_4arch9wavefront6targetE0EEEvSP_
	.p2align	8
	.type	_ZN7rocprim17ROCPRIM_400000_NS6detail17trampoline_kernelINS0_14default_configENS1_27upper_bound_config_selectorIsiEEZNS1_14transform_implILb0ES3_S5_N6thrust23THRUST_200600_302600_NS6detail15normal_iteratorINS8_10device_ptrIsEEEENSA_INSB_IiEEEEZNS1_13binary_searchIS3_S5_SD_SD_SF_NS1_21upper_bound_search_opENS9_16wrapped_functionINS0_4lessIvEEbEEEE10hipError_tPvRmT1_T2_T3_mmT4_T5_P12ihipStream_tbEUlRKsE_EESM_SQ_SR_mSS_SV_bEUlT_E_NS1_11comp_targetILNS1_3genE3ELNS1_11target_archE908ELNS1_3gpuE7ELNS1_3repE0EEENS1_30default_config_static_selectorELNS0_4arch9wavefront6targetE0EEEvSP_,@function
_ZN7rocprim17ROCPRIM_400000_NS6detail17trampoline_kernelINS0_14default_configENS1_27upper_bound_config_selectorIsiEEZNS1_14transform_implILb0ES3_S5_N6thrust23THRUST_200600_302600_NS6detail15normal_iteratorINS8_10device_ptrIsEEEENSA_INSB_IiEEEEZNS1_13binary_searchIS3_S5_SD_SD_SF_NS1_21upper_bound_search_opENS9_16wrapped_functionINS0_4lessIvEEbEEEE10hipError_tPvRmT1_T2_T3_mmT4_T5_P12ihipStream_tbEUlRKsE_EESM_SQ_SR_mSS_SV_bEUlT_E_NS1_11comp_targetILNS1_3genE3ELNS1_11target_archE908ELNS1_3gpuE7ELNS1_3repE0EEENS1_30default_config_static_selectorELNS0_4arch9wavefront6targetE0EEEvSP_: ; @_ZN7rocprim17ROCPRIM_400000_NS6detail17trampoline_kernelINS0_14default_configENS1_27upper_bound_config_selectorIsiEEZNS1_14transform_implILb0ES3_S5_N6thrust23THRUST_200600_302600_NS6detail15normal_iteratorINS8_10device_ptrIsEEEENSA_INSB_IiEEEEZNS1_13binary_searchIS3_S5_SD_SD_SF_NS1_21upper_bound_search_opENS9_16wrapped_functionINS0_4lessIvEEbEEEE10hipError_tPvRmT1_T2_T3_mmT4_T5_P12ihipStream_tbEUlRKsE_EESM_SQ_SR_mSS_SV_bEUlT_E_NS1_11comp_targetILNS1_3genE3ELNS1_11target_archE908ELNS1_3gpuE7ELNS1_3repE0EEENS1_30default_config_static_selectorELNS0_4arch9wavefront6targetE0EEEvSP_
; %bb.0:
	.section	.rodata,"a",@progbits
	.p2align	6, 0x0
	.amdhsa_kernel _ZN7rocprim17ROCPRIM_400000_NS6detail17trampoline_kernelINS0_14default_configENS1_27upper_bound_config_selectorIsiEEZNS1_14transform_implILb0ES3_S5_N6thrust23THRUST_200600_302600_NS6detail15normal_iteratorINS8_10device_ptrIsEEEENSA_INSB_IiEEEEZNS1_13binary_searchIS3_S5_SD_SD_SF_NS1_21upper_bound_search_opENS9_16wrapped_functionINS0_4lessIvEEbEEEE10hipError_tPvRmT1_T2_T3_mmT4_T5_P12ihipStream_tbEUlRKsE_EESM_SQ_SR_mSS_SV_bEUlT_E_NS1_11comp_targetILNS1_3genE3ELNS1_11target_archE908ELNS1_3gpuE7ELNS1_3repE0EEENS1_30default_config_static_selectorELNS0_4arch9wavefront6targetE0EEEvSP_
		.amdhsa_group_segment_fixed_size 0
		.amdhsa_private_segment_fixed_size 0
		.amdhsa_kernarg_size 56
		.amdhsa_user_sgpr_count 15
		.amdhsa_user_sgpr_dispatch_ptr 0
		.amdhsa_user_sgpr_queue_ptr 0
		.amdhsa_user_sgpr_kernarg_segment_ptr 1
		.amdhsa_user_sgpr_dispatch_id 0
		.amdhsa_user_sgpr_private_segment_size 0
		.amdhsa_wavefront_size32 1
		.amdhsa_uses_dynamic_stack 0
		.amdhsa_enable_private_segment 0
		.amdhsa_system_sgpr_workgroup_id_x 1
		.amdhsa_system_sgpr_workgroup_id_y 0
		.amdhsa_system_sgpr_workgroup_id_z 0
		.amdhsa_system_sgpr_workgroup_info 0
		.amdhsa_system_vgpr_workitem_id 0
		.amdhsa_next_free_vgpr 1
		.amdhsa_next_free_sgpr 1
		.amdhsa_reserve_vcc 0
		.amdhsa_float_round_mode_32 0
		.amdhsa_float_round_mode_16_64 0
		.amdhsa_float_denorm_mode_32 3
		.amdhsa_float_denorm_mode_16_64 3
		.amdhsa_dx10_clamp 1
		.amdhsa_ieee_mode 1
		.amdhsa_fp16_overflow 0
		.amdhsa_workgroup_processor_mode 1
		.amdhsa_memory_ordered 1
		.amdhsa_forward_progress 0
		.amdhsa_shared_vgpr_count 0
		.amdhsa_exception_fp_ieee_invalid_op 0
		.amdhsa_exception_fp_denorm_src 0
		.amdhsa_exception_fp_ieee_div_zero 0
		.amdhsa_exception_fp_ieee_overflow 0
		.amdhsa_exception_fp_ieee_underflow 0
		.amdhsa_exception_fp_ieee_inexact 0
		.amdhsa_exception_int_div_zero 0
	.end_amdhsa_kernel
	.section	.text._ZN7rocprim17ROCPRIM_400000_NS6detail17trampoline_kernelINS0_14default_configENS1_27upper_bound_config_selectorIsiEEZNS1_14transform_implILb0ES3_S5_N6thrust23THRUST_200600_302600_NS6detail15normal_iteratorINS8_10device_ptrIsEEEENSA_INSB_IiEEEEZNS1_13binary_searchIS3_S5_SD_SD_SF_NS1_21upper_bound_search_opENS9_16wrapped_functionINS0_4lessIvEEbEEEE10hipError_tPvRmT1_T2_T3_mmT4_T5_P12ihipStream_tbEUlRKsE_EESM_SQ_SR_mSS_SV_bEUlT_E_NS1_11comp_targetILNS1_3genE3ELNS1_11target_archE908ELNS1_3gpuE7ELNS1_3repE0EEENS1_30default_config_static_selectorELNS0_4arch9wavefront6targetE0EEEvSP_,"axG",@progbits,_ZN7rocprim17ROCPRIM_400000_NS6detail17trampoline_kernelINS0_14default_configENS1_27upper_bound_config_selectorIsiEEZNS1_14transform_implILb0ES3_S5_N6thrust23THRUST_200600_302600_NS6detail15normal_iteratorINS8_10device_ptrIsEEEENSA_INSB_IiEEEEZNS1_13binary_searchIS3_S5_SD_SD_SF_NS1_21upper_bound_search_opENS9_16wrapped_functionINS0_4lessIvEEbEEEE10hipError_tPvRmT1_T2_T3_mmT4_T5_P12ihipStream_tbEUlRKsE_EESM_SQ_SR_mSS_SV_bEUlT_E_NS1_11comp_targetILNS1_3genE3ELNS1_11target_archE908ELNS1_3gpuE7ELNS1_3repE0EEENS1_30default_config_static_selectorELNS0_4arch9wavefront6targetE0EEEvSP_,comdat
.Lfunc_end396:
	.size	_ZN7rocprim17ROCPRIM_400000_NS6detail17trampoline_kernelINS0_14default_configENS1_27upper_bound_config_selectorIsiEEZNS1_14transform_implILb0ES3_S5_N6thrust23THRUST_200600_302600_NS6detail15normal_iteratorINS8_10device_ptrIsEEEENSA_INSB_IiEEEEZNS1_13binary_searchIS3_S5_SD_SD_SF_NS1_21upper_bound_search_opENS9_16wrapped_functionINS0_4lessIvEEbEEEE10hipError_tPvRmT1_T2_T3_mmT4_T5_P12ihipStream_tbEUlRKsE_EESM_SQ_SR_mSS_SV_bEUlT_E_NS1_11comp_targetILNS1_3genE3ELNS1_11target_archE908ELNS1_3gpuE7ELNS1_3repE0EEENS1_30default_config_static_selectorELNS0_4arch9wavefront6targetE0EEEvSP_, .Lfunc_end396-_ZN7rocprim17ROCPRIM_400000_NS6detail17trampoline_kernelINS0_14default_configENS1_27upper_bound_config_selectorIsiEEZNS1_14transform_implILb0ES3_S5_N6thrust23THRUST_200600_302600_NS6detail15normal_iteratorINS8_10device_ptrIsEEEENSA_INSB_IiEEEEZNS1_13binary_searchIS3_S5_SD_SD_SF_NS1_21upper_bound_search_opENS9_16wrapped_functionINS0_4lessIvEEbEEEE10hipError_tPvRmT1_T2_T3_mmT4_T5_P12ihipStream_tbEUlRKsE_EESM_SQ_SR_mSS_SV_bEUlT_E_NS1_11comp_targetILNS1_3genE3ELNS1_11target_archE908ELNS1_3gpuE7ELNS1_3repE0EEENS1_30default_config_static_selectorELNS0_4arch9wavefront6targetE0EEEvSP_
                                        ; -- End function
	.section	.AMDGPU.csdata,"",@progbits
; Kernel info:
; codeLenInByte = 0
; NumSgprs: 0
; NumVgprs: 0
; ScratchSize: 0
; MemoryBound: 0
; FloatMode: 240
; IeeeMode: 1
; LDSByteSize: 0 bytes/workgroup (compile time only)
; SGPRBlocks: 0
; VGPRBlocks: 0
; NumSGPRsForWavesPerEU: 1
; NumVGPRsForWavesPerEU: 1
; Occupancy: 16
; WaveLimiterHint : 0
; COMPUTE_PGM_RSRC2:SCRATCH_EN: 0
; COMPUTE_PGM_RSRC2:USER_SGPR: 15
; COMPUTE_PGM_RSRC2:TRAP_HANDLER: 0
; COMPUTE_PGM_RSRC2:TGID_X_EN: 1
; COMPUTE_PGM_RSRC2:TGID_Y_EN: 0
; COMPUTE_PGM_RSRC2:TGID_Z_EN: 0
; COMPUTE_PGM_RSRC2:TIDIG_COMP_CNT: 0
	.section	.text._ZN7rocprim17ROCPRIM_400000_NS6detail17trampoline_kernelINS0_14default_configENS1_27upper_bound_config_selectorIsiEEZNS1_14transform_implILb0ES3_S5_N6thrust23THRUST_200600_302600_NS6detail15normal_iteratorINS8_10device_ptrIsEEEENSA_INSB_IiEEEEZNS1_13binary_searchIS3_S5_SD_SD_SF_NS1_21upper_bound_search_opENS9_16wrapped_functionINS0_4lessIvEEbEEEE10hipError_tPvRmT1_T2_T3_mmT4_T5_P12ihipStream_tbEUlRKsE_EESM_SQ_SR_mSS_SV_bEUlT_E_NS1_11comp_targetILNS1_3genE2ELNS1_11target_archE906ELNS1_3gpuE6ELNS1_3repE0EEENS1_30default_config_static_selectorELNS0_4arch9wavefront6targetE0EEEvSP_,"axG",@progbits,_ZN7rocprim17ROCPRIM_400000_NS6detail17trampoline_kernelINS0_14default_configENS1_27upper_bound_config_selectorIsiEEZNS1_14transform_implILb0ES3_S5_N6thrust23THRUST_200600_302600_NS6detail15normal_iteratorINS8_10device_ptrIsEEEENSA_INSB_IiEEEEZNS1_13binary_searchIS3_S5_SD_SD_SF_NS1_21upper_bound_search_opENS9_16wrapped_functionINS0_4lessIvEEbEEEE10hipError_tPvRmT1_T2_T3_mmT4_T5_P12ihipStream_tbEUlRKsE_EESM_SQ_SR_mSS_SV_bEUlT_E_NS1_11comp_targetILNS1_3genE2ELNS1_11target_archE906ELNS1_3gpuE6ELNS1_3repE0EEENS1_30default_config_static_selectorELNS0_4arch9wavefront6targetE0EEEvSP_,comdat
	.protected	_ZN7rocprim17ROCPRIM_400000_NS6detail17trampoline_kernelINS0_14default_configENS1_27upper_bound_config_selectorIsiEEZNS1_14transform_implILb0ES3_S5_N6thrust23THRUST_200600_302600_NS6detail15normal_iteratorINS8_10device_ptrIsEEEENSA_INSB_IiEEEEZNS1_13binary_searchIS3_S5_SD_SD_SF_NS1_21upper_bound_search_opENS9_16wrapped_functionINS0_4lessIvEEbEEEE10hipError_tPvRmT1_T2_T3_mmT4_T5_P12ihipStream_tbEUlRKsE_EESM_SQ_SR_mSS_SV_bEUlT_E_NS1_11comp_targetILNS1_3genE2ELNS1_11target_archE906ELNS1_3gpuE6ELNS1_3repE0EEENS1_30default_config_static_selectorELNS0_4arch9wavefront6targetE0EEEvSP_ ; -- Begin function _ZN7rocprim17ROCPRIM_400000_NS6detail17trampoline_kernelINS0_14default_configENS1_27upper_bound_config_selectorIsiEEZNS1_14transform_implILb0ES3_S5_N6thrust23THRUST_200600_302600_NS6detail15normal_iteratorINS8_10device_ptrIsEEEENSA_INSB_IiEEEEZNS1_13binary_searchIS3_S5_SD_SD_SF_NS1_21upper_bound_search_opENS9_16wrapped_functionINS0_4lessIvEEbEEEE10hipError_tPvRmT1_T2_T3_mmT4_T5_P12ihipStream_tbEUlRKsE_EESM_SQ_SR_mSS_SV_bEUlT_E_NS1_11comp_targetILNS1_3genE2ELNS1_11target_archE906ELNS1_3gpuE6ELNS1_3repE0EEENS1_30default_config_static_selectorELNS0_4arch9wavefront6targetE0EEEvSP_
	.globl	_ZN7rocprim17ROCPRIM_400000_NS6detail17trampoline_kernelINS0_14default_configENS1_27upper_bound_config_selectorIsiEEZNS1_14transform_implILb0ES3_S5_N6thrust23THRUST_200600_302600_NS6detail15normal_iteratorINS8_10device_ptrIsEEEENSA_INSB_IiEEEEZNS1_13binary_searchIS3_S5_SD_SD_SF_NS1_21upper_bound_search_opENS9_16wrapped_functionINS0_4lessIvEEbEEEE10hipError_tPvRmT1_T2_T3_mmT4_T5_P12ihipStream_tbEUlRKsE_EESM_SQ_SR_mSS_SV_bEUlT_E_NS1_11comp_targetILNS1_3genE2ELNS1_11target_archE906ELNS1_3gpuE6ELNS1_3repE0EEENS1_30default_config_static_selectorELNS0_4arch9wavefront6targetE0EEEvSP_
	.p2align	8
	.type	_ZN7rocprim17ROCPRIM_400000_NS6detail17trampoline_kernelINS0_14default_configENS1_27upper_bound_config_selectorIsiEEZNS1_14transform_implILb0ES3_S5_N6thrust23THRUST_200600_302600_NS6detail15normal_iteratorINS8_10device_ptrIsEEEENSA_INSB_IiEEEEZNS1_13binary_searchIS3_S5_SD_SD_SF_NS1_21upper_bound_search_opENS9_16wrapped_functionINS0_4lessIvEEbEEEE10hipError_tPvRmT1_T2_T3_mmT4_T5_P12ihipStream_tbEUlRKsE_EESM_SQ_SR_mSS_SV_bEUlT_E_NS1_11comp_targetILNS1_3genE2ELNS1_11target_archE906ELNS1_3gpuE6ELNS1_3repE0EEENS1_30default_config_static_selectorELNS0_4arch9wavefront6targetE0EEEvSP_,@function
_ZN7rocprim17ROCPRIM_400000_NS6detail17trampoline_kernelINS0_14default_configENS1_27upper_bound_config_selectorIsiEEZNS1_14transform_implILb0ES3_S5_N6thrust23THRUST_200600_302600_NS6detail15normal_iteratorINS8_10device_ptrIsEEEENSA_INSB_IiEEEEZNS1_13binary_searchIS3_S5_SD_SD_SF_NS1_21upper_bound_search_opENS9_16wrapped_functionINS0_4lessIvEEbEEEE10hipError_tPvRmT1_T2_T3_mmT4_T5_P12ihipStream_tbEUlRKsE_EESM_SQ_SR_mSS_SV_bEUlT_E_NS1_11comp_targetILNS1_3genE2ELNS1_11target_archE906ELNS1_3gpuE6ELNS1_3repE0EEENS1_30default_config_static_selectorELNS0_4arch9wavefront6targetE0EEEvSP_: ; @_ZN7rocprim17ROCPRIM_400000_NS6detail17trampoline_kernelINS0_14default_configENS1_27upper_bound_config_selectorIsiEEZNS1_14transform_implILb0ES3_S5_N6thrust23THRUST_200600_302600_NS6detail15normal_iteratorINS8_10device_ptrIsEEEENSA_INSB_IiEEEEZNS1_13binary_searchIS3_S5_SD_SD_SF_NS1_21upper_bound_search_opENS9_16wrapped_functionINS0_4lessIvEEbEEEE10hipError_tPvRmT1_T2_T3_mmT4_T5_P12ihipStream_tbEUlRKsE_EESM_SQ_SR_mSS_SV_bEUlT_E_NS1_11comp_targetILNS1_3genE2ELNS1_11target_archE906ELNS1_3gpuE6ELNS1_3repE0EEENS1_30default_config_static_selectorELNS0_4arch9wavefront6targetE0EEEvSP_
; %bb.0:
	.section	.rodata,"a",@progbits
	.p2align	6, 0x0
	.amdhsa_kernel _ZN7rocprim17ROCPRIM_400000_NS6detail17trampoline_kernelINS0_14default_configENS1_27upper_bound_config_selectorIsiEEZNS1_14transform_implILb0ES3_S5_N6thrust23THRUST_200600_302600_NS6detail15normal_iteratorINS8_10device_ptrIsEEEENSA_INSB_IiEEEEZNS1_13binary_searchIS3_S5_SD_SD_SF_NS1_21upper_bound_search_opENS9_16wrapped_functionINS0_4lessIvEEbEEEE10hipError_tPvRmT1_T2_T3_mmT4_T5_P12ihipStream_tbEUlRKsE_EESM_SQ_SR_mSS_SV_bEUlT_E_NS1_11comp_targetILNS1_3genE2ELNS1_11target_archE906ELNS1_3gpuE6ELNS1_3repE0EEENS1_30default_config_static_selectorELNS0_4arch9wavefront6targetE0EEEvSP_
		.amdhsa_group_segment_fixed_size 0
		.amdhsa_private_segment_fixed_size 0
		.amdhsa_kernarg_size 56
		.amdhsa_user_sgpr_count 15
		.amdhsa_user_sgpr_dispatch_ptr 0
		.amdhsa_user_sgpr_queue_ptr 0
		.amdhsa_user_sgpr_kernarg_segment_ptr 1
		.amdhsa_user_sgpr_dispatch_id 0
		.amdhsa_user_sgpr_private_segment_size 0
		.amdhsa_wavefront_size32 1
		.amdhsa_uses_dynamic_stack 0
		.amdhsa_enable_private_segment 0
		.amdhsa_system_sgpr_workgroup_id_x 1
		.amdhsa_system_sgpr_workgroup_id_y 0
		.amdhsa_system_sgpr_workgroup_id_z 0
		.amdhsa_system_sgpr_workgroup_info 0
		.amdhsa_system_vgpr_workitem_id 0
		.amdhsa_next_free_vgpr 1
		.amdhsa_next_free_sgpr 1
		.amdhsa_reserve_vcc 0
		.amdhsa_float_round_mode_32 0
		.amdhsa_float_round_mode_16_64 0
		.amdhsa_float_denorm_mode_32 3
		.amdhsa_float_denorm_mode_16_64 3
		.amdhsa_dx10_clamp 1
		.amdhsa_ieee_mode 1
		.amdhsa_fp16_overflow 0
		.amdhsa_workgroup_processor_mode 1
		.amdhsa_memory_ordered 1
		.amdhsa_forward_progress 0
		.amdhsa_shared_vgpr_count 0
		.amdhsa_exception_fp_ieee_invalid_op 0
		.amdhsa_exception_fp_denorm_src 0
		.amdhsa_exception_fp_ieee_div_zero 0
		.amdhsa_exception_fp_ieee_overflow 0
		.amdhsa_exception_fp_ieee_underflow 0
		.amdhsa_exception_fp_ieee_inexact 0
		.amdhsa_exception_int_div_zero 0
	.end_amdhsa_kernel
	.section	.text._ZN7rocprim17ROCPRIM_400000_NS6detail17trampoline_kernelINS0_14default_configENS1_27upper_bound_config_selectorIsiEEZNS1_14transform_implILb0ES3_S5_N6thrust23THRUST_200600_302600_NS6detail15normal_iteratorINS8_10device_ptrIsEEEENSA_INSB_IiEEEEZNS1_13binary_searchIS3_S5_SD_SD_SF_NS1_21upper_bound_search_opENS9_16wrapped_functionINS0_4lessIvEEbEEEE10hipError_tPvRmT1_T2_T3_mmT4_T5_P12ihipStream_tbEUlRKsE_EESM_SQ_SR_mSS_SV_bEUlT_E_NS1_11comp_targetILNS1_3genE2ELNS1_11target_archE906ELNS1_3gpuE6ELNS1_3repE0EEENS1_30default_config_static_selectorELNS0_4arch9wavefront6targetE0EEEvSP_,"axG",@progbits,_ZN7rocprim17ROCPRIM_400000_NS6detail17trampoline_kernelINS0_14default_configENS1_27upper_bound_config_selectorIsiEEZNS1_14transform_implILb0ES3_S5_N6thrust23THRUST_200600_302600_NS6detail15normal_iteratorINS8_10device_ptrIsEEEENSA_INSB_IiEEEEZNS1_13binary_searchIS3_S5_SD_SD_SF_NS1_21upper_bound_search_opENS9_16wrapped_functionINS0_4lessIvEEbEEEE10hipError_tPvRmT1_T2_T3_mmT4_T5_P12ihipStream_tbEUlRKsE_EESM_SQ_SR_mSS_SV_bEUlT_E_NS1_11comp_targetILNS1_3genE2ELNS1_11target_archE906ELNS1_3gpuE6ELNS1_3repE0EEENS1_30default_config_static_selectorELNS0_4arch9wavefront6targetE0EEEvSP_,comdat
.Lfunc_end397:
	.size	_ZN7rocprim17ROCPRIM_400000_NS6detail17trampoline_kernelINS0_14default_configENS1_27upper_bound_config_selectorIsiEEZNS1_14transform_implILb0ES3_S5_N6thrust23THRUST_200600_302600_NS6detail15normal_iteratorINS8_10device_ptrIsEEEENSA_INSB_IiEEEEZNS1_13binary_searchIS3_S5_SD_SD_SF_NS1_21upper_bound_search_opENS9_16wrapped_functionINS0_4lessIvEEbEEEE10hipError_tPvRmT1_T2_T3_mmT4_T5_P12ihipStream_tbEUlRKsE_EESM_SQ_SR_mSS_SV_bEUlT_E_NS1_11comp_targetILNS1_3genE2ELNS1_11target_archE906ELNS1_3gpuE6ELNS1_3repE0EEENS1_30default_config_static_selectorELNS0_4arch9wavefront6targetE0EEEvSP_, .Lfunc_end397-_ZN7rocprim17ROCPRIM_400000_NS6detail17trampoline_kernelINS0_14default_configENS1_27upper_bound_config_selectorIsiEEZNS1_14transform_implILb0ES3_S5_N6thrust23THRUST_200600_302600_NS6detail15normal_iteratorINS8_10device_ptrIsEEEENSA_INSB_IiEEEEZNS1_13binary_searchIS3_S5_SD_SD_SF_NS1_21upper_bound_search_opENS9_16wrapped_functionINS0_4lessIvEEbEEEE10hipError_tPvRmT1_T2_T3_mmT4_T5_P12ihipStream_tbEUlRKsE_EESM_SQ_SR_mSS_SV_bEUlT_E_NS1_11comp_targetILNS1_3genE2ELNS1_11target_archE906ELNS1_3gpuE6ELNS1_3repE0EEENS1_30default_config_static_selectorELNS0_4arch9wavefront6targetE0EEEvSP_
                                        ; -- End function
	.section	.AMDGPU.csdata,"",@progbits
; Kernel info:
; codeLenInByte = 0
; NumSgprs: 0
; NumVgprs: 0
; ScratchSize: 0
; MemoryBound: 0
; FloatMode: 240
; IeeeMode: 1
; LDSByteSize: 0 bytes/workgroup (compile time only)
; SGPRBlocks: 0
; VGPRBlocks: 0
; NumSGPRsForWavesPerEU: 1
; NumVGPRsForWavesPerEU: 1
; Occupancy: 16
; WaveLimiterHint : 0
; COMPUTE_PGM_RSRC2:SCRATCH_EN: 0
; COMPUTE_PGM_RSRC2:USER_SGPR: 15
; COMPUTE_PGM_RSRC2:TRAP_HANDLER: 0
; COMPUTE_PGM_RSRC2:TGID_X_EN: 1
; COMPUTE_PGM_RSRC2:TGID_Y_EN: 0
; COMPUTE_PGM_RSRC2:TGID_Z_EN: 0
; COMPUTE_PGM_RSRC2:TIDIG_COMP_CNT: 0
	.section	.text._ZN7rocprim17ROCPRIM_400000_NS6detail17trampoline_kernelINS0_14default_configENS1_27upper_bound_config_selectorIsiEEZNS1_14transform_implILb0ES3_S5_N6thrust23THRUST_200600_302600_NS6detail15normal_iteratorINS8_10device_ptrIsEEEENSA_INSB_IiEEEEZNS1_13binary_searchIS3_S5_SD_SD_SF_NS1_21upper_bound_search_opENS9_16wrapped_functionINS0_4lessIvEEbEEEE10hipError_tPvRmT1_T2_T3_mmT4_T5_P12ihipStream_tbEUlRKsE_EESM_SQ_SR_mSS_SV_bEUlT_E_NS1_11comp_targetILNS1_3genE10ELNS1_11target_archE1201ELNS1_3gpuE5ELNS1_3repE0EEENS1_30default_config_static_selectorELNS0_4arch9wavefront6targetE0EEEvSP_,"axG",@progbits,_ZN7rocprim17ROCPRIM_400000_NS6detail17trampoline_kernelINS0_14default_configENS1_27upper_bound_config_selectorIsiEEZNS1_14transform_implILb0ES3_S5_N6thrust23THRUST_200600_302600_NS6detail15normal_iteratorINS8_10device_ptrIsEEEENSA_INSB_IiEEEEZNS1_13binary_searchIS3_S5_SD_SD_SF_NS1_21upper_bound_search_opENS9_16wrapped_functionINS0_4lessIvEEbEEEE10hipError_tPvRmT1_T2_T3_mmT4_T5_P12ihipStream_tbEUlRKsE_EESM_SQ_SR_mSS_SV_bEUlT_E_NS1_11comp_targetILNS1_3genE10ELNS1_11target_archE1201ELNS1_3gpuE5ELNS1_3repE0EEENS1_30default_config_static_selectorELNS0_4arch9wavefront6targetE0EEEvSP_,comdat
	.protected	_ZN7rocprim17ROCPRIM_400000_NS6detail17trampoline_kernelINS0_14default_configENS1_27upper_bound_config_selectorIsiEEZNS1_14transform_implILb0ES3_S5_N6thrust23THRUST_200600_302600_NS6detail15normal_iteratorINS8_10device_ptrIsEEEENSA_INSB_IiEEEEZNS1_13binary_searchIS3_S5_SD_SD_SF_NS1_21upper_bound_search_opENS9_16wrapped_functionINS0_4lessIvEEbEEEE10hipError_tPvRmT1_T2_T3_mmT4_T5_P12ihipStream_tbEUlRKsE_EESM_SQ_SR_mSS_SV_bEUlT_E_NS1_11comp_targetILNS1_3genE10ELNS1_11target_archE1201ELNS1_3gpuE5ELNS1_3repE0EEENS1_30default_config_static_selectorELNS0_4arch9wavefront6targetE0EEEvSP_ ; -- Begin function _ZN7rocprim17ROCPRIM_400000_NS6detail17trampoline_kernelINS0_14default_configENS1_27upper_bound_config_selectorIsiEEZNS1_14transform_implILb0ES3_S5_N6thrust23THRUST_200600_302600_NS6detail15normal_iteratorINS8_10device_ptrIsEEEENSA_INSB_IiEEEEZNS1_13binary_searchIS3_S5_SD_SD_SF_NS1_21upper_bound_search_opENS9_16wrapped_functionINS0_4lessIvEEbEEEE10hipError_tPvRmT1_T2_T3_mmT4_T5_P12ihipStream_tbEUlRKsE_EESM_SQ_SR_mSS_SV_bEUlT_E_NS1_11comp_targetILNS1_3genE10ELNS1_11target_archE1201ELNS1_3gpuE5ELNS1_3repE0EEENS1_30default_config_static_selectorELNS0_4arch9wavefront6targetE0EEEvSP_
	.globl	_ZN7rocprim17ROCPRIM_400000_NS6detail17trampoline_kernelINS0_14default_configENS1_27upper_bound_config_selectorIsiEEZNS1_14transform_implILb0ES3_S5_N6thrust23THRUST_200600_302600_NS6detail15normal_iteratorINS8_10device_ptrIsEEEENSA_INSB_IiEEEEZNS1_13binary_searchIS3_S5_SD_SD_SF_NS1_21upper_bound_search_opENS9_16wrapped_functionINS0_4lessIvEEbEEEE10hipError_tPvRmT1_T2_T3_mmT4_T5_P12ihipStream_tbEUlRKsE_EESM_SQ_SR_mSS_SV_bEUlT_E_NS1_11comp_targetILNS1_3genE10ELNS1_11target_archE1201ELNS1_3gpuE5ELNS1_3repE0EEENS1_30default_config_static_selectorELNS0_4arch9wavefront6targetE0EEEvSP_
	.p2align	8
	.type	_ZN7rocprim17ROCPRIM_400000_NS6detail17trampoline_kernelINS0_14default_configENS1_27upper_bound_config_selectorIsiEEZNS1_14transform_implILb0ES3_S5_N6thrust23THRUST_200600_302600_NS6detail15normal_iteratorINS8_10device_ptrIsEEEENSA_INSB_IiEEEEZNS1_13binary_searchIS3_S5_SD_SD_SF_NS1_21upper_bound_search_opENS9_16wrapped_functionINS0_4lessIvEEbEEEE10hipError_tPvRmT1_T2_T3_mmT4_T5_P12ihipStream_tbEUlRKsE_EESM_SQ_SR_mSS_SV_bEUlT_E_NS1_11comp_targetILNS1_3genE10ELNS1_11target_archE1201ELNS1_3gpuE5ELNS1_3repE0EEENS1_30default_config_static_selectorELNS0_4arch9wavefront6targetE0EEEvSP_,@function
_ZN7rocprim17ROCPRIM_400000_NS6detail17trampoline_kernelINS0_14default_configENS1_27upper_bound_config_selectorIsiEEZNS1_14transform_implILb0ES3_S5_N6thrust23THRUST_200600_302600_NS6detail15normal_iteratorINS8_10device_ptrIsEEEENSA_INSB_IiEEEEZNS1_13binary_searchIS3_S5_SD_SD_SF_NS1_21upper_bound_search_opENS9_16wrapped_functionINS0_4lessIvEEbEEEE10hipError_tPvRmT1_T2_T3_mmT4_T5_P12ihipStream_tbEUlRKsE_EESM_SQ_SR_mSS_SV_bEUlT_E_NS1_11comp_targetILNS1_3genE10ELNS1_11target_archE1201ELNS1_3gpuE5ELNS1_3repE0EEENS1_30default_config_static_selectorELNS0_4arch9wavefront6targetE0EEEvSP_: ; @_ZN7rocprim17ROCPRIM_400000_NS6detail17trampoline_kernelINS0_14default_configENS1_27upper_bound_config_selectorIsiEEZNS1_14transform_implILb0ES3_S5_N6thrust23THRUST_200600_302600_NS6detail15normal_iteratorINS8_10device_ptrIsEEEENSA_INSB_IiEEEEZNS1_13binary_searchIS3_S5_SD_SD_SF_NS1_21upper_bound_search_opENS9_16wrapped_functionINS0_4lessIvEEbEEEE10hipError_tPvRmT1_T2_T3_mmT4_T5_P12ihipStream_tbEUlRKsE_EESM_SQ_SR_mSS_SV_bEUlT_E_NS1_11comp_targetILNS1_3genE10ELNS1_11target_archE1201ELNS1_3gpuE5ELNS1_3repE0EEENS1_30default_config_static_selectorELNS0_4arch9wavefront6targetE0EEEvSP_
; %bb.0:
	.section	.rodata,"a",@progbits
	.p2align	6, 0x0
	.amdhsa_kernel _ZN7rocprim17ROCPRIM_400000_NS6detail17trampoline_kernelINS0_14default_configENS1_27upper_bound_config_selectorIsiEEZNS1_14transform_implILb0ES3_S5_N6thrust23THRUST_200600_302600_NS6detail15normal_iteratorINS8_10device_ptrIsEEEENSA_INSB_IiEEEEZNS1_13binary_searchIS3_S5_SD_SD_SF_NS1_21upper_bound_search_opENS9_16wrapped_functionINS0_4lessIvEEbEEEE10hipError_tPvRmT1_T2_T3_mmT4_T5_P12ihipStream_tbEUlRKsE_EESM_SQ_SR_mSS_SV_bEUlT_E_NS1_11comp_targetILNS1_3genE10ELNS1_11target_archE1201ELNS1_3gpuE5ELNS1_3repE0EEENS1_30default_config_static_selectorELNS0_4arch9wavefront6targetE0EEEvSP_
		.amdhsa_group_segment_fixed_size 0
		.amdhsa_private_segment_fixed_size 0
		.amdhsa_kernarg_size 56
		.amdhsa_user_sgpr_count 15
		.amdhsa_user_sgpr_dispatch_ptr 0
		.amdhsa_user_sgpr_queue_ptr 0
		.amdhsa_user_sgpr_kernarg_segment_ptr 1
		.amdhsa_user_sgpr_dispatch_id 0
		.amdhsa_user_sgpr_private_segment_size 0
		.amdhsa_wavefront_size32 1
		.amdhsa_uses_dynamic_stack 0
		.amdhsa_enable_private_segment 0
		.amdhsa_system_sgpr_workgroup_id_x 1
		.amdhsa_system_sgpr_workgroup_id_y 0
		.amdhsa_system_sgpr_workgroup_id_z 0
		.amdhsa_system_sgpr_workgroup_info 0
		.amdhsa_system_vgpr_workitem_id 0
		.amdhsa_next_free_vgpr 1
		.amdhsa_next_free_sgpr 1
		.amdhsa_reserve_vcc 0
		.amdhsa_float_round_mode_32 0
		.amdhsa_float_round_mode_16_64 0
		.amdhsa_float_denorm_mode_32 3
		.amdhsa_float_denorm_mode_16_64 3
		.amdhsa_dx10_clamp 1
		.amdhsa_ieee_mode 1
		.amdhsa_fp16_overflow 0
		.amdhsa_workgroup_processor_mode 1
		.amdhsa_memory_ordered 1
		.amdhsa_forward_progress 0
		.amdhsa_shared_vgpr_count 0
		.amdhsa_exception_fp_ieee_invalid_op 0
		.amdhsa_exception_fp_denorm_src 0
		.amdhsa_exception_fp_ieee_div_zero 0
		.amdhsa_exception_fp_ieee_overflow 0
		.amdhsa_exception_fp_ieee_underflow 0
		.amdhsa_exception_fp_ieee_inexact 0
		.amdhsa_exception_int_div_zero 0
	.end_amdhsa_kernel
	.section	.text._ZN7rocprim17ROCPRIM_400000_NS6detail17trampoline_kernelINS0_14default_configENS1_27upper_bound_config_selectorIsiEEZNS1_14transform_implILb0ES3_S5_N6thrust23THRUST_200600_302600_NS6detail15normal_iteratorINS8_10device_ptrIsEEEENSA_INSB_IiEEEEZNS1_13binary_searchIS3_S5_SD_SD_SF_NS1_21upper_bound_search_opENS9_16wrapped_functionINS0_4lessIvEEbEEEE10hipError_tPvRmT1_T2_T3_mmT4_T5_P12ihipStream_tbEUlRKsE_EESM_SQ_SR_mSS_SV_bEUlT_E_NS1_11comp_targetILNS1_3genE10ELNS1_11target_archE1201ELNS1_3gpuE5ELNS1_3repE0EEENS1_30default_config_static_selectorELNS0_4arch9wavefront6targetE0EEEvSP_,"axG",@progbits,_ZN7rocprim17ROCPRIM_400000_NS6detail17trampoline_kernelINS0_14default_configENS1_27upper_bound_config_selectorIsiEEZNS1_14transform_implILb0ES3_S5_N6thrust23THRUST_200600_302600_NS6detail15normal_iteratorINS8_10device_ptrIsEEEENSA_INSB_IiEEEEZNS1_13binary_searchIS3_S5_SD_SD_SF_NS1_21upper_bound_search_opENS9_16wrapped_functionINS0_4lessIvEEbEEEE10hipError_tPvRmT1_T2_T3_mmT4_T5_P12ihipStream_tbEUlRKsE_EESM_SQ_SR_mSS_SV_bEUlT_E_NS1_11comp_targetILNS1_3genE10ELNS1_11target_archE1201ELNS1_3gpuE5ELNS1_3repE0EEENS1_30default_config_static_selectorELNS0_4arch9wavefront6targetE0EEEvSP_,comdat
.Lfunc_end398:
	.size	_ZN7rocprim17ROCPRIM_400000_NS6detail17trampoline_kernelINS0_14default_configENS1_27upper_bound_config_selectorIsiEEZNS1_14transform_implILb0ES3_S5_N6thrust23THRUST_200600_302600_NS6detail15normal_iteratorINS8_10device_ptrIsEEEENSA_INSB_IiEEEEZNS1_13binary_searchIS3_S5_SD_SD_SF_NS1_21upper_bound_search_opENS9_16wrapped_functionINS0_4lessIvEEbEEEE10hipError_tPvRmT1_T2_T3_mmT4_T5_P12ihipStream_tbEUlRKsE_EESM_SQ_SR_mSS_SV_bEUlT_E_NS1_11comp_targetILNS1_3genE10ELNS1_11target_archE1201ELNS1_3gpuE5ELNS1_3repE0EEENS1_30default_config_static_selectorELNS0_4arch9wavefront6targetE0EEEvSP_, .Lfunc_end398-_ZN7rocprim17ROCPRIM_400000_NS6detail17trampoline_kernelINS0_14default_configENS1_27upper_bound_config_selectorIsiEEZNS1_14transform_implILb0ES3_S5_N6thrust23THRUST_200600_302600_NS6detail15normal_iteratorINS8_10device_ptrIsEEEENSA_INSB_IiEEEEZNS1_13binary_searchIS3_S5_SD_SD_SF_NS1_21upper_bound_search_opENS9_16wrapped_functionINS0_4lessIvEEbEEEE10hipError_tPvRmT1_T2_T3_mmT4_T5_P12ihipStream_tbEUlRKsE_EESM_SQ_SR_mSS_SV_bEUlT_E_NS1_11comp_targetILNS1_3genE10ELNS1_11target_archE1201ELNS1_3gpuE5ELNS1_3repE0EEENS1_30default_config_static_selectorELNS0_4arch9wavefront6targetE0EEEvSP_
                                        ; -- End function
	.section	.AMDGPU.csdata,"",@progbits
; Kernel info:
; codeLenInByte = 0
; NumSgprs: 0
; NumVgprs: 0
; ScratchSize: 0
; MemoryBound: 0
; FloatMode: 240
; IeeeMode: 1
; LDSByteSize: 0 bytes/workgroup (compile time only)
; SGPRBlocks: 0
; VGPRBlocks: 0
; NumSGPRsForWavesPerEU: 1
; NumVGPRsForWavesPerEU: 1
; Occupancy: 16
; WaveLimiterHint : 0
; COMPUTE_PGM_RSRC2:SCRATCH_EN: 0
; COMPUTE_PGM_RSRC2:USER_SGPR: 15
; COMPUTE_PGM_RSRC2:TRAP_HANDLER: 0
; COMPUTE_PGM_RSRC2:TGID_X_EN: 1
; COMPUTE_PGM_RSRC2:TGID_Y_EN: 0
; COMPUTE_PGM_RSRC2:TGID_Z_EN: 0
; COMPUTE_PGM_RSRC2:TIDIG_COMP_CNT: 0
	.section	.text._ZN7rocprim17ROCPRIM_400000_NS6detail17trampoline_kernelINS0_14default_configENS1_27upper_bound_config_selectorIsiEEZNS1_14transform_implILb0ES3_S5_N6thrust23THRUST_200600_302600_NS6detail15normal_iteratorINS8_10device_ptrIsEEEENSA_INSB_IiEEEEZNS1_13binary_searchIS3_S5_SD_SD_SF_NS1_21upper_bound_search_opENS9_16wrapped_functionINS0_4lessIvEEbEEEE10hipError_tPvRmT1_T2_T3_mmT4_T5_P12ihipStream_tbEUlRKsE_EESM_SQ_SR_mSS_SV_bEUlT_E_NS1_11comp_targetILNS1_3genE10ELNS1_11target_archE1200ELNS1_3gpuE4ELNS1_3repE0EEENS1_30default_config_static_selectorELNS0_4arch9wavefront6targetE0EEEvSP_,"axG",@progbits,_ZN7rocprim17ROCPRIM_400000_NS6detail17trampoline_kernelINS0_14default_configENS1_27upper_bound_config_selectorIsiEEZNS1_14transform_implILb0ES3_S5_N6thrust23THRUST_200600_302600_NS6detail15normal_iteratorINS8_10device_ptrIsEEEENSA_INSB_IiEEEEZNS1_13binary_searchIS3_S5_SD_SD_SF_NS1_21upper_bound_search_opENS9_16wrapped_functionINS0_4lessIvEEbEEEE10hipError_tPvRmT1_T2_T3_mmT4_T5_P12ihipStream_tbEUlRKsE_EESM_SQ_SR_mSS_SV_bEUlT_E_NS1_11comp_targetILNS1_3genE10ELNS1_11target_archE1200ELNS1_3gpuE4ELNS1_3repE0EEENS1_30default_config_static_selectorELNS0_4arch9wavefront6targetE0EEEvSP_,comdat
	.protected	_ZN7rocprim17ROCPRIM_400000_NS6detail17trampoline_kernelINS0_14default_configENS1_27upper_bound_config_selectorIsiEEZNS1_14transform_implILb0ES3_S5_N6thrust23THRUST_200600_302600_NS6detail15normal_iteratorINS8_10device_ptrIsEEEENSA_INSB_IiEEEEZNS1_13binary_searchIS3_S5_SD_SD_SF_NS1_21upper_bound_search_opENS9_16wrapped_functionINS0_4lessIvEEbEEEE10hipError_tPvRmT1_T2_T3_mmT4_T5_P12ihipStream_tbEUlRKsE_EESM_SQ_SR_mSS_SV_bEUlT_E_NS1_11comp_targetILNS1_3genE10ELNS1_11target_archE1200ELNS1_3gpuE4ELNS1_3repE0EEENS1_30default_config_static_selectorELNS0_4arch9wavefront6targetE0EEEvSP_ ; -- Begin function _ZN7rocprim17ROCPRIM_400000_NS6detail17trampoline_kernelINS0_14default_configENS1_27upper_bound_config_selectorIsiEEZNS1_14transform_implILb0ES3_S5_N6thrust23THRUST_200600_302600_NS6detail15normal_iteratorINS8_10device_ptrIsEEEENSA_INSB_IiEEEEZNS1_13binary_searchIS3_S5_SD_SD_SF_NS1_21upper_bound_search_opENS9_16wrapped_functionINS0_4lessIvEEbEEEE10hipError_tPvRmT1_T2_T3_mmT4_T5_P12ihipStream_tbEUlRKsE_EESM_SQ_SR_mSS_SV_bEUlT_E_NS1_11comp_targetILNS1_3genE10ELNS1_11target_archE1200ELNS1_3gpuE4ELNS1_3repE0EEENS1_30default_config_static_selectorELNS0_4arch9wavefront6targetE0EEEvSP_
	.globl	_ZN7rocprim17ROCPRIM_400000_NS6detail17trampoline_kernelINS0_14default_configENS1_27upper_bound_config_selectorIsiEEZNS1_14transform_implILb0ES3_S5_N6thrust23THRUST_200600_302600_NS6detail15normal_iteratorINS8_10device_ptrIsEEEENSA_INSB_IiEEEEZNS1_13binary_searchIS3_S5_SD_SD_SF_NS1_21upper_bound_search_opENS9_16wrapped_functionINS0_4lessIvEEbEEEE10hipError_tPvRmT1_T2_T3_mmT4_T5_P12ihipStream_tbEUlRKsE_EESM_SQ_SR_mSS_SV_bEUlT_E_NS1_11comp_targetILNS1_3genE10ELNS1_11target_archE1200ELNS1_3gpuE4ELNS1_3repE0EEENS1_30default_config_static_selectorELNS0_4arch9wavefront6targetE0EEEvSP_
	.p2align	8
	.type	_ZN7rocprim17ROCPRIM_400000_NS6detail17trampoline_kernelINS0_14default_configENS1_27upper_bound_config_selectorIsiEEZNS1_14transform_implILb0ES3_S5_N6thrust23THRUST_200600_302600_NS6detail15normal_iteratorINS8_10device_ptrIsEEEENSA_INSB_IiEEEEZNS1_13binary_searchIS3_S5_SD_SD_SF_NS1_21upper_bound_search_opENS9_16wrapped_functionINS0_4lessIvEEbEEEE10hipError_tPvRmT1_T2_T3_mmT4_T5_P12ihipStream_tbEUlRKsE_EESM_SQ_SR_mSS_SV_bEUlT_E_NS1_11comp_targetILNS1_3genE10ELNS1_11target_archE1200ELNS1_3gpuE4ELNS1_3repE0EEENS1_30default_config_static_selectorELNS0_4arch9wavefront6targetE0EEEvSP_,@function
_ZN7rocprim17ROCPRIM_400000_NS6detail17trampoline_kernelINS0_14default_configENS1_27upper_bound_config_selectorIsiEEZNS1_14transform_implILb0ES3_S5_N6thrust23THRUST_200600_302600_NS6detail15normal_iteratorINS8_10device_ptrIsEEEENSA_INSB_IiEEEEZNS1_13binary_searchIS3_S5_SD_SD_SF_NS1_21upper_bound_search_opENS9_16wrapped_functionINS0_4lessIvEEbEEEE10hipError_tPvRmT1_T2_T3_mmT4_T5_P12ihipStream_tbEUlRKsE_EESM_SQ_SR_mSS_SV_bEUlT_E_NS1_11comp_targetILNS1_3genE10ELNS1_11target_archE1200ELNS1_3gpuE4ELNS1_3repE0EEENS1_30default_config_static_selectorELNS0_4arch9wavefront6targetE0EEEvSP_: ; @_ZN7rocprim17ROCPRIM_400000_NS6detail17trampoline_kernelINS0_14default_configENS1_27upper_bound_config_selectorIsiEEZNS1_14transform_implILb0ES3_S5_N6thrust23THRUST_200600_302600_NS6detail15normal_iteratorINS8_10device_ptrIsEEEENSA_INSB_IiEEEEZNS1_13binary_searchIS3_S5_SD_SD_SF_NS1_21upper_bound_search_opENS9_16wrapped_functionINS0_4lessIvEEbEEEE10hipError_tPvRmT1_T2_T3_mmT4_T5_P12ihipStream_tbEUlRKsE_EESM_SQ_SR_mSS_SV_bEUlT_E_NS1_11comp_targetILNS1_3genE10ELNS1_11target_archE1200ELNS1_3gpuE4ELNS1_3repE0EEENS1_30default_config_static_selectorELNS0_4arch9wavefront6targetE0EEEvSP_
; %bb.0:
	.section	.rodata,"a",@progbits
	.p2align	6, 0x0
	.amdhsa_kernel _ZN7rocprim17ROCPRIM_400000_NS6detail17trampoline_kernelINS0_14default_configENS1_27upper_bound_config_selectorIsiEEZNS1_14transform_implILb0ES3_S5_N6thrust23THRUST_200600_302600_NS6detail15normal_iteratorINS8_10device_ptrIsEEEENSA_INSB_IiEEEEZNS1_13binary_searchIS3_S5_SD_SD_SF_NS1_21upper_bound_search_opENS9_16wrapped_functionINS0_4lessIvEEbEEEE10hipError_tPvRmT1_T2_T3_mmT4_T5_P12ihipStream_tbEUlRKsE_EESM_SQ_SR_mSS_SV_bEUlT_E_NS1_11comp_targetILNS1_3genE10ELNS1_11target_archE1200ELNS1_3gpuE4ELNS1_3repE0EEENS1_30default_config_static_selectorELNS0_4arch9wavefront6targetE0EEEvSP_
		.amdhsa_group_segment_fixed_size 0
		.amdhsa_private_segment_fixed_size 0
		.amdhsa_kernarg_size 56
		.amdhsa_user_sgpr_count 15
		.amdhsa_user_sgpr_dispatch_ptr 0
		.amdhsa_user_sgpr_queue_ptr 0
		.amdhsa_user_sgpr_kernarg_segment_ptr 1
		.amdhsa_user_sgpr_dispatch_id 0
		.amdhsa_user_sgpr_private_segment_size 0
		.amdhsa_wavefront_size32 1
		.amdhsa_uses_dynamic_stack 0
		.amdhsa_enable_private_segment 0
		.amdhsa_system_sgpr_workgroup_id_x 1
		.amdhsa_system_sgpr_workgroup_id_y 0
		.amdhsa_system_sgpr_workgroup_id_z 0
		.amdhsa_system_sgpr_workgroup_info 0
		.amdhsa_system_vgpr_workitem_id 0
		.amdhsa_next_free_vgpr 1
		.amdhsa_next_free_sgpr 1
		.amdhsa_reserve_vcc 0
		.amdhsa_float_round_mode_32 0
		.amdhsa_float_round_mode_16_64 0
		.amdhsa_float_denorm_mode_32 3
		.amdhsa_float_denorm_mode_16_64 3
		.amdhsa_dx10_clamp 1
		.amdhsa_ieee_mode 1
		.amdhsa_fp16_overflow 0
		.amdhsa_workgroup_processor_mode 1
		.amdhsa_memory_ordered 1
		.amdhsa_forward_progress 0
		.amdhsa_shared_vgpr_count 0
		.amdhsa_exception_fp_ieee_invalid_op 0
		.amdhsa_exception_fp_denorm_src 0
		.amdhsa_exception_fp_ieee_div_zero 0
		.amdhsa_exception_fp_ieee_overflow 0
		.amdhsa_exception_fp_ieee_underflow 0
		.amdhsa_exception_fp_ieee_inexact 0
		.amdhsa_exception_int_div_zero 0
	.end_amdhsa_kernel
	.section	.text._ZN7rocprim17ROCPRIM_400000_NS6detail17trampoline_kernelINS0_14default_configENS1_27upper_bound_config_selectorIsiEEZNS1_14transform_implILb0ES3_S5_N6thrust23THRUST_200600_302600_NS6detail15normal_iteratorINS8_10device_ptrIsEEEENSA_INSB_IiEEEEZNS1_13binary_searchIS3_S5_SD_SD_SF_NS1_21upper_bound_search_opENS9_16wrapped_functionINS0_4lessIvEEbEEEE10hipError_tPvRmT1_T2_T3_mmT4_T5_P12ihipStream_tbEUlRKsE_EESM_SQ_SR_mSS_SV_bEUlT_E_NS1_11comp_targetILNS1_3genE10ELNS1_11target_archE1200ELNS1_3gpuE4ELNS1_3repE0EEENS1_30default_config_static_selectorELNS0_4arch9wavefront6targetE0EEEvSP_,"axG",@progbits,_ZN7rocprim17ROCPRIM_400000_NS6detail17trampoline_kernelINS0_14default_configENS1_27upper_bound_config_selectorIsiEEZNS1_14transform_implILb0ES3_S5_N6thrust23THRUST_200600_302600_NS6detail15normal_iteratorINS8_10device_ptrIsEEEENSA_INSB_IiEEEEZNS1_13binary_searchIS3_S5_SD_SD_SF_NS1_21upper_bound_search_opENS9_16wrapped_functionINS0_4lessIvEEbEEEE10hipError_tPvRmT1_T2_T3_mmT4_T5_P12ihipStream_tbEUlRKsE_EESM_SQ_SR_mSS_SV_bEUlT_E_NS1_11comp_targetILNS1_3genE10ELNS1_11target_archE1200ELNS1_3gpuE4ELNS1_3repE0EEENS1_30default_config_static_selectorELNS0_4arch9wavefront6targetE0EEEvSP_,comdat
.Lfunc_end399:
	.size	_ZN7rocprim17ROCPRIM_400000_NS6detail17trampoline_kernelINS0_14default_configENS1_27upper_bound_config_selectorIsiEEZNS1_14transform_implILb0ES3_S5_N6thrust23THRUST_200600_302600_NS6detail15normal_iteratorINS8_10device_ptrIsEEEENSA_INSB_IiEEEEZNS1_13binary_searchIS3_S5_SD_SD_SF_NS1_21upper_bound_search_opENS9_16wrapped_functionINS0_4lessIvEEbEEEE10hipError_tPvRmT1_T2_T3_mmT4_T5_P12ihipStream_tbEUlRKsE_EESM_SQ_SR_mSS_SV_bEUlT_E_NS1_11comp_targetILNS1_3genE10ELNS1_11target_archE1200ELNS1_3gpuE4ELNS1_3repE0EEENS1_30default_config_static_selectorELNS0_4arch9wavefront6targetE0EEEvSP_, .Lfunc_end399-_ZN7rocprim17ROCPRIM_400000_NS6detail17trampoline_kernelINS0_14default_configENS1_27upper_bound_config_selectorIsiEEZNS1_14transform_implILb0ES3_S5_N6thrust23THRUST_200600_302600_NS6detail15normal_iteratorINS8_10device_ptrIsEEEENSA_INSB_IiEEEEZNS1_13binary_searchIS3_S5_SD_SD_SF_NS1_21upper_bound_search_opENS9_16wrapped_functionINS0_4lessIvEEbEEEE10hipError_tPvRmT1_T2_T3_mmT4_T5_P12ihipStream_tbEUlRKsE_EESM_SQ_SR_mSS_SV_bEUlT_E_NS1_11comp_targetILNS1_3genE10ELNS1_11target_archE1200ELNS1_3gpuE4ELNS1_3repE0EEENS1_30default_config_static_selectorELNS0_4arch9wavefront6targetE0EEEvSP_
                                        ; -- End function
	.section	.AMDGPU.csdata,"",@progbits
; Kernel info:
; codeLenInByte = 0
; NumSgprs: 0
; NumVgprs: 0
; ScratchSize: 0
; MemoryBound: 0
; FloatMode: 240
; IeeeMode: 1
; LDSByteSize: 0 bytes/workgroup (compile time only)
; SGPRBlocks: 0
; VGPRBlocks: 0
; NumSGPRsForWavesPerEU: 1
; NumVGPRsForWavesPerEU: 1
; Occupancy: 16
; WaveLimiterHint : 0
; COMPUTE_PGM_RSRC2:SCRATCH_EN: 0
; COMPUTE_PGM_RSRC2:USER_SGPR: 15
; COMPUTE_PGM_RSRC2:TRAP_HANDLER: 0
; COMPUTE_PGM_RSRC2:TGID_X_EN: 1
; COMPUTE_PGM_RSRC2:TGID_Y_EN: 0
; COMPUTE_PGM_RSRC2:TGID_Z_EN: 0
; COMPUTE_PGM_RSRC2:TIDIG_COMP_CNT: 0
	.section	.text._ZN7rocprim17ROCPRIM_400000_NS6detail17trampoline_kernelINS0_14default_configENS1_27upper_bound_config_selectorIsiEEZNS1_14transform_implILb0ES3_S5_N6thrust23THRUST_200600_302600_NS6detail15normal_iteratorINS8_10device_ptrIsEEEENSA_INSB_IiEEEEZNS1_13binary_searchIS3_S5_SD_SD_SF_NS1_21upper_bound_search_opENS9_16wrapped_functionINS0_4lessIvEEbEEEE10hipError_tPvRmT1_T2_T3_mmT4_T5_P12ihipStream_tbEUlRKsE_EESM_SQ_SR_mSS_SV_bEUlT_E_NS1_11comp_targetILNS1_3genE9ELNS1_11target_archE1100ELNS1_3gpuE3ELNS1_3repE0EEENS1_30default_config_static_selectorELNS0_4arch9wavefront6targetE0EEEvSP_,"axG",@progbits,_ZN7rocprim17ROCPRIM_400000_NS6detail17trampoline_kernelINS0_14default_configENS1_27upper_bound_config_selectorIsiEEZNS1_14transform_implILb0ES3_S5_N6thrust23THRUST_200600_302600_NS6detail15normal_iteratorINS8_10device_ptrIsEEEENSA_INSB_IiEEEEZNS1_13binary_searchIS3_S5_SD_SD_SF_NS1_21upper_bound_search_opENS9_16wrapped_functionINS0_4lessIvEEbEEEE10hipError_tPvRmT1_T2_T3_mmT4_T5_P12ihipStream_tbEUlRKsE_EESM_SQ_SR_mSS_SV_bEUlT_E_NS1_11comp_targetILNS1_3genE9ELNS1_11target_archE1100ELNS1_3gpuE3ELNS1_3repE0EEENS1_30default_config_static_selectorELNS0_4arch9wavefront6targetE0EEEvSP_,comdat
	.protected	_ZN7rocprim17ROCPRIM_400000_NS6detail17trampoline_kernelINS0_14default_configENS1_27upper_bound_config_selectorIsiEEZNS1_14transform_implILb0ES3_S5_N6thrust23THRUST_200600_302600_NS6detail15normal_iteratorINS8_10device_ptrIsEEEENSA_INSB_IiEEEEZNS1_13binary_searchIS3_S5_SD_SD_SF_NS1_21upper_bound_search_opENS9_16wrapped_functionINS0_4lessIvEEbEEEE10hipError_tPvRmT1_T2_T3_mmT4_T5_P12ihipStream_tbEUlRKsE_EESM_SQ_SR_mSS_SV_bEUlT_E_NS1_11comp_targetILNS1_3genE9ELNS1_11target_archE1100ELNS1_3gpuE3ELNS1_3repE0EEENS1_30default_config_static_selectorELNS0_4arch9wavefront6targetE0EEEvSP_ ; -- Begin function _ZN7rocprim17ROCPRIM_400000_NS6detail17trampoline_kernelINS0_14default_configENS1_27upper_bound_config_selectorIsiEEZNS1_14transform_implILb0ES3_S5_N6thrust23THRUST_200600_302600_NS6detail15normal_iteratorINS8_10device_ptrIsEEEENSA_INSB_IiEEEEZNS1_13binary_searchIS3_S5_SD_SD_SF_NS1_21upper_bound_search_opENS9_16wrapped_functionINS0_4lessIvEEbEEEE10hipError_tPvRmT1_T2_T3_mmT4_T5_P12ihipStream_tbEUlRKsE_EESM_SQ_SR_mSS_SV_bEUlT_E_NS1_11comp_targetILNS1_3genE9ELNS1_11target_archE1100ELNS1_3gpuE3ELNS1_3repE0EEENS1_30default_config_static_selectorELNS0_4arch9wavefront6targetE0EEEvSP_
	.globl	_ZN7rocprim17ROCPRIM_400000_NS6detail17trampoline_kernelINS0_14default_configENS1_27upper_bound_config_selectorIsiEEZNS1_14transform_implILb0ES3_S5_N6thrust23THRUST_200600_302600_NS6detail15normal_iteratorINS8_10device_ptrIsEEEENSA_INSB_IiEEEEZNS1_13binary_searchIS3_S5_SD_SD_SF_NS1_21upper_bound_search_opENS9_16wrapped_functionINS0_4lessIvEEbEEEE10hipError_tPvRmT1_T2_T3_mmT4_T5_P12ihipStream_tbEUlRKsE_EESM_SQ_SR_mSS_SV_bEUlT_E_NS1_11comp_targetILNS1_3genE9ELNS1_11target_archE1100ELNS1_3gpuE3ELNS1_3repE0EEENS1_30default_config_static_selectorELNS0_4arch9wavefront6targetE0EEEvSP_
	.p2align	8
	.type	_ZN7rocprim17ROCPRIM_400000_NS6detail17trampoline_kernelINS0_14default_configENS1_27upper_bound_config_selectorIsiEEZNS1_14transform_implILb0ES3_S5_N6thrust23THRUST_200600_302600_NS6detail15normal_iteratorINS8_10device_ptrIsEEEENSA_INSB_IiEEEEZNS1_13binary_searchIS3_S5_SD_SD_SF_NS1_21upper_bound_search_opENS9_16wrapped_functionINS0_4lessIvEEbEEEE10hipError_tPvRmT1_T2_T3_mmT4_T5_P12ihipStream_tbEUlRKsE_EESM_SQ_SR_mSS_SV_bEUlT_E_NS1_11comp_targetILNS1_3genE9ELNS1_11target_archE1100ELNS1_3gpuE3ELNS1_3repE0EEENS1_30default_config_static_selectorELNS0_4arch9wavefront6targetE0EEEvSP_,@function
_ZN7rocprim17ROCPRIM_400000_NS6detail17trampoline_kernelINS0_14default_configENS1_27upper_bound_config_selectorIsiEEZNS1_14transform_implILb0ES3_S5_N6thrust23THRUST_200600_302600_NS6detail15normal_iteratorINS8_10device_ptrIsEEEENSA_INSB_IiEEEEZNS1_13binary_searchIS3_S5_SD_SD_SF_NS1_21upper_bound_search_opENS9_16wrapped_functionINS0_4lessIvEEbEEEE10hipError_tPvRmT1_T2_T3_mmT4_T5_P12ihipStream_tbEUlRKsE_EESM_SQ_SR_mSS_SV_bEUlT_E_NS1_11comp_targetILNS1_3genE9ELNS1_11target_archE1100ELNS1_3gpuE3ELNS1_3repE0EEENS1_30default_config_static_selectorELNS0_4arch9wavefront6targetE0EEEvSP_: ; @_ZN7rocprim17ROCPRIM_400000_NS6detail17trampoline_kernelINS0_14default_configENS1_27upper_bound_config_selectorIsiEEZNS1_14transform_implILb0ES3_S5_N6thrust23THRUST_200600_302600_NS6detail15normal_iteratorINS8_10device_ptrIsEEEENSA_INSB_IiEEEEZNS1_13binary_searchIS3_S5_SD_SD_SF_NS1_21upper_bound_search_opENS9_16wrapped_functionINS0_4lessIvEEbEEEE10hipError_tPvRmT1_T2_T3_mmT4_T5_P12ihipStream_tbEUlRKsE_EESM_SQ_SR_mSS_SV_bEUlT_E_NS1_11comp_targetILNS1_3genE9ELNS1_11target_archE1100ELNS1_3gpuE3ELNS1_3repE0EEENS1_30default_config_static_selectorELNS0_4arch9wavefront6targetE0EEEvSP_
; %bb.0:
	s_clause 0x2
	s_load_b256 s[4:11], s[0:1], 0x0
	s_load_b32 s2, s[0:1], 0x38
	s_load_b128 s[16:19], s[0:1], 0x20
	s_waitcnt lgkmcnt(0)
	s_lshl_b64 s[0:1], s[6:7], 1
	s_delay_alu instid0(SALU_CYCLE_1) | instskip(SKIP_2) | instid1(SALU_CYCLE_1)
	s_add_u32 s3, s4, s0
	s_addc_u32 s4, s5, s1
	s_lshl_b64 s[0:1], s[6:7], 2
	s_add_u32 s7, s10, s0
	s_addc_u32 s9, s11, s1
	s_lshl_b32 s10, s15, 11
	s_mov_b32 s11, 0
	s_add_i32 s2, s2, -1
	s_lshl_b64 s[0:1], s[10:11], 1
	s_delay_alu instid0(SALU_CYCLE_1)
	s_add_u32 s12, s3, s0
	s_addc_u32 s13, s4, s1
	s_cmp_lg_u32 s15, s2
	s_mov_b32 s0, -1
	s_cbranch_scc0 .LBB400_26
; %bb.1:
	v_lshlrev_b32_e32 v1, 1, v0
	s_cmp_lg_u64 s[18:19], 0
	s_mov_b32 s1, 0
	s_delay_alu instid0(VALU_DEP_1) | instskip(NEXT) | instid1(VALU_DEP_1)
	v_add_co_u32 v1, s0, s12, v1
	v_add_co_ci_u32_e64 v2, null, s13, 0, s0
	s_cselect_b32 s0, -1, 0
	s_cmp_eq_u64 s[18:19], 0
	s_clause 0x6
	flat_load_u16 v6, v[1:2] offset:512
	flat_load_u16 v7, v[1:2] offset:1024
	;; [unrolled: 1-line block ×7, first 2 shown]
	s_cbranch_scc1 .LBB400_27
; %bb.2:
	flat_load_u16 v5, v[1:2]
	v_mov_b32_e32 v1, 0
	v_dual_mov_b32 v2, 0 :: v_dual_mov_b32 v3, s18
	v_mov_b32_e32 v4, s19
	.p2align	6
.LBB400_3:                              ; =>This Inner Loop Header: Depth=1
	s_delay_alu instid0(VALU_DEP_2) | instskip(NEXT) | instid1(VALU_DEP_2)
	v_sub_co_u32 v14, vcc_lo, v3, v1
	v_sub_co_ci_u32_e32 v15, vcc_lo, v4, v2, vcc_lo
	s_delay_alu instid0(VALU_DEP_1) | instskip(SKIP_1) | instid1(VALU_DEP_2)
	v_lshrrev_b64 v[16:17], 1, v[14:15]
	v_lshrrev_b64 v[14:15], 6, v[14:15]
	v_add_co_u32 v12, vcc_lo, v16, v1
	s_delay_alu instid0(VALU_DEP_3) | instskip(NEXT) | instid1(VALU_DEP_2)
	v_add_co_ci_u32_e32 v16, vcc_lo, v17, v2, vcc_lo
	v_add_co_u32 v14, vcc_lo, v12, v14
	s_delay_alu instid0(VALU_DEP_2) | instskip(NEXT) | instid1(VALU_DEP_1)
	v_add_co_ci_u32_e32 v15, vcc_lo, v16, v15, vcc_lo
	v_lshlrev_b64 v[16:17], 1, v[14:15]
	s_delay_alu instid0(VALU_DEP_1) | instskip(NEXT) | instid1(VALU_DEP_2)
	v_add_co_u32 v16, vcc_lo, s16, v16
	v_add_co_ci_u32_e32 v17, vcc_lo, s17, v17, vcc_lo
	global_load_u16 v12, v[16:17], off
	v_add_co_u32 v16, vcc_lo, v14, 1
	v_add_co_ci_u32_e32 v17, vcc_lo, 0, v15, vcc_lo
	s_waitcnt vmcnt(0) lgkmcnt(0)
	v_cmp_gt_i16_e32 vcc_lo, v12, v5
	v_dual_cndmask_b32 v4, v4, v15 :: v_dual_cndmask_b32 v3, v3, v14
	s_delay_alu instid0(VALU_DEP_3) | instskip(NEXT) | instid1(VALU_DEP_1)
	v_dual_cndmask_b32 v2, v17, v2 :: v_dual_cndmask_b32 v1, v16, v1
	v_cmp_ge_u64_e32 vcc_lo, v[1:2], v[3:4]
	s_or_b32 s1, vcc_lo, s1
	s_delay_alu instid0(SALU_CYCLE_1)
	s_and_not1_b32 exec_lo, exec_lo, s1
	s_cbranch_execnz .LBB400_3
; %bb.4:
	s_or_b32 exec_lo, exec_lo, s1
	v_cndmask_b32_e64 v12, 0, 1, s0
	s_and_not1_b32 vcc_lo, exec_lo, s0
	s_cbranch_vccnz .LBB400_28
.LBB400_5:
	v_mov_b32_e32 v2, 0
	v_dual_mov_b32 v3, 0 :: v_dual_mov_b32 v4, s18
	v_mov_b32_e32 v5, s19
	s_mov_b32 s0, 0
	.p2align	6
.LBB400_6:                              ; =>This Inner Loop Header: Depth=1
	s_delay_alu instid0(VALU_DEP_2) | instskip(NEXT) | instid1(VALU_DEP_2)
	v_sub_co_u32 v14, vcc_lo, v4, v2
	v_sub_co_ci_u32_e32 v15, vcc_lo, v5, v3, vcc_lo
	s_delay_alu instid0(VALU_DEP_1) | instskip(SKIP_1) | instid1(VALU_DEP_2)
	v_lshrrev_b64 v[16:17], 1, v[14:15]
	v_lshrrev_b64 v[14:15], 6, v[14:15]
	v_add_co_u32 v16, vcc_lo, v16, v2
	s_delay_alu instid0(VALU_DEP_3) | instskip(NEXT) | instid1(VALU_DEP_2)
	v_add_co_ci_u32_e32 v17, vcc_lo, v17, v3, vcc_lo
	v_add_co_u32 v14, vcc_lo, v16, v14
	s_delay_alu instid0(VALU_DEP_2) | instskip(NEXT) | instid1(VALU_DEP_1)
	v_add_co_ci_u32_e32 v15, vcc_lo, v17, v15, vcc_lo
	v_lshlrev_b64 v[16:17], 1, v[14:15]
	s_delay_alu instid0(VALU_DEP_1) | instskip(NEXT) | instid1(VALU_DEP_2)
	v_add_co_u32 v16, vcc_lo, s16, v16
	v_add_co_ci_u32_e32 v17, vcc_lo, s17, v17, vcc_lo
	global_load_u16 v16, v[16:17], off
	v_add_co_u32 v17, vcc_lo, v14, 1
	v_add_co_ci_u32_e32 v18, vcc_lo, 0, v15, vcc_lo
	s_waitcnt vmcnt(0) lgkmcnt(6)
	v_cmp_gt_i16_e32 vcc_lo, v16, v6
	v_dual_cndmask_b32 v5, v5, v15 :: v_dual_cndmask_b32 v4, v4, v14
	s_delay_alu instid0(VALU_DEP_3) | instskip(NEXT) | instid1(VALU_DEP_1)
	v_dual_cndmask_b32 v3, v18, v3 :: v_dual_cndmask_b32 v2, v17, v2
	v_cmp_ge_u64_e32 vcc_lo, v[2:3], v[4:5]
	s_or_b32 s0, vcc_lo, s0
	s_delay_alu instid0(SALU_CYCLE_1)
	s_and_not1_b32 exec_lo, exec_lo, s0
	s_cbranch_execnz .LBB400_6
; %bb.7:
	s_or_b32 exec_lo, exec_lo, s0
	v_cmp_ne_u32_e32 vcc_lo, 1, v12
	s_cbranch_vccnz .LBB400_29
.LBB400_8:
	v_mov_b32_e32 v3, 0
	s_waitcnt vmcnt(6) lgkmcnt(6)
	v_dual_mov_b32 v4, 0 :: v_dual_mov_b32 v5, s18
	v_mov_b32_e32 v6, s19
	s_mov_b32 s0, 0
	.p2align	6
.LBB400_9:                              ; =>This Inner Loop Header: Depth=1
	s_delay_alu instid0(VALU_DEP_2) | instskip(NEXT) | instid1(VALU_DEP_2)
	v_sub_co_u32 v14, vcc_lo, v5, v3
	v_sub_co_ci_u32_e32 v15, vcc_lo, v6, v4, vcc_lo
	s_delay_alu instid0(VALU_DEP_1) | instskip(SKIP_1) | instid1(VALU_DEP_2)
	v_lshrrev_b64 v[16:17], 1, v[14:15]
	v_lshrrev_b64 v[14:15], 6, v[14:15]
	v_add_co_u32 v16, vcc_lo, v16, v3
	s_delay_alu instid0(VALU_DEP_3) | instskip(NEXT) | instid1(VALU_DEP_2)
	v_add_co_ci_u32_e32 v17, vcc_lo, v17, v4, vcc_lo
	v_add_co_u32 v14, vcc_lo, v16, v14
	s_delay_alu instid0(VALU_DEP_2) | instskip(NEXT) | instid1(VALU_DEP_1)
	v_add_co_ci_u32_e32 v15, vcc_lo, v17, v15, vcc_lo
	v_lshlrev_b64 v[16:17], 1, v[14:15]
	s_delay_alu instid0(VALU_DEP_1) | instskip(NEXT) | instid1(VALU_DEP_2)
	v_add_co_u32 v16, vcc_lo, s16, v16
	v_add_co_ci_u32_e32 v17, vcc_lo, s17, v17, vcc_lo
	global_load_u16 v16, v[16:17], off
	v_add_co_u32 v17, vcc_lo, v14, 1
	v_add_co_ci_u32_e32 v18, vcc_lo, 0, v15, vcc_lo
	s_waitcnt vmcnt(0) lgkmcnt(5)
	v_cmp_gt_i16_e32 vcc_lo, v16, v7
	v_dual_cndmask_b32 v6, v6, v15 :: v_dual_cndmask_b32 v5, v5, v14
	s_delay_alu instid0(VALU_DEP_3) | instskip(NEXT) | instid1(VALU_DEP_1)
	v_dual_cndmask_b32 v4, v18, v4 :: v_dual_cndmask_b32 v3, v17, v3
	v_cmp_ge_u64_e32 vcc_lo, v[3:4], v[5:6]
	s_or_b32 s0, vcc_lo, s0
	s_delay_alu instid0(SALU_CYCLE_1)
	s_and_not1_b32 exec_lo, exec_lo, s0
	s_cbranch_execnz .LBB400_9
; %bb.10:
	s_or_b32 exec_lo, exec_lo, s0
	v_cmp_ne_u32_e32 vcc_lo, 1, v12
	s_cbranch_vccnz .LBB400_30
.LBB400_11:
	v_mov_b32_e32 v4, 0
	s_waitcnt vmcnt(5) lgkmcnt(5)
	v_dual_mov_b32 v5, 0 :: v_dual_mov_b32 v6, s18
	v_mov_b32_e32 v7, s19
	s_mov_b32 s0, 0
	.p2align	6
.LBB400_12:                             ; =>This Inner Loop Header: Depth=1
	s_delay_alu instid0(VALU_DEP_2) | instskip(NEXT) | instid1(VALU_DEP_2)
	v_sub_co_u32 v14, vcc_lo, v6, v4
	v_sub_co_ci_u32_e32 v15, vcc_lo, v7, v5, vcc_lo
	s_delay_alu instid0(VALU_DEP_1) | instskip(SKIP_1) | instid1(VALU_DEP_2)
	v_lshrrev_b64 v[16:17], 1, v[14:15]
	v_lshrrev_b64 v[14:15], 6, v[14:15]
	v_add_co_u32 v16, vcc_lo, v16, v4
	s_delay_alu instid0(VALU_DEP_3) | instskip(NEXT) | instid1(VALU_DEP_2)
	v_add_co_ci_u32_e32 v17, vcc_lo, v17, v5, vcc_lo
	v_add_co_u32 v14, vcc_lo, v16, v14
	s_delay_alu instid0(VALU_DEP_2) | instskip(NEXT) | instid1(VALU_DEP_1)
	v_add_co_ci_u32_e32 v15, vcc_lo, v17, v15, vcc_lo
	v_lshlrev_b64 v[16:17], 1, v[14:15]
	s_delay_alu instid0(VALU_DEP_1) | instskip(NEXT) | instid1(VALU_DEP_2)
	v_add_co_u32 v16, vcc_lo, s16, v16
	v_add_co_ci_u32_e32 v17, vcc_lo, s17, v17, vcc_lo
	global_load_u16 v16, v[16:17], off
	v_add_co_u32 v17, vcc_lo, v14, 1
	v_add_co_ci_u32_e32 v18, vcc_lo, 0, v15, vcc_lo
	s_waitcnt vmcnt(0) lgkmcnt(4)
	v_cmp_gt_i16_e32 vcc_lo, v16, v8
	v_dual_cndmask_b32 v7, v7, v15 :: v_dual_cndmask_b32 v6, v6, v14
	s_delay_alu instid0(VALU_DEP_3) | instskip(NEXT) | instid1(VALU_DEP_1)
	v_dual_cndmask_b32 v5, v18, v5 :: v_dual_cndmask_b32 v4, v17, v4
	v_cmp_ge_u64_e32 vcc_lo, v[4:5], v[6:7]
	s_or_b32 s0, vcc_lo, s0
	s_delay_alu instid0(SALU_CYCLE_1)
	s_and_not1_b32 exec_lo, exec_lo, s0
	s_cbranch_execnz .LBB400_12
; %bb.13:
	s_or_b32 exec_lo, exec_lo, s0
	v_cmp_ne_u32_e32 vcc_lo, 1, v12
	s_cbranch_vccnz .LBB400_31
.LBB400_14:
	s_waitcnt vmcnt(6) lgkmcnt(6)
	v_mov_b32_e32 v5, 0
	s_waitcnt vmcnt(4) lgkmcnt(4)
	v_dual_mov_b32 v6, 0 :: v_dual_mov_b32 v7, s18
	v_mov_b32_e32 v8, s19
	s_mov_b32 s0, 0
	.p2align	6
.LBB400_15:                             ; =>This Inner Loop Header: Depth=1
	s_delay_alu instid0(VALU_DEP_2) | instskip(NEXT) | instid1(VALU_DEP_2)
	v_sub_co_u32 v14, vcc_lo, v7, v5
	v_sub_co_ci_u32_e32 v15, vcc_lo, v8, v6, vcc_lo
	s_delay_alu instid0(VALU_DEP_1) | instskip(SKIP_1) | instid1(VALU_DEP_2)
	v_lshrrev_b64 v[16:17], 1, v[14:15]
	v_lshrrev_b64 v[14:15], 6, v[14:15]
	v_add_co_u32 v16, vcc_lo, v16, v5
	s_delay_alu instid0(VALU_DEP_3) | instskip(NEXT) | instid1(VALU_DEP_2)
	v_add_co_ci_u32_e32 v17, vcc_lo, v17, v6, vcc_lo
	v_add_co_u32 v14, vcc_lo, v16, v14
	s_delay_alu instid0(VALU_DEP_2) | instskip(NEXT) | instid1(VALU_DEP_1)
	v_add_co_ci_u32_e32 v15, vcc_lo, v17, v15, vcc_lo
	v_lshlrev_b64 v[16:17], 1, v[14:15]
	s_delay_alu instid0(VALU_DEP_1) | instskip(NEXT) | instid1(VALU_DEP_2)
	v_add_co_u32 v16, vcc_lo, s16, v16
	v_add_co_ci_u32_e32 v17, vcc_lo, s17, v17, vcc_lo
	global_load_u16 v16, v[16:17], off
	v_add_co_u32 v17, vcc_lo, v14, 1
	v_add_co_ci_u32_e32 v18, vcc_lo, 0, v15, vcc_lo
	s_waitcnt vmcnt(0) lgkmcnt(3)
	v_cmp_gt_i16_e32 vcc_lo, v16, v9
	v_dual_cndmask_b32 v8, v8, v15 :: v_dual_cndmask_b32 v7, v7, v14
	s_delay_alu instid0(VALU_DEP_3) | instskip(NEXT) | instid1(VALU_DEP_1)
	v_dual_cndmask_b32 v6, v18, v6 :: v_dual_cndmask_b32 v5, v17, v5
	v_cmp_ge_u64_e32 vcc_lo, v[5:6], v[7:8]
	s_or_b32 s0, vcc_lo, s0
	s_delay_alu instid0(SALU_CYCLE_1)
	s_and_not1_b32 exec_lo, exec_lo, s0
	s_cbranch_execnz .LBB400_15
; %bb.16:
	s_or_b32 exec_lo, exec_lo, s0
	v_cmp_ne_u32_e32 vcc_lo, 1, v12
	s_cbranch_vccnz .LBB400_32
.LBB400_17:
	s_waitcnt vmcnt(5) lgkmcnt(5)
	v_mov_b32_e32 v6, 0
	s_waitcnt vmcnt(3) lgkmcnt(3)
	v_dual_mov_b32 v7, 0 :: v_dual_mov_b32 v8, s18
	v_mov_b32_e32 v9, s19
	s_mov_b32 s0, 0
	.p2align	6
.LBB400_18:                             ; =>This Inner Loop Header: Depth=1
	s_delay_alu instid0(VALU_DEP_2) | instskip(NEXT) | instid1(VALU_DEP_2)
	v_sub_co_u32 v14, vcc_lo, v8, v6
	v_sub_co_ci_u32_e32 v15, vcc_lo, v9, v7, vcc_lo
	s_delay_alu instid0(VALU_DEP_1) | instskip(SKIP_1) | instid1(VALU_DEP_2)
	v_lshrrev_b64 v[16:17], 1, v[14:15]
	v_lshrrev_b64 v[14:15], 6, v[14:15]
	v_add_co_u32 v16, vcc_lo, v16, v6
	s_delay_alu instid0(VALU_DEP_3) | instskip(NEXT) | instid1(VALU_DEP_2)
	v_add_co_ci_u32_e32 v17, vcc_lo, v17, v7, vcc_lo
	v_add_co_u32 v14, vcc_lo, v16, v14
	s_delay_alu instid0(VALU_DEP_2) | instskip(NEXT) | instid1(VALU_DEP_1)
	v_add_co_ci_u32_e32 v15, vcc_lo, v17, v15, vcc_lo
	v_lshlrev_b64 v[16:17], 1, v[14:15]
	s_delay_alu instid0(VALU_DEP_1) | instskip(NEXT) | instid1(VALU_DEP_2)
	v_add_co_u32 v16, vcc_lo, s16, v16
	v_add_co_ci_u32_e32 v17, vcc_lo, s17, v17, vcc_lo
	global_load_u16 v16, v[16:17], off
	v_add_co_u32 v17, vcc_lo, v14, 1
	v_add_co_ci_u32_e32 v18, vcc_lo, 0, v15, vcc_lo
	s_waitcnt vmcnt(0) lgkmcnt(2)
	v_cmp_gt_i16_e32 vcc_lo, v16, v10
	v_dual_cndmask_b32 v9, v9, v15 :: v_dual_cndmask_b32 v8, v8, v14
	s_delay_alu instid0(VALU_DEP_3) | instskip(NEXT) | instid1(VALU_DEP_1)
	v_dual_cndmask_b32 v7, v18, v7 :: v_dual_cndmask_b32 v6, v17, v6
	v_cmp_ge_u64_e32 vcc_lo, v[6:7], v[8:9]
	s_or_b32 s0, vcc_lo, s0
	s_delay_alu instid0(SALU_CYCLE_1)
	s_and_not1_b32 exec_lo, exec_lo, s0
	s_cbranch_execnz .LBB400_18
; %bb.19:
	s_or_b32 exec_lo, exec_lo, s0
	v_cmp_ne_u32_e32 vcc_lo, 1, v12
	s_cbranch_vccnz .LBB400_33
.LBB400_20:
	s_waitcnt vmcnt(4) lgkmcnt(4)
	v_mov_b32_e32 v7, 0
	s_waitcnt vmcnt(2) lgkmcnt(2)
	v_dual_mov_b32 v8, 0 :: v_dual_mov_b32 v9, s18
	v_mov_b32_e32 v10, s19
	s_mov_b32 s0, 0
	.p2align	6
.LBB400_21:                             ; =>This Inner Loop Header: Depth=1
	s_delay_alu instid0(VALU_DEP_2) | instskip(NEXT) | instid1(VALU_DEP_2)
	v_sub_co_u32 v14, vcc_lo, v9, v7
	v_sub_co_ci_u32_e32 v15, vcc_lo, v10, v8, vcc_lo
	s_delay_alu instid0(VALU_DEP_1) | instskip(SKIP_1) | instid1(VALU_DEP_2)
	v_lshrrev_b64 v[16:17], 1, v[14:15]
	v_lshrrev_b64 v[14:15], 6, v[14:15]
	v_add_co_u32 v16, vcc_lo, v16, v7
	s_delay_alu instid0(VALU_DEP_3) | instskip(NEXT) | instid1(VALU_DEP_2)
	v_add_co_ci_u32_e32 v17, vcc_lo, v17, v8, vcc_lo
	v_add_co_u32 v14, vcc_lo, v16, v14
	s_delay_alu instid0(VALU_DEP_2) | instskip(NEXT) | instid1(VALU_DEP_1)
	v_add_co_ci_u32_e32 v15, vcc_lo, v17, v15, vcc_lo
	v_lshlrev_b64 v[16:17], 1, v[14:15]
	s_delay_alu instid0(VALU_DEP_1) | instskip(NEXT) | instid1(VALU_DEP_2)
	v_add_co_u32 v16, vcc_lo, s16, v16
	v_add_co_ci_u32_e32 v17, vcc_lo, s17, v17, vcc_lo
	global_load_u16 v16, v[16:17], off
	v_add_co_u32 v17, vcc_lo, v14, 1
	v_add_co_ci_u32_e32 v18, vcc_lo, 0, v15, vcc_lo
	s_waitcnt vmcnt(0) lgkmcnt(1)
	v_cmp_gt_i16_e32 vcc_lo, v16, v11
	v_dual_cndmask_b32 v10, v10, v15 :: v_dual_cndmask_b32 v9, v9, v14
	s_delay_alu instid0(VALU_DEP_3) | instskip(NEXT) | instid1(VALU_DEP_1)
	v_dual_cndmask_b32 v8, v18, v8 :: v_dual_cndmask_b32 v7, v17, v7
	v_cmp_ge_u64_e32 vcc_lo, v[7:8], v[9:10]
	s_or_b32 s0, vcc_lo, s0
	s_delay_alu instid0(SALU_CYCLE_1)
	s_and_not1_b32 exec_lo, exec_lo, s0
	s_cbranch_execnz .LBB400_21
; %bb.22:
	s_or_b32 exec_lo, exec_lo, s0
	v_cmp_ne_u32_e32 vcc_lo, 1, v12
	s_cbranch_vccnz .LBB400_34
.LBB400_23:
	s_waitcnt vmcnt(2) lgkmcnt(2)
	v_mov_b32_e32 v9, 0
	s_waitcnt vmcnt(1) lgkmcnt(1)
	v_dual_mov_b32 v10, 0 :: v_dual_mov_b32 v11, s18
	v_mov_b32_e32 v12, s19
	s_mov_b32 s0, 0
	.p2align	6
.LBB400_24:                             ; =>This Inner Loop Header: Depth=1
	s_delay_alu instid0(VALU_DEP_2) | instskip(NEXT) | instid1(VALU_DEP_2)
	v_sub_co_u32 v14, vcc_lo, v11, v9
	v_sub_co_ci_u32_e32 v15, vcc_lo, v12, v10, vcc_lo
	s_delay_alu instid0(VALU_DEP_1) | instskip(SKIP_1) | instid1(VALU_DEP_2)
	v_lshrrev_b64 v[16:17], 1, v[14:15]
	v_lshrrev_b64 v[14:15], 6, v[14:15]
	v_add_co_u32 v8, vcc_lo, v16, v9
	s_delay_alu instid0(VALU_DEP_3) | instskip(NEXT) | instid1(VALU_DEP_2)
	v_add_co_ci_u32_e32 v16, vcc_lo, v17, v10, vcc_lo
	v_add_co_u32 v14, vcc_lo, v8, v14
	s_delay_alu instid0(VALU_DEP_2) | instskip(NEXT) | instid1(VALU_DEP_1)
	v_add_co_ci_u32_e32 v15, vcc_lo, v16, v15, vcc_lo
	v_lshlrev_b64 v[16:17], 1, v[14:15]
	s_delay_alu instid0(VALU_DEP_1) | instskip(NEXT) | instid1(VALU_DEP_2)
	v_add_co_u32 v16, vcc_lo, s16, v16
	v_add_co_ci_u32_e32 v17, vcc_lo, s17, v17, vcc_lo
	global_load_u16 v8, v[16:17], off
	v_add_co_u32 v16, vcc_lo, v14, 1
	v_add_co_ci_u32_e32 v17, vcc_lo, 0, v15, vcc_lo
	s_waitcnt vmcnt(0) lgkmcnt(0)
	v_cmp_gt_i16_e32 vcc_lo, v8, v13
	v_dual_cndmask_b32 v12, v12, v15 :: v_dual_cndmask_b32 v11, v11, v14
	s_delay_alu instid0(VALU_DEP_3) | instskip(NEXT) | instid1(VALU_DEP_1)
	v_dual_cndmask_b32 v10, v17, v10 :: v_dual_cndmask_b32 v9, v16, v9
	v_cmp_ge_u64_e32 vcc_lo, v[9:10], v[11:12]
	s_or_b32 s0, vcc_lo, s0
	s_delay_alu instid0(SALU_CYCLE_1)
	s_and_not1_b32 exec_lo, exec_lo, s0
	s_cbranch_execnz .LBB400_24
; %bb.25:
	s_or_b32 exec_lo, exec_lo, s0
	s_branch .LBB400_35
.LBB400_26:
	s_mov_b32 s14, s11
                                        ; implicit-def: $vgpr9
                                        ; implicit-def: $vgpr12_vgpr13
	s_and_b32 vcc_lo, exec_lo, s0
	s_cbranch_vccnz .LBB400_36
	s_branch .LBB400_107
.LBB400_27:
	v_mov_b32_e32 v1, 0
	v_cndmask_b32_e64 v12, 0, 1, s0
	s_and_not1_b32 vcc_lo, exec_lo, s0
	s_cbranch_vccz .LBB400_5
.LBB400_28:
	v_mov_b32_e32 v2, 0
	s_delay_alu instid0(VALU_DEP_2)
	v_cmp_ne_u32_e32 vcc_lo, 1, v12
	s_cbranch_vccz .LBB400_8
.LBB400_29:
	v_mov_b32_e32 v3, 0
	v_cmp_ne_u32_e32 vcc_lo, 1, v12
	s_cbranch_vccz .LBB400_11
.LBB400_30:
	v_mov_b32_e32 v4, 0
	v_cmp_ne_u32_e32 vcc_lo, 1, v12
	s_cbranch_vccz .LBB400_14
.LBB400_31:
	v_mov_b32_e32 v5, 0
	v_cmp_ne_u32_e32 vcc_lo, 1, v12
	s_cbranch_vccz .LBB400_17
.LBB400_32:
	s_waitcnt vmcnt(6) lgkmcnt(6)
	v_mov_b32_e32 v6, 0
	v_cmp_ne_u32_e32 vcc_lo, 1, v12
	s_cbranch_vccz .LBB400_20
.LBB400_33:
	s_waitcnt vmcnt(5) lgkmcnt(5)
	v_mov_b32_e32 v7, 0
	v_cmp_ne_u32_e32 vcc_lo, 1, v12
	s_cbranch_vccz .LBB400_23
.LBB400_34:
	s_waitcnt vmcnt(3) lgkmcnt(3)
	v_mov_b32_e32 v9, 0
.LBB400_35:
	v_lshlrev_b32_e32 v8, 2, v0
	s_lshl_b64 s[0:1], s[10:11], 2
	s_mov_b32 s14, -1
	s_add_u32 s0, s7, s0
	s_addc_u32 s1, s9, s1
	v_add_co_u32 v12, s0, s0, v8
	s_waitcnt vmcnt(0) lgkmcnt(0)
	v_add_co_ci_u32_e64 v13, null, s1, 0, s0
	s_delay_alu instid0(VALU_DEP_2) | instskip(NEXT) | instid1(VALU_DEP_2)
	v_add_co_u32 v10, vcc_lo, 0x1000, v12
	v_add_co_ci_u32_e32 v11, vcc_lo, 0, v13, vcc_lo
	s_clause 0x6
	flat_store_b32 v[12:13], v2 offset:1024
	flat_store_b32 v[12:13], v3 offset:2048
	;; [unrolled: 1-line block ×3, first 2 shown]
	flat_store_b32 v[10:11], v5
	flat_store_b32 v[10:11], v6 offset:1024
	flat_store_b32 v[12:13], v1
	flat_store_b32 v[10:11], v7 offset:2048
	s_branch .LBB400_107
.LBB400_36:
	s_sub_i32 s8, s8, s10
                                        ; implicit-def: $vgpr1_vgpr2_vgpr3_vgpr4
	s_delay_alu instid0(SALU_CYCLE_1) | instskip(NEXT) | instid1(VALU_DEP_1)
	v_cmp_gt_u32_e64 s0, s8, v0
	s_and_saveexec_b32 s1, s0
	s_cbranch_execz .LBB400_38
; %bb.37:
	v_lshlrev_b32_e32 v1, 1, v0
	s_delay_alu instid0(VALU_DEP_1) | instskip(NEXT) | instid1(VALU_DEP_1)
	v_add_co_u32 v1, s2, s12, v1
	v_add_co_ci_u32_e64 v2, null, s13, 0, s2
	flat_load_d16_b16 v1, v[1:2]
.LBB400_38:
	s_or_b32 exec_lo, exec_lo, s1
	v_or_b32_e32 v5, 0x100, v0
	s_delay_alu instid0(VALU_DEP_1) | instskip(NEXT) | instid1(VALU_DEP_1)
	v_cmp_gt_u32_e64 s1, s8, v5
	s_and_saveexec_b32 s2, s1
	s_cbranch_execz .LBB400_40
; %bb.39:
	v_lshlrev_b32_e32 v5, 1, v0
	s_delay_alu instid0(VALU_DEP_1) | instskip(NEXT) | instid1(VALU_DEP_1)
	v_add_co_u32 v5, s3, s12, v5
	v_add_co_ci_u32_e64 v6, null, s13, 0, s3
	s_waitcnt vmcnt(0) lgkmcnt(0)
	flat_load_d16_hi_b16 v1, v[5:6] offset:512
.LBB400_40:
	s_or_b32 exec_lo, exec_lo, s2
	v_or_b32_e32 v5, 0x200, v0
	s_delay_alu instid0(VALU_DEP_1) | instskip(NEXT) | instid1(VALU_DEP_1)
	v_cmp_gt_u32_e64 s2, s8, v5
	s_and_saveexec_b32 s3, s2
	s_cbranch_execz .LBB400_42
; %bb.41:
	v_lshlrev_b32_e32 v5, 1, v0
	s_delay_alu instid0(VALU_DEP_1) | instskip(NEXT) | instid1(VALU_DEP_1)
	v_add_co_u32 v5, s4, s12, v5
	v_add_co_ci_u32_e64 v6, null, s13, 0, s4
	flat_load_d16_b16 v2, v[5:6] offset:1024
.LBB400_42:
	s_or_b32 exec_lo, exec_lo, s3
	v_or_b32_e32 v5, 0x300, v0
	s_delay_alu instid0(VALU_DEP_1) | instskip(NEXT) | instid1(VALU_DEP_1)
	v_cmp_gt_u32_e64 s3, s8, v5
	s_and_saveexec_b32 s4, s3
	s_cbranch_execz .LBB400_44
; %bb.43:
	v_lshlrev_b32_e32 v5, 1, v0
	s_delay_alu instid0(VALU_DEP_1) | instskip(NEXT) | instid1(VALU_DEP_1)
	v_add_co_u32 v5, s5, s12, v5
	v_add_co_ci_u32_e64 v6, null, s13, 0, s5
	s_waitcnt vmcnt(0) lgkmcnt(0)
	flat_load_d16_hi_b16 v2, v[5:6] offset:1536
.LBB400_44:
	s_or_b32 exec_lo, exec_lo, s4
	v_or_b32_e32 v5, 0x400, v0
	s_delay_alu instid0(VALU_DEP_1) | instskip(NEXT) | instid1(VALU_DEP_1)
	v_cmp_gt_u32_e64 s4, s8, v5
	s_and_saveexec_b32 s5, s4
	s_cbranch_execz .LBB400_46
; %bb.45:
	v_lshlrev_b32_e32 v5, 1, v0
	s_delay_alu instid0(VALU_DEP_1) | instskip(NEXT) | instid1(VALU_DEP_1)
	v_add_co_u32 v5, s6, s12, v5
	v_add_co_ci_u32_e64 v6, null, s13, 0, s6
	flat_load_d16_b16 v3, v[5:6] offset:2048
.LBB400_46:
	;; [unrolled: 27-line block ×3, first 2 shown]
	s_or_b32 exec_lo, exec_lo, s14
	v_or_b32_e32 v5, 0x700, v0
	s_delay_alu instid0(VALU_DEP_1) | instskip(NEXT) | instid1(VALU_DEP_1)
	v_cmp_gt_u32_e64 s14, s8, v5
	s_and_saveexec_b32 s8, s14
	s_cbranch_execz .LBB400_52
; %bb.51:
	v_lshlrev_b32_e32 v5, 1, v0
	s_delay_alu instid0(VALU_DEP_1) | instskip(NEXT) | instid1(VALU_DEP_1)
	v_add_co_u32 v5, s12, s12, v5
	v_add_co_ci_u32_e64 v6, null, s13, 0, s12
	s_waitcnt vmcnt(0) lgkmcnt(0)
	flat_load_d16_hi_b16 v4, v[5:6] offset:3584
.LBB400_52:
	s_or_b32 exec_lo, exec_lo, s8
	s_cmp_lg_u64 s[18:19], 0
                                        ; implicit-def: $vgpr5
	s_cselect_b32 s8, -1, 0
	s_and_saveexec_b32 s12, s0
	s_cbranch_execz .LBB400_57
; %bb.53:
	v_mov_b32_e32 v5, 0
	v_mov_b32_e32 v6, 0
	s_and_not1_b32 vcc_lo, exec_lo, s8
	s_cbranch_vccnz .LBB400_57
; %bb.54:
	v_dual_mov_b32 v7, s18 :: v_dual_mov_b32 v8, s19
	s_mov_b32 s13, 0
	.p2align	6
.LBB400_55:                             ; =>This Inner Loop Header: Depth=1
	s_delay_alu instid0(VALU_DEP_1) | instskip(NEXT) | instid1(VALU_DEP_2)
	v_sub_co_u32 v9, vcc_lo, v7, v5
	v_sub_co_ci_u32_e32 v10, vcc_lo, v8, v6, vcc_lo
	s_delay_alu instid0(VALU_DEP_1) | instskip(SKIP_1) | instid1(VALU_DEP_2)
	v_lshrrev_b64 v[11:12], 1, v[9:10]
	v_lshrrev_b64 v[9:10], 6, v[9:10]
	v_add_co_u32 v11, vcc_lo, v11, v5
	s_delay_alu instid0(VALU_DEP_3) | instskip(NEXT) | instid1(VALU_DEP_2)
	v_add_co_ci_u32_e32 v12, vcc_lo, v12, v6, vcc_lo
	v_add_co_u32 v9, vcc_lo, v11, v9
	s_delay_alu instid0(VALU_DEP_2) | instskip(NEXT) | instid1(VALU_DEP_1)
	v_add_co_ci_u32_e32 v10, vcc_lo, v12, v10, vcc_lo
	v_lshlrev_b64 v[11:12], 1, v[9:10]
	s_delay_alu instid0(VALU_DEP_1) | instskip(NEXT) | instid1(VALU_DEP_2)
	v_add_co_u32 v11, vcc_lo, s16, v11
	v_add_co_ci_u32_e32 v12, vcc_lo, s17, v12, vcc_lo
	global_load_u16 v11, v[11:12], off
	v_add_co_u32 v12, vcc_lo, v9, 1
	v_add_co_ci_u32_e32 v13, vcc_lo, 0, v10, vcc_lo
	s_waitcnt vmcnt(0) lgkmcnt(0)
	v_cmp_gt_i16_e32 vcc_lo, v11, v1
	v_dual_cndmask_b32 v8, v8, v10 :: v_dual_cndmask_b32 v7, v7, v9
	s_delay_alu instid0(VALU_DEP_3) | instskip(NEXT) | instid1(VALU_DEP_1)
	v_dual_cndmask_b32 v6, v13, v6 :: v_dual_cndmask_b32 v5, v12, v5
	v_cmp_ge_u64_e32 vcc_lo, v[5:6], v[7:8]
	s_or_b32 s13, vcc_lo, s13
	s_delay_alu instid0(SALU_CYCLE_1)
	s_and_not1_b32 exec_lo, exec_lo, s13
	s_cbranch_execnz .LBB400_55
; %bb.56:
	s_or_b32 exec_lo, exec_lo, s13
.LBB400_57:
	s_delay_alu instid0(SALU_CYCLE_1)
	s_or_b32 exec_lo, exec_lo, s12
                                        ; implicit-def: $vgpr6
	s_and_saveexec_b32 s12, s1
	s_cbranch_execz .LBB400_62
; %bb.58:
	s_and_not1_b32 vcc_lo, exec_lo, s8
	s_cbranch_vccnz .LBB400_67
; %bb.59:
	v_mov_b32_e32 v6, 0
	v_dual_mov_b32 v7, 0 :: v_dual_mov_b32 v8, s18
	s_waitcnt vmcnt(0) lgkmcnt(0)
	v_lshrrev_b32_e32 v1, 16, v1
	v_mov_b32_e32 v9, s19
	s_mov_b32 s13, 0
	.p2align	6
.LBB400_60:                             ; =>This Inner Loop Header: Depth=1
	v_sub_co_u32 v10, vcc_lo, v8, v6
	s_delay_alu instid0(VALU_DEP_2) | instskip(NEXT) | instid1(VALU_DEP_1)
	v_sub_co_ci_u32_e32 v11, vcc_lo, v9, v7, vcc_lo
	v_lshrrev_b64 v[12:13], 1, v[10:11]
	v_lshrrev_b64 v[10:11], 6, v[10:11]
	s_delay_alu instid0(VALU_DEP_2) | instskip(NEXT) | instid1(VALU_DEP_3)
	v_add_co_u32 v12, vcc_lo, v12, v6
	v_add_co_ci_u32_e32 v13, vcc_lo, v13, v7, vcc_lo
	s_delay_alu instid0(VALU_DEP_2) | instskip(NEXT) | instid1(VALU_DEP_2)
	v_add_co_u32 v10, vcc_lo, v12, v10
	v_add_co_ci_u32_e32 v11, vcc_lo, v13, v11, vcc_lo
	s_delay_alu instid0(VALU_DEP_1) | instskip(NEXT) | instid1(VALU_DEP_1)
	v_lshlrev_b64 v[12:13], 1, v[10:11]
	v_add_co_u32 v12, vcc_lo, s16, v12
	s_delay_alu instid0(VALU_DEP_2)
	v_add_co_ci_u32_e32 v13, vcc_lo, s17, v13, vcc_lo
	global_load_u16 v12, v[12:13], off
	v_add_co_u32 v13, vcc_lo, v10, 1
	v_add_co_ci_u32_e32 v14, vcc_lo, 0, v11, vcc_lo
	s_waitcnt vmcnt(0)
	v_cmp_gt_i16_e32 vcc_lo, v12, v1
	v_dual_cndmask_b32 v9, v9, v11 :: v_dual_cndmask_b32 v8, v8, v10
	s_delay_alu instid0(VALU_DEP_3) | instskip(NEXT) | instid1(VALU_DEP_1)
	v_dual_cndmask_b32 v7, v14, v7 :: v_dual_cndmask_b32 v6, v13, v6
	v_cmp_ge_u64_e32 vcc_lo, v[6:7], v[8:9]
	s_or_b32 s13, vcc_lo, s13
	s_delay_alu instid0(SALU_CYCLE_1)
	s_and_not1_b32 exec_lo, exec_lo, s13
	s_cbranch_execnz .LBB400_60
; %bb.61:
	s_or_b32 exec_lo, exec_lo, s13
.LBB400_62:
	s_delay_alu instid0(SALU_CYCLE_1)
	s_or_b32 exec_lo, exec_lo, s12
                                        ; implicit-def: $vgpr7
	s_and_saveexec_b32 s12, s2
	s_cbranch_execz .LBB400_68
.LBB400_63:
	v_mov_b32_e32 v7, 0
	v_mov_b32_e32 v8, 0
	s_and_not1_b32 vcc_lo, exec_lo, s8
	s_cbranch_vccnz .LBB400_68
; %bb.64:
	v_dual_mov_b32 v9, s18 :: v_dual_mov_b32 v10, s19
	s_mov_b32 s13, 0
	.p2align	6
.LBB400_65:                             ; =>This Inner Loop Header: Depth=1
	s_delay_alu instid0(VALU_DEP_1) | instskip(NEXT) | instid1(VALU_DEP_2)
	v_sub_co_u32 v11, vcc_lo, v9, v7
	v_sub_co_ci_u32_e32 v12, vcc_lo, v10, v8, vcc_lo
	s_delay_alu instid0(VALU_DEP_1) | instskip(SKIP_2) | instid1(VALU_DEP_2)
	v_lshrrev_b64 v[13:14], 1, v[11:12]
	v_lshrrev_b64 v[11:12], 6, v[11:12]
	s_waitcnt vmcnt(0) lgkmcnt(0)
	v_add_co_u32 v1, vcc_lo, v13, v7
	s_delay_alu instid0(VALU_DEP_3) | instskip(NEXT) | instid1(VALU_DEP_2)
	v_add_co_ci_u32_e32 v13, vcc_lo, v14, v8, vcc_lo
	v_add_co_u32 v11, vcc_lo, v1, v11
	s_delay_alu instid0(VALU_DEP_2) | instskip(NEXT) | instid1(VALU_DEP_1)
	v_add_co_ci_u32_e32 v12, vcc_lo, v13, v12, vcc_lo
	v_lshlrev_b64 v[13:14], 1, v[11:12]
	s_delay_alu instid0(VALU_DEP_1) | instskip(NEXT) | instid1(VALU_DEP_2)
	v_add_co_u32 v13, vcc_lo, s16, v13
	v_add_co_ci_u32_e32 v14, vcc_lo, s17, v14, vcc_lo
	global_load_u16 v1, v[13:14], off
	v_add_co_u32 v13, vcc_lo, v11, 1
	v_add_co_ci_u32_e32 v14, vcc_lo, 0, v12, vcc_lo
	s_waitcnt vmcnt(0)
	v_cmp_gt_i16_e32 vcc_lo, v1, v2
	v_dual_cndmask_b32 v10, v10, v12 :: v_dual_cndmask_b32 v9, v9, v11
	s_delay_alu instid0(VALU_DEP_3) | instskip(NEXT) | instid1(VALU_DEP_1)
	v_dual_cndmask_b32 v8, v14, v8 :: v_dual_cndmask_b32 v7, v13, v7
	v_cmp_ge_u64_e32 vcc_lo, v[7:8], v[9:10]
	s_or_b32 s13, vcc_lo, s13
	s_delay_alu instid0(SALU_CYCLE_1)
	s_and_not1_b32 exec_lo, exec_lo, s13
	s_cbranch_execnz .LBB400_65
; %bb.66:
	s_or_b32 exec_lo, exec_lo, s13
	s_branch .LBB400_68
.LBB400_67:
	v_mov_b32_e32 v6, 0
	v_mov_b32_e32 v7, 0
	s_or_b32 exec_lo, exec_lo, s12
                                        ; implicit-def: $vgpr7
	s_and_saveexec_b32 s12, s2
	s_cbranch_execnz .LBB400_63
.LBB400_68:
	s_or_b32 exec_lo, exec_lo, s12
                                        ; implicit-def: $vgpr1
	s_and_saveexec_b32 s12, s3
	s_cbranch_execz .LBB400_73
; %bb.69:
	s_and_not1_b32 vcc_lo, exec_lo, s8
	s_cbranch_vccnz .LBB400_78
; %bb.70:
	s_waitcnt vmcnt(0) lgkmcnt(0)
	v_lshrrev_b32_e32 v10, 16, v2
	v_dual_mov_b32 v1, 0 :: v_dual_mov_b32 v8, s18
	v_dual_mov_b32 v2, 0 :: v_dual_mov_b32 v9, s19
	s_mov_b32 s13, 0
	.p2align	6
.LBB400_71:                             ; =>This Inner Loop Header: Depth=1
	s_delay_alu instid0(VALU_DEP_2) | instskip(NEXT) | instid1(VALU_DEP_2)
	v_sub_co_u32 v11, vcc_lo, v8, v1
	v_sub_co_ci_u32_e32 v12, vcc_lo, v9, v2, vcc_lo
	s_delay_alu instid0(VALU_DEP_1) | instskip(SKIP_1) | instid1(VALU_DEP_2)
	v_lshrrev_b64 v[13:14], 1, v[11:12]
	v_lshrrev_b64 v[11:12], 6, v[11:12]
	v_add_co_u32 v13, vcc_lo, v13, v1
	s_delay_alu instid0(VALU_DEP_3) | instskip(NEXT) | instid1(VALU_DEP_2)
	v_add_co_ci_u32_e32 v14, vcc_lo, v14, v2, vcc_lo
	v_add_co_u32 v11, vcc_lo, v13, v11
	s_delay_alu instid0(VALU_DEP_2) | instskip(NEXT) | instid1(VALU_DEP_1)
	v_add_co_ci_u32_e32 v12, vcc_lo, v14, v12, vcc_lo
	v_lshlrev_b64 v[13:14], 1, v[11:12]
	s_delay_alu instid0(VALU_DEP_1) | instskip(NEXT) | instid1(VALU_DEP_2)
	v_add_co_u32 v13, vcc_lo, s16, v13
	v_add_co_ci_u32_e32 v14, vcc_lo, s17, v14, vcc_lo
	global_load_u16 v13, v[13:14], off
	v_add_co_u32 v14, vcc_lo, v11, 1
	v_add_co_ci_u32_e32 v15, vcc_lo, 0, v12, vcc_lo
	s_waitcnt vmcnt(0)
	v_cmp_gt_i16_e32 vcc_lo, v13, v10
	v_dual_cndmask_b32 v9, v9, v12 :: v_dual_cndmask_b32 v8, v8, v11
	s_delay_alu instid0(VALU_DEP_3) | instskip(NEXT) | instid1(VALU_DEP_1)
	v_dual_cndmask_b32 v2, v15, v2 :: v_dual_cndmask_b32 v1, v14, v1
	v_cmp_ge_u64_e32 vcc_lo, v[1:2], v[8:9]
	s_or_b32 s13, vcc_lo, s13
	s_delay_alu instid0(SALU_CYCLE_1)
	s_and_not1_b32 exec_lo, exec_lo, s13
	s_cbranch_execnz .LBB400_71
; %bb.72:
	s_or_b32 exec_lo, exec_lo, s13
.LBB400_73:
	s_delay_alu instid0(SALU_CYCLE_1)
	s_or_b32 exec_lo, exec_lo, s12
                                        ; implicit-def: $vgpr8
	s_and_saveexec_b32 s12, s4
	s_cbranch_execz .LBB400_79
.LBB400_74:
	v_mov_b32_e32 v8, 0
	v_mov_b32_e32 v9, 0
	s_and_not1_b32 vcc_lo, exec_lo, s8
	s_cbranch_vccnz .LBB400_79
; %bb.75:
	v_dual_mov_b32 v10, s18 :: v_dual_mov_b32 v11, s19
	s_mov_b32 s13, 0
	.p2align	6
.LBB400_76:                             ; =>This Inner Loop Header: Depth=1
	s_delay_alu instid0(VALU_DEP_1) | instskip(NEXT) | instid1(VALU_DEP_2)
	v_sub_co_u32 v12, vcc_lo, v10, v8
	v_sub_co_ci_u32_e32 v13, vcc_lo, v11, v9, vcc_lo
	s_delay_alu instid0(VALU_DEP_1) | instskip(SKIP_2) | instid1(VALU_DEP_2)
	v_lshrrev_b64 v[14:15], 1, v[12:13]
	v_lshrrev_b64 v[12:13], 6, v[12:13]
	s_waitcnt vmcnt(0) lgkmcnt(0)
	v_add_co_u32 v2, vcc_lo, v14, v8
	s_delay_alu instid0(VALU_DEP_3) | instskip(NEXT) | instid1(VALU_DEP_2)
	v_add_co_ci_u32_e32 v14, vcc_lo, v15, v9, vcc_lo
	v_add_co_u32 v12, vcc_lo, v2, v12
	s_delay_alu instid0(VALU_DEP_2) | instskip(NEXT) | instid1(VALU_DEP_1)
	v_add_co_ci_u32_e32 v13, vcc_lo, v14, v13, vcc_lo
	v_lshlrev_b64 v[14:15], 1, v[12:13]
	s_delay_alu instid0(VALU_DEP_1) | instskip(NEXT) | instid1(VALU_DEP_2)
	v_add_co_u32 v14, vcc_lo, s16, v14
	v_add_co_ci_u32_e32 v15, vcc_lo, s17, v15, vcc_lo
	global_load_u16 v2, v[14:15], off
	v_add_co_u32 v14, vcc_lo, v12, 1
	v_add_co_ci_u32_e32 v15, vcc_lo, 0, v13, vcc_lo
	s_waitcnt vmcnt(0)
	v_cmp_gt_i16_e32 vcc_lo, v2, v3
	v_dual_cndmask_b32 v11, v11, v13 :: v_dual_cndmask_b32 v10, v10, v12
	s_delay_alu instid0(VALU_DEP_3) | instskip(NEXT) | instid1(VALU_DEP_1)
	v_dual_cndmask_b32 v9, v15, v9 :: v_dual_cndmask_b32 v8, v14, v8
	v_cmp_ge_u64_e32 vcc_lo, v[8:9], v[10:11]
	s_or_b32 s13, vcc_lo, s13
	s_delay_alu instid0(SALU_CYCLE_1)
	s_and_not1_b32 exec_lo, exec_lo, s13
	s_cbranch_execnz .LBB400_76
; %bb.77:
	s_or_b32 exec_lo, exec_lo, s13
	s_branch .LBB400_79
.LBB400_78:
	s_waitcnt vmcnt(0) lgkmcnt(0)
	v_mov_b32_e32 v1, 0
	v_mov_b32_e32 v2, 0
	s_or_b32 exec_lo, exec_lo, s12
                                        ; implicit-def: $vgpr8
	s_and_saveexec_b32 s12, s4
	s_cbranch_execnz .LBB400_74
.LBB400_79:
	s_or_b32 exec_lo, exec_lo, s12
                                        ; implicit-def: $vgpr2
	s_and_saveexec_b32 s12, s5
	s_cbranch_execnz .LBB400_82
; %bb.80:
	s_or_b32 exec_lo, exec_lo, s12
                                        ; implicit-def: $vgpr11
	s_and_saveexec_b32 s12, s6
	s_cbranch_execnz .LBB400_87
.LBB400_81:
	s_or_b32 exec_lo, exec_lo, s12
                                        ; implicit-def: $vgpr9
	s_and_saveexec_b32 s12, s14
	s_cbranch_execnz .LBB400_92
	s_branch .LBB400_97
.LBB400_82:
	s_and_not1_b32 vcc_lo, exec_lo, s8
	s_cbranch_vccnz .LBB400_86
; %bb.83:
	s_waitcnt vmcnt(0) lgkmcnt(0)
	v_lshrrev_b32_e32 v11, 16, v3
	v_dual_mov_b32 v2, 0 :: v_dual_mov_b32 v9, s18
	v_dual_mov_b32 v3, 0 :: v_dual_mov_b32 v10, s19
	s_mov_b32 s13, 0
	.p2align	6
.LBB400_84:                             ; =>This Inner Loop Header: Depth=1
	s_delay_alu instid0(VALU_DEP_2) | instskip(NEXT) | instid1(VALU_DEP_2)
	v_sub_co_u32 v12, vcc_lo, v9, v2
	v_sub_co_ci_u32_e32 v13, vcc_lo, v10, v3, vcc_lo
	s_delay_alu instid0(VALU_DEP_1) | instskip(SKIP_1) | instid1(VALU_DEP_2)
	v_lshrrev_b64 v[14:15], 1, v[12:13]
	v_lshrrev_b64 v[12:13], 6, v[12:13]
	v_add_co_u32 v14, vcc_lo, v14, v2
	s_delay_alu instid0(VALU_DEP_3) | instskip(NEXT) | instid1(VALU_DEP_2)
	v_add_co_ci_u32_e32 v15, vcc_lo, v15, v3, vcc_lo
	v_add_co_u32 v12, vcc_lo, v14, v12
	s_delay_alu instid0(VALU_DEP_2) | instskip(NEXT) | instid1(VALU_DEP_1)
	v_add_co_ci_u32_e32 v13, vcc_lo, v15, v13, vcc_lo
	v_lshlrev_b64 v[14:15], 1, v[12:13]
	s_delay_alu instid0(VALU_DEP_1) | instskip(NEXT) | instid1(VALU_DEP_2)
	v_add_co_u32 v14, vcc_lo, s16, v14
	v_add_co_ci_u32_e32 v15, vcc_lo, s17, v15, vcc_lo
	global_load_u16 v14, v[14:15], off
	v_add_co_u32 v15, vcc_lo, v12, 1
	v_add_co_ci_u32_e32 v16, vcc_lo, 0, v13, vcc_lo
	s_waitcnt vmcnt(0)
	v_cmp_gt_i16_e32 vcc_lo, v14, v11
	v_dual_cndmask_b32 v10, v10, v13 :: v_dual_cndmask_b32 v9, v9, v12
	s_delay_alu instid0(VALU_DEP_3) | instskip(NEXT) | instid1(VALU_DEP_1)
	v_dual_cndmask_b32 v3, v16, v3 :: v_dual_cndmask_b32 v2, v15, v2
	v_cmp_ge_u64_e32 vcc_lo, v[2:3], v[9:10]
	s_or_b32 s13, vcc_lo, s13
	s_delay_alu instid0(SALU_CYCLE_1)
	s_and_not1_b32 exec_lo, exec_lo, s13
	s_cbranch_execnz .LBB400_84
; %bb.85:
	s_or_b32 exec_lo, exec_lo, s13
	s_delay_alu instid0(SALU_CYCLE_1)
	s_or_b32 exec_lo, exec_lo, s12
                                        ; implicit-def: $vgpr11
	s_and_saveexec_b32 s12, s6
	s_cbranch_execz .LBB400_81
	s_branch .LBB400_87
.LBB400_86:
	s_waitcnt vmcnt(0) lgkmcnt(0)
	v_mov_b32_e32 v2, 0
	s_or_b32 exec_lo, exec_lo, s12
                                        ; implicit-def: $vgpr11
	s_and_saveexec_b32 s12, s6
	s_cbranch_execz .LBB400_81
.LBB400_87:
	s_and_not1_b32 vcc_lo, exec_lo, s8
	s_cbranch_vccnz .LBB400_91
; %bb.88:
	v_mov_b32_e32 v11, 0
	v_dual_mov_b32 v12, 0 :: v_dual_mov_b32 v9, s18
	v_mov_b32_e32 v10, s19
	s_mov_b32 s13, 0
	.p2align	6
.LBB400_89:                             ; =>This Inner Loop Header: Depth=1
	s_delay_alu instid0(VALU_DEP_2) | instskip(NEXT) | instid1(VALU_DEP_2)
	v_sub_co_u32 v13, vcc_lo, v9, v11
	v_sub_co_ci_u32_e32 v14, vcc_lo, v10, v12, vcc_lo
	s_delay_alu instid0(VALU_DEP_1) | instskip(SKIP_2) | instid1(VALU_DEP_2)
	v_lshrrev_b64 v[15:16], 1, v[13:14]
	v_lshrrev_b64 v[13:14], 6, v[13:14]
	s_waitcnt vmcnt(0) lgkmcnt(0)
	v_add_co_u32 v3, vcc_lo, v15, v11
	s_delay_alu instid0(VALU_DEP_3) | instskip(NEXT) | instid1(VALU_DEP_2)
	v_add_co_ci_u32_e32 v15, vcc_lo, v16, v12, vcc_lo
	v_add_co_u32 v13, vcc_lo, v3, v13
	s_delay_alu instid0(VALU_DEP_2) | instskip(NEXT) | instid1(VALU_DEP_1)
	v_add_co_ci_u32_e32 v14, vcc_lo, v15, v14, vcc_lo
	v_lshlrev_b64 v[15:16], 1, v[13:14]
	s_delay_alu instid0(VALU_DEP_1) | instskip(NEXT) | instid1(VALU_DEP_2)
	v_add_co_u32 v15, vcc_lo, s16, v15
	v_add_co_ci_u32_e32 v16, vcc_lo, s17, v16, vcc_lo
	global_load_u16 v3, v[15:16], off
	v_add_co_u32 v15, vcc_lo, v13, 1
	v_add_co_ci_u32_e32 v16, vcc_lo, 0, v14, vcc_lo
	s_waitcnt vmcnt(0)
	v_cmp_gt_i16_e32 vcc_lo, v3, v4
	v_dual_cndmask_b32 v10, v10, v14 :: v_dual_cndmask_b32 v9, v9, v13
	s_delay_alu instid0(VALU_DEP_3) | instskip(NEXT) | instid1(VALU_DEP_1)
	v_dual_cndmask_b32 v12, v16, v12 :: v_dual_cndmask_b32 v11, v15, v11
	v_cmp_ge_u64_e32 vcc_lo, v[11:12], v[9:10]
	s_or_b32 s13, vcc_lo, s13
	s_delay_alu instid0(SALU_CYCLE_1)
	s_and_not1_b32 exec_lo, exec_lo, s13
	s_cbranch_execnz .LBB400_89
; %bb.90:
	s_or_b32 exec_lo, exec_lo, s13
	s_delay_alu instid0(SALU_CYCLE_1)
	s_or_b32 exec_lo, exec_lo, s12
                                        ; implicit-def: $vgpr9
	s_and_saveexec_b32 s12, s14
	s_cbranch_execnz .LBB400_92
	s_branch .LBB400_97
.LBB400_91:
	v_mov_b32_e32 v11, 0
	s_or_b32 exec_lo, exec_lo, s12
                                        ; implicit-def: $vgpr9
	s_and_saveexec_b32 s12, s14
	s_cbranch_execz .LBB400_97
.LBB400_92:
	s_and_not1_b32 vcc_lo, exec_lo, s8
	s_cbranch_vccnz .LBB400_96
; %bb.93:
	v_mov_b32_e32 v9, 0
	s_waitcnt vmcnt(0) lgkmcnt(0)
	v_lshrrev_b32_e32 v12, 16, v4
	v_dual_mov_b32 v10, 0 :: v_dual_mov_b32 v3, s18
	v_mov_b32_e32 v4, s19
	s_mov_b32 s8, 0
	.p2align	6
.LBB400_94:                             ; =>This Inner Loop Header: Depth=1
	s_delay_alu instid0(VALU_DEP_2) | instskip(NEXT) | instid1(VALU_DEP_2)
	v_sub_co_u32 v13, vcc_lo, v3, v9
	v_sub_co_ci_u32_e32 v14, vcc_lo, v4, v10, vcc_lo
	s_delay_alu instid0(VALU_DEP_1) | instskip(SKIP_1) | instid1(VALU_DEP_2)
	v_lshrrev_b64 v[15:16], 1, v[13:14]
	v_lshrrev_b64 v[13:14], 6, v[13:14]
	v_add_co_u32 v15, vcc_lo, v15, v9
	s_delay_alu instid0(VALU_DEP_3) | instskip(NEXT) | instid1(VALU_DEP_2)
	v_add_co_ci_u32_e32 v16, vcc_lo, v16, v10, vcc_lo
	v_add_co_u32 v13, vcc_lo, v15, v13
	s_delay_alu instid0(VALU_DEP_2) | instskip(NEXT) | instid1(VALU_DEP_1)
	v_add_co_ci_u32_e32 v14, vcc_lo, v16, v14, vcc_lo
	v_lshlrev_b64 v[15:16], 1, v[13:14]
	s_delay_alu instid0(VALU_DEP_1) | instskip(NEXT) | instid1(VALU_DEP_2)
	v_add_co_u32 v15, vcc_lo, s16, v15
	v_add_co_ci_u32_e32 v16, vcc_lo, s17, v16, vcc_lo
	global_load_u16 v15, v[15:16], off
	v_add_co_u32 v16, vcc_lo, v13, 1
	v_add_co_ci_u32_e32 v17, vcc_lo, 0, v14, vcc_lo
	s_waitcnt vmcnt(0)
	v_cmp_gt_i16_e32 vcc_lo, v15, v12
	v_dual_cndmask_b32 v4, v4, v14 :: v_dual_cndmask_b32 v3, v3, v13
	s_delay_alu instid0(VALU_DEP_3) | instskip(NEXT) | instid1(VALU_DEP_1)
	v_dual_cndmask_b32 v10, v17, v10 :: v_dual_cndmask_b32 v9, v16, v9
	v_cmp_ge_u64_e32 vcc_lo, v[9:10], v[3:4]
	s_or_b32 s8, vcc_lo, s8
	s_delay_alu instid0(SALU_CYCLE_1)
	s_and_not1_b32 exec_lo, exec_lo, s8
	s_cbranch_execnz .LBB400_94
; %bb.95:
	s_or_b32 exec_lo, exec_lo, s8
	s_branch .LBB400_97
.LBB400_96:
	v_mov_b32_e32 v9, 0
.LBB400_97:
	s_or_b32 exec_lo, exec_lo, s12
	v_lshlrev_b32_e32 v0, 2, v0
	s_lshl_b64 s[10:11], s[10:11], 2
	s_delay_alu instid0(SALU_CYCLE_1) | instskip(SKIP_1) | instid1(VALU_DEP_1)
	s_add_u32 s7, s7, s10
	s_addc_u32 s8, s9, s11
	v_add_co_u32 v12, s7, s7, v0
	s_delay_alu instid0(VALU_DEP_1) | instskip(SKIP_1) | instid1(SALU_CYCLE_1)
	v_add_co_ci_u32_e64 v13, null, s8, 0, s7
	s_and_saveexec_b32 s7, s0
	s_xor_b32 s0, exec_lo, s7
	s_cbranch_execz .LBB400_99
; %bb.98:
	flat_store_b32 v[12:13], v5
.LBB400_99:
	s_or_b32 exec_lo, exec_lo, s0
	s_and_saveexec_b32 s0, s1
	s_cbranch_execnz .LBB400_110
; %bb.100:
	s_or_b32 exec_lo, exec_lo, s0
	s_and_saveexec_b32 s0, s2
	s_cbranch_execnz .LBB400_111
.LBB400_101:
	s_or_b32 exec_lo, exec_lo, s0
	s_and_saveexec_b32 s0, s3
	s_cbranch_execnz .LBB400_112
.LBB400_102:
	s_or_b32 exec_lo, exec_lo, s0
	s_and_saveexec_b32 s0, s4
	s_cbranch_execnz .LBB400_113
.LBB400_103:
	s_or_b32 exec_lo, exec_lo, s0
	s_and_saveexec_b32 s0, s5
	s_cbranch_execnz .LBB400_114
.LBB400_104:
	s_or_b32 exec_lo, exec_lo, s0
	s_and_saveexec_b32 s0, s6
	s_cbranch_execz .LBB400_106
.LBB400_105:
	v_add_co_u32 v0, vcc_lo, 0x1000, v12
	s_waitcnt vmcnt(0) lgkmcnt(0)
	v_add_co_ci_u32_e32 v1, vcc_lo, 0, v13, vcc_lo
	flat_store_b32 v[0:1], v11 offset:2048
.LBB400_106:
	s_or_b32 exec_lo, exec_lo, s0
.LBB400_107:
	s_and_saveexec_b32 s0, s14
	s_cbranch_execnz .LBB400_109
; %bb.108:
	s_endpgm
.LBB400_109:
	v_add_co_u32 v0, vcc_lo, 0x1000, v12
	s_waitcnt vmcnt(0) lgkmcnt(0)
	v_add_co_ci_u32_e32 v1, vcc_lo, 0, v13, vcc_lo
	flat_store_b32 v[0:1], v9 offset:3072
	s_endpgm
.LBB400_110:
	flat_store_b32 v[12:13], v6 offset:1024
	s_or_b32 exec_lo, exec_lo, s0
	s_and_saveexec_b32 s0, s2
	s_cbranch_execz .LBB400_101
.LBB400_111:
	flat_store_b32 v[12:13], v7 offset:2048
	s_or_b32 exec_lo, exec_lo, s0
	s_and_saveexec_b32 s0, s3
	s_cbranch_execz .LBB400_102
.LBB400_112:
	s_waitcnt vmcnt(0) lgkmcnt(0)
	flat_store_b32 v[12:13], v1 offset:3072
	s_or_b32 exec_lo, exec_lo, s0
	s_and_saveexec_b32 s0, s4
	s_cbranch_execz .LBB400_103
.LBB400_113:
	v_add_co_u32 v0, vcc_lo, 0x1000, v12
	s_waitcnt vmcnt(0) lgkmcnt(0)
	v_add_co_ci_u32_e32 v1, vcc_lo, 0, v13, vcc_lo
	flat_store_b32 v[0:1], v8
	s_or_b32 exec_lo, exec_lo, s0
	s_and_saveexec_b32 s0, s5
	s_cbranch_execz .LBB400_104
.LBB400_114:
	v_add_co_u32 v0, vcc_lo, 0x1000, v12
	s_waitcnt vmcnt(0) lgkmcnt(0)
	v_add_co_ci_u32_e32 v1, vcc_lo, 0, v13, vcc_lo
	flat_store_b32 v[0:1], v2 offset:1024
	s_or_b32 exec_lo, exec_lo, s0
	s_and_saveexec_b32 s0, s6
	s_cbranch_execnz .LBB400_105
	s_branch .LBB400_106
	.section	.rodata,"a",@progbits
	.p2align	6, 0x0
	.amdhsa_kernel _ZN7rocprim17ROCPRIM_400000_NS6detail17trampoline_kernelINS0_14default_configENS1_27upper_bound_config_selectorIsiEEZNS1_14transform_implILb0ES3_S5_N6thrust23THRUST_200600_302600_NS6detail15normal_iteratorINS8_10device_ptrIsEEEENSA_INSB_IiEEEEZNS1_13binary_searchIS3_S5_SD_SD_SF_NS1_21upper_bound_search_opENS9_16wrapped_functionINS0_4lessIvEEbEEEE10hipError_tPvRmT1_T2_T3_mmT4_T5_P12ihipStream_tbEUlRKsE_EESM_SQ_SR_mSS_SV_bEUlT_E_NS1_11comp_targetILNS1_3genE9ELNS1_11target_archE1100ELNS1_3gpuE3ELNS1_3repE0EEENS1_30default_config_static_selectorELNS0_4arch9wavefront6targetE0EEEvSP_
		.amdhsa_group_segment_fixed_size 0
		.amdhsa_private_segment_fixed_size 0
		.amdhsa_kernarg_size 312
		.amdhsa_user_sgpr_count 15
		.amdhsa_user_sgpr_dispatch_ptr 0
		.amdhsa_user_sgpr_queue_ptr 0
		.amdhsa_user_sgpr_kernarg_segment_ptr 1
		.amdhsa_user_sgpr_dispatch_id 0
		.amdhsa_user_sgpr_private_segment_size 0
		.amdhsa_wavefront_size32 1
		.amdhsa_uses_dynamic_stack 0
		.amdhsa_enable_private_segment 0
		.amdhsa_system_sgpr_workgroup_id_x 1
		.amdhsa_system_sgpr_workgroup_id_y 0
		.amdhsa_system_sgpr_workgroup_id_z 0
		.amdhsa_system_sgpr_workgroup_info 0
		.amdhsa_system_vgpr_workitem_id 0
		.amdhsa_next_free_vgpr 19
		.amdhsa_next_free_sgpr 20
		.amdhsa_reserve_vcc 1
		.amdhsa_float_round_mode_32 0
		.amdhsa_float_round_mode_16_64 0
		.amdhsa_float_denorm_mode_32 3
		.amdhsa_float_denorm_mode_16_64 3
		.amdhsa_dx10_clamp 1
		.amdhsa_ieee_mode 1
		.amdhsa_fp16_overflow 0
		.amdhsa_workgroup_processor_mode 1
		.amdhsa_memory_ordered 1
		.amdhsa_forward_progress 0
		.amdhsa_shared_vgpr_count 0
		.amdhsa_exception_fp_ieee_invalid_op 0
		.amdhsa_exception_fp_denorm_src 0
		.amdhsa_exception_fp_ieee_div_zero 0
		.amdhsa_exception_fp_ieee_overflow 0
		.amdhsa_exception_fp_ieee_underflow 0
		.amdhsa_exception_fp_ieee_inexact 0
		.amdhsa_exception_int_div_zero 0
	.end_amdhsa_kernel
	.section	.text._ZN7rocprim17ROCPRIM_400000_NS6detail17trampoline_kernelINS0_14default_configENS1_27upper_bound_config_selectorIsiEEZNS1_14transform_implILb0ES3_S5_N6thrust23THRUST_200600_302600_NS6detail15normal_iteratorINS8_10device_ptrIsEEEENSA_INSB_IiEEEEZNS1_13binary_searchIS3_S5_SD_SD_SF_NS1_21upper_bound_search_opENS9_16wrapped_functionINS0_4lessIvEEbEEEE10hipError_tPvRmT1_T2_T3_mmT4_T5_P12ihipStream_tbEUlRKsE_EESM_SQ_SR_mSS_SV_bEUlT_E_NS1_11comp_targetILNS1_3genE9ELNS1_11target_archE1100ELNS1_3gpuE3ELNS1_3repE0EEENS1_30default_config_static_selectorELNS0_4arch9wavefront6targetE0EEEvSP_,"axG",@progbits,_ZN7rocprim17ROCPRIM_400000_NS6detail17trampoline_kernelINS0_14default_configENS1_27upper_bound_config_selectorIsiEEZNS1_14transform_implILb0ES3_S5_N6thrust23THRUST_200600_302600_NS6detail15normal_iteratorINS8_10device_ptrIsEEEENSA_INSB_IiEEEEZNS1_13binary_searchIS3_S5_SD_SD_SF_NS1_21upper_bound_search_opENS9_16wrapped_functionINS0_4lessIvEEbEEEE10hipError_tPvRmT1_T2_T3_mmT4_T5_P12ihipStream_tbEUlRKsE_EESM_SQ_SR_mSS_SV_bEUlT_E_NS1_11comp_targetILNS1_3genE9ELNS1_11target_archE1100ELNS1_3gpuE3ELNS1_3repE0EEENS1_30default_config_static_selectorELNS0_4arch9wavefront6targetE0EEEvSP_,comdat
.Lfunc_end400:
	.size	_ZN7rocprim17ROCPRIM_400000_NS6detail17trampoline_kernelINS0_14default_configENS1_27upper_bound_config_selectorIsiEEZNS1_14transform_implILb0ES3_S5_N6thrust23THRUST_200600_302600_NS6detail15normal_iteratorINS8_10device_ptrIsEEEENSA_INSB_IiEEEEZNS1_13binary_searchIS3_S5_SD_SD_SF_NS1_21upper_bound_search_opENS9_16wrapped_functionINS0_4lessIvEEbEEEE10hipError_tPvRmT1_T2_T3_mmT4_T5_P12ihipStream_tbEUlRKsE_EESM_SQ_SR_mSS_SV_bEUlT_E_NS1_11comp_targetILNS1_3genE9ELNS1_11target_archE1100ELNS1_3gpuE3ELNS1_3repE0EEENS1_30default_config_static_selectorELNS0_4arch9wavefront6targetE0EEEvSP_, .Lfunc_end400-_ZN7rocprim17ROCPRIM_400000_NS6detail17trampoline_kernelINS0_14default_configENS1_27upper_bound_config_selectorIsiEEZNS1_14transform_implILb0ES3_S5_N6thrust23THRUST_200600_302600_NS6detail15normal_iteratorINS8_10device_ptrIsEEEENSA_INSB_IiEEEEZNS1_13binary_searchIS3_S5_SD_SD_SF_NS1_21upper_bound_search_opENS9_16wrapped_functionINS0_4lessIvEEbEEEE10hipError_tPvRmT1_T2_T3_mmT4_T5_P12ihipStream_tbEUlRKsE_EESM_SQ_SR_mSS_SV_bEUlT_E_NS1_11comp_targetILNS1_3genE9ELNS1_11target_archE1100ELNS1_3gpuE3ELNS1_3repE0EEENS1_30default_config_static_selectorELNS0_4arch9wavefront6targetE0EEEvSP_
                                        ; -- End function
	.section	.AMDGPU.csdata,"",@progbits
; Kernel info:
; codeLenInByte = 4756
; NumSgprs: 22
; NumVgprs: 19
; ScratchSize: 0
; MemoryBound: 0
; FloatMode: 240
; IeeeMode: 1
; LDSByteSize: 0 bytes/workgroup (compile time only)
; SGPRBlocks: 2
; VGPRBlocks: 2
; NumSGPRsForWavesPerEU: 22
; NumVGPRsForWavesPerEU: 19
; Occupancy: 16
; WaveLimiterHint : 1
; COMPUTE_PGM_RSRC2:SCRATCH_EN: 0
; COMPUTE_PGM_RSRC2:USER_SGPR: 15
; COMPUTE_PGM_RSRC2:TRAP_HANDLER: 0
; COMPUTE_PGM_RSRC2:TGID_X_EN: 1
; COMPUTE_PGM_RSRC2:TGID_Y_EN: 0
; COMPUTE_PGM_RSRC2:TGID_Z_EN: 0
; COMPUTE_PGM_RSRC2:TIDIG_COMP_CNT: 0
	.section	.text._ZN7rocprim17ROCPRIM_400000_NS6detail17trampoline_kernelINS0_14default_configENS1_27upper_bound_config_selectorIsiEEZNS1_14transform_implILb0ES3_S5_N6thrust23THRUST_200600_302600_NS6detail15normal_iteratorINS8_10device_ptrIsEEEENSA_INSB_IiEEEEZNS1_13binary_searchIS3_S5_SD_SD_SF_NS1_21upper_bound_search_opENS9_16wrapped_functionINS0_4lessIvEEbEEEE10hipError_tPvRmT1_T2_T3_mmT4_T5_P12ihipStream_tbEUlRKsE_EESM_SQ_SR_mSS_SV_bEUlT_E_NS1_11comp_targetILNS1_3genE8ELNS1_11target_archE1030ELNS1_3gpuE2ELNS1_3repE0EEENS1_30default_config_static_selectorELNS0_4arch9wavefront6targetE0EEEvSP_,"axG",@progbits,_ZN7rocprim17ROCPRIM_400000_NS6detail17trampoline_kernelINS0_14default_configENS1_27upper_bound_config_selectorIsiEEZNS1_14transform_implILb0ES3_S5_N6thrust23THRUST_200600_302600_NS6detail15normal_iteratorINS8_10device_ptrIsEEEENSA_INSB_IiEEEEZNS1_13binary_searchIS3_S5_SD_SD_SF_NS1_21upper_bound_search_opENS9_16wrapped_functionINS0_4lessIvEEbEEEE10hipError_tPvRmT1_T2_T3_mmT4_T5_P12ihipStream_tbEUlRKsE_EESM_SQ_SR_mSS_SV_bEUlT_E_NS1_11comp_targetILNS1_3genE8ELNS1_11target_archE1030ELNS1_3gpuE2ELNS1_3repE0EEENS1_30default_config_static_selectorELNS0_4arch9wavefront6targetE0EEEvSP_,comdat
	.protected	_ZN7rocprim17ROCPRIM_400000_NS6detail17trampoline_kernelINS0_14default_configENS1_27upper_bound_config_selectorIsiEEZNS1_14transform_implILb0ES3_S5_N6thrust23THRUST_200600_302600_NS6detail15normal_iteratorINS8_10device_ptrIsEEEENSA_INSB_IiEEEEZNS1_13binary_searchIS3_S5_SD_SD_SF_NS1_21upper_bound_search_opENS9_16wrapped_functionINS0_4lessIvEEbEEEE10hipError_tPvRmT1_T2_T3_mmT4_T5_P12ihipStream_tbEUlRKsE_EESM_SQ_SR_mSS_SV_bEUlT_E_NS1_11comp_targetILNS1_3genE8ELNS1_11target_archE1030ELNS1_3gpuE2ELNS1_3repE0EEENS1_30default_config_static_selectorELNS0_4arch9wavefront6targetE0EEEvSP_ ; -- Begin function _ZN7rocprim17ROCPRIM_400000_NS6detail17trampoline_kernelINS0_14default_configENS1_27upper_bound_config_selectorIsiEEZNS1_14transform_implILb0ES3_S5_N6thrust23THRUST_200600_302600_NS6detail15normal_iteratorINS8_10device_ptrIsEEEENSA_INSB_IiEEEEZNS1_13binary_searchIS3_S5_SD_SD_SF_NS1_21upper_bound_search_opENS9_16wrapped_functionINS0_4lessIvEEbEEEE10hipError_tPvRmT1_T2_T3_mmT4_T5_P12ihipStream_tbEUlRKsE_EESM_SQ_SR_mSS_SV_bEUlT_E_NS1_11comp_targetILNS1_3genE8ELNS1_11target_archE1030ELNS1_3gpuE2ELNS1_3repE0EEENS1_30default_config_static_selectorELNS0_4arch9wavefront6targetE0EEEvSP_
	.globl	_ZN7rocprim17ROCPRIM_400000_NS6detail17trampoline_kernelINS0_14default_configENS1_27upper_bound_config_selectorIsiEEZNS1_14transform_implILb0ES3_S5_N6thrust23THRUST_200600_302600_NS6detail15normal_iteratorINS8_10device_ptrIsEEEENSA_INSB_IiEEEEZNS1_13binary_searchIS3_S5_SD_SD_SF_NS1_21upper_bound_search_opENS9_16wrapped_functionINS0_4lessIvEEbEEEE10hipError_tPvRmT1_T2_T3_mmT4_T5_P12ihipStream_tbEUlRKsE_EESM_SQ_SR_mSS_SV_bEUlT_E_NS1_11comp_targetILNS1_3genE8ELNS1_11target_archE1030ELNS1_3gpuE2ELNS1_3repE0EEENS1_30default_config_static_selectorELNS0_4arch9wavefront6targetE0EEEvSP_
	.p2align	8
	.type	_ZN7rocprim17ROCPRIM_400000_NS6detail17trampoline_kernelINS0_14default_configENS1_27upper_bound_config_selectorIsiEEZNS1_14transform_implILb0ES3_S5_N6thrust23THRUST_200600_302600_NS6detail15normal_iteratorINS8_10device_ptrIsEEEENSA_INSB_IiEEEEZNS1_13binary_searchIS3_S5_SD_SD_SF_NS1_21upper_bound_search_opENS9_16wrapped_functionINS0_4lessIvEEbEEEE10hipError_tPvRmT1_T2_T3_mmT4_T5_P12ihipStream_tbEUlRKsE_EESM_SQ_SR_mSS_SV_bEUlT_E_NS1_11comp_targetILNS1_3genE8ELNS1_11target_archE1030ELNS1_3gpuE2ELNS1_3repE0EEENS1_30default_config_static_selectorELNS0_4arch9wavefront6targetE0EEEvSP_,@function
_ZN7rocprim17ROCPRIM_400000_NS6detail17trampoline_kernelINS0_14default_configENS1_27upper_bound_config_selectorIsiEEZNS1_14transform_implILb0ES3_S5_N6thrust23THRUST_200600_302600_NS6detail15normal_iteratorINS8_10device_ptrIsEEEENSA_INSB_IiEEEEZNS1_13binary_searchIS3_S5_SD_SD_SF_NS1_21upper_bound_search_opENS9_16wrapped_functionINS0_4lessIvEEbEEEE10hipError_tPvRmT1_T2_T3_mmT4_T5_P12ihipStream_tbEUlRKsE_EESM_SQ_SR_mSS_SV_bEUlT_E_NS1_11comp_targetILNS1_3genE8ELNS1_11target_archE1030ELNS1_3gpuE2ELNS1_3repE0EEENS1_30default_config_static_selectorELNS0_4arch9wavefront6targetE0EEEvSP_: ; @_ZN7rocprim17ROCPRIM_400000_NS6detail17trampoline_kernelINS0_14default_configENS1_27upper_bound_config_selectorIsiEEZNS1_14transform_implILb0ES3_S5_N6thrust23THRUST_200600_302600_NS6detail15normal_iteratorINS8_10device_ptrIsEEEENSA_INSB_IiEEEEZNS1_13binary_searchIS3_S5_SD_SD_SF_NS1_21upper_bound_search_opENS9_16wrapped_functionINS0_4lessIvEEbEEEE10hipError_tPvRmT1_T2_T3_mmT4_T5_P12ihipStream_tbEUlRKsE_EESM_SQ_SR_mSS_SV_bEUlT_E_NS1_11comp_targetILNS1_3genE8ELNS1_11target_archE1030ELNS1_3gpuE2ELNS1_3repE0EEENS1_30default_config_static_selectorELNS0_4arch9wavefront6targetE0EEEvSP_
; %bb.0:
	.section	.rodata,"a",@progbits
	.p2align	6, 0x0
	.amdhsa_kernel _ZN7rocprim17ROCPRIM_400000_NS6detail17trampoline_kernelINS0_14default_configENS1_27upper_bound_config_selectorIsiEEZNS1_14transform_implILb0ES3_S5_N6thrust23THRUST_200600_302600_NS6detail15normal_iteratorINS8_10device_ptrIsEEEENSA_INSB_IiEEEEZNS1_13binary_searchIS3_S5_SD_SD_SF_NS1_21upper_bound_search_opENS9_16wrapped_functionINS0_4lessIvEEbEEEE10hipError_tPvRmT1_T2_T3_mmT4_T5_P12ihipStream_tbEUlRKsE_EESM_SQ_SR_mSS_SV_bEUlT_E_NS1_11comp_targetILNS1_3genE8ELNS1_11target_archE1030ELNS1_3gpuE2ELNS1_3repE0EEENS1_30default_config_static_selectorELNS0_4arch9wavefront6targetE0EEEvSP_
		.amdhsa_group_segment_fixed_size 0
		.amdhsa_private_segment_fixed_size 0
		.amdhsa_kernarg_size 56
		.amdhsa_user_sgpr_count 15
		.amdhsa_user_sgpr_dispatch_ptr 0
		.amdhsa_user_sgpr_queue_ptr 0
		.amdhsa_user_sgpr_kernarg_segment_ptr 1
		.amdhsa_user_sgpr_dispatch_id 0
		.amdhsa_user_sgpr_private_segment_size 0
		.amdhsa_wavefront_size32 1
		.amdhsa_uses_dynamic_stack 0
		.amdhsa_enable_private_segment 0
		.amdhsa_system_sgpr_workgroup_id_x 1
		.amdhsa_system_sgpr_workgroup_id_y 0
		.amdhsa_system_sgpr_workgroup_id_z 0
		.amdhsa_system_sgpr_workgroup_info 0
		.amdhsa_system_vgpr_workitem_id 0
		.amdhsa_next_free_vgpr 1
		.amdhsa_next_free_sgpr 1
		.amdhsa_reserve_vcc 0
		.amdhsa_float_round_mode_32 0
		.amdhsa_float_round_mode_16_64 0
		.amdhsa_float_denorm_mode_32 3
		.amdhsa_float_denorm_mode_16_64 3
		.amdhsa_dx10_clamp 1
		.amdhsa_ieee_mode 1
		.amdhsa_fp16_overflow 0
		.amdhsa_workgroup_processor_mode 1
		.amdhsa_memory_ordered 1
		.amdhsa_forward_progress 0
		.amdhsa_shared_vgpr_count 0
		.amdhsa_exception_fp_ieee_invalid_op 0
		.amdhsa_exception_fp_denorm_src 0
		.amdhsa_exception_fp_ieee_div_zero 0
		.amdhsa_exception_fp_ieee_overflow 0
		.amdhsa_exception_fp_ieee_underflow 0
		.amdhsa_exception_fp_ieee_inexact 0
		.amdhsa_exception_int_div_zero 0
	.end_amdhsa_kernel
	.section	.text._ZN7rocprim17ROCPRIM_400000_NS6detail17trampoline_kernelINS0_14default_configENS1_27upper_bound_config_selectorIsiEEZNS1_14transform_implILb0ES3_S5_N6thrust23THRUST_200600_302600_NS6detail15normal_iteratorINS8_10device_ptrIsEEEENSA_INSB_IiEEEEZNS1_13binary_searchIS3_S5_SD_SD_SF_NS1_21upper_bound_search_opENS9_16wrapped_functionINS0_4lessIvEEbEEEE10hipError_tPvRmT1_T2_T3_mmT4_T5_P12ihipStream_tbEUlRKsE_EESM_SQ_SR_mSS_SV_bEUlT_E_NS1_11comp_targetILNS1_3genE8ELNS1_11target_archE1030ELNS1_3gpuE2ELNS1_3repE0EEENS1_30default_config_static_selectorELNS0_4arch9wavefront6targetE0EEEvSP_,"axG",@progbits,_ZN7rocprim17ROCPRIM_400000_NS6detail17trampoline_kernelINS0_14default_configENS1_27upper_bound_config_selectorIsiEEZNS1_14transform_implILb0ES3_S5_N6thrust23THRUST_200600_302600_NS6detail15normal_iteratorINS8_10device_ptrIsEEEENSA_INSB_IiEEEEZNS1_13binary_searchIS3_S5_SD_SD_SF_NS1_21upper_bound_search_opENS9_16wrapped_functionINS0_4lessIvEEbEEEE10hipError_tPvRmT1_T2_T3_mmT4_T5_P12ihipStream_tbEUlRKsE_EESM_SQ_SR_mSS_SV_bEUlT_E_NS1_11comp_targetILNS1_3genE8ELNS1_11target_archE1030ELNS1_3gpuE2ELNS1_3repE0EEENS1_30default_config_static_selectorELNS0_4arch9wavefront6targetE0EEEvSP_,comdat
.Lfunc_end401:
	.size	_ZN7rocprim17ROCPRIM_400000_NS6detail17trampoline_kernelINS0_14default_configENS1_27upper_bound_config_selectorIsiEEZNS1_14transform_implILb0ES3_S5_N6thrust23THRUST_200600_302600_NS6detail15normal_iteratorINS8_10device_ptrIsEEEENSA_INSB_IiEEEEZNS1_13binary_searchIS3_S5_SD_SD_SF_NS1_21upper_bound_search_opENS9_16wrapped_functionINS0_4lessIvEEbEEEE10hipError_tPvRmT1_T2_T3_mmT4_T5_P12ihipStream_tbEUlRKsE_EESM_SQ_SR_mSS_SV_bEUlT_E_NS1_11comp_targetILNS1_3genE8ELNS1_11target_archE1030ELNS1_3gpuE2ELNS1_3repE0EEENS1_30default_config_static_selectorELNS0_4arch9wavefront6targetE0EEEvSP_, .Lfunc_end401-_ZN7rocprim17ROCPRIM_400000_NS6detail17trampoline_kernelINS0_14default_configENS1_27upper_bound_config_selectorIsiEEZNS1_14transform_implILb0ES3_S5_N6thrust23THRUST_200600_302600_NS6detail15normal_iteratorINS8_10device_ptrIsEEEENSA_INSB_IiEEEEZNS1_13binary_searchIS3_S5_SD_SD_SF_NS1_21upper_bound_search_opENS9_16wrapped_functionINS0_4lessIvEEbEEEE10hipError_tPvRmT1_T2_T3_mmT4_T5_P12ihipStream_tbEUlRKsE_EESM_SQ_SR_mSS_SV_bEUlT_E_NS1_11comp_targetILNS1_3genE8ELNS1_11target_archE1030ELNS1_3gpuE2ELNS1_3repE0EEENS1_30default_config_static_selectorELNS0_4arch9wavefront6targetE0EEEvSP_
                                        ; -- End function
	.section	.AMDGPU.csdata,"",@progbits
; Kernel info:
; codeLenInByte = 0
; NumSgprs: 0
; NumVgprs: 0
; ScratchSize: 0
; MemoryBound: 0
; FloatMode: 240
; IeeeMode: 1
; LDSByteSize: 0 bytes/workgroup (compile time only)
; SGPRBlocks: 0
; VGPRBlocks: 0
; NumSGPRsForWavesPerEU: 1
; NumVGPRsForWavesPerEU: 1
; Occupancy: 16
; WaveLimiterHint : 0
; COMPUTE_PGM_RSRC2:SCRATCH_EN: 0
; COMPUTE_PGM_RSRC2:USER_SGPR: 15
; COMPUTE_PGM_RSRC2:TRAP_HANDLER: 0
; COMPUTE_PGM_RSRC2:TGID_X_EN: 1
; COMPUTE_PGM_RSRC2:TGID_Y_EN: 0
; COMPUTE_PGM_RSRC2:TGID_Z_EN: 0
; COMPUTE_PGM_RSRC2:TIDIG_COMP_CNT: 0
	.section	.text._ZN7rocprim17ROCPRIM_400000_NS6detail17trampoline_kernelINS0_14default_configENS1_29binary_search_config_selectorIdbEEZNS1_14transform_implILb0ES3_S5_N6thrust23THRUST_200600_302600_NS6detail15normal_iteratorINS8_10device_ptrIdEEEENSA_INSB_IbEEEEZNS1_13binary_searchIS3_S5_SD_SD_SF_NS1_16binary_search_opENS9_16wrapped_functionINS0_4lessIvEEbEEEE10hipError_tPvRmT1_T2_T3_mmT4_T5_P12ihipStream_tbEUlRKdE_EESM_SQ_SR_mSS_SV_bEUlT_E_NS1_11comp_targetILNS1_3genE0ELNS1_11target_archE4294967295ELNS1_3gpuE0ELNS1_3repE0EEENS1_30default_config_static_selectorELNS0_4arch9wavefront6targetE0EEEvSP_,"axG",@progbits,_ZN7rocprim17ROCPRIM_400000_NS6detail17trampoline_kernelINS0_14default_configENS1_29binary_search_config_selectorIdbEEZNS1_14transform_implILb0ES3_S5_N6thrust23THRUST_200600_302600_NS6detail15normal_iteratorINS8_10device_ptrIdEEEENSA_INSB_IbEEEEZNS1_13binary_searchIS3_S5_SD_SD_SF_NS1_16binary_search_opENS9_16wrapped_functionINS0_4lessIvEEbEEEE10hipError_tPvRmT1_T2_T3_mmT4_T5_P12ihipStream_tbEUlRKdE_EESM_SQ_SR_mSS_SV_bEUlT_E_NS1_11comp_targetILNS1_3genE0ELNS1_11target_archE4294967295ELNS1_3gpuE0ELNS1_3repE0EEENS1_30default_config_static_selectorELNS0_4arch9wavefront6targetE0EEEvSP_,comdat
	.protected	_ZN7rocprim17ROCPRIM_400000_NS6detail17trampoline_kernelINS0_14default_configENS1_29binary_search_config_selectorIdbEEZNS1_14transform_implILb0ES3_S5_N6thrust23THRUST_200600_302600_NS6detail15normal_iteratorINS8_10device_ptrIdEEEENSA_INSB_IbEEEEZNS1_13binary_searchIS3_S5_SD_SD_SF_NS1_16binary_search_opENS9_16wrapped_functionINS0_4lessIvEEbEEEE10hipError_tPvRmT1_T2_T3_mmT4_T5_P12ihipStream_tbEUlRKdE_EESM_SQ_SR_mSS_SV_bEUlT_E_NS1_11comp_targetILNS1_3genE0ELNS1_11target_archE4294967295ELNS1_3gpuE0ELNS1_3repE0EEENS1_30default_config_static_selectorELNS0_4arch9wavefront6targetE0EEEvSP_ ; -- Begin function _ZN7rocprim17ROCPRIM_400000_NS6detail17trampoline_kernelINS0_14default_configENS1_29binary_search_config_selectorIdbEEZNS1_14transform_implILb0ES3_S5_N6thrust23THRUST_200600_302600_NS6detail15normal_iteratorINS8_10device_ptrIdEEEENSA_INSB_IbEEEEZNS1_13binary_searchIS3_S5_SD_SD_SF_NS1_16binary_search_opENS9_16wrapped_functionINS0_4lessIvEEbEEEE10hipError_tPvRmT1_T2_T3_mmT4_T5_P12ihipStream_tbEUlRKdE_EESM_SQ_SR_mSS_SV_bEUlT_E_NS1_11comp_targetILNS1_3genE0ELNS1_11target_archE4294967295ELNS1_3gpuE0ELNS1_3repE0EEENS1_30default_config_static_selectorELNS0_4arch9wavefront6targetE0EEEvSP_
	.globl	_ZN7rocprim17ROCPRIM_400000_NS6detail17trampoline_kernelINS0_14default_configENS1_29binary_search_config_selectorIdbEEZNS1_14transform_implILb0ES3_S5_N6thrust23THRUST_200600_302600_NS6detail15normal_iteratorINS8_10device_ptrIdEEEENSA_INSB_IbEEEEZNS1_13binary_searchIS3_S5_SD_SD_SF_NS1_16binary_search_opENS9_16wrapped_functionINS0_4lessIvEEbEEEE10hipError_tPvRmT1_T2_T3_mmT4_T5_P12ihipStream_tbEUlRKdE_EESM_SQ_SR_mSS_SV_bEUlT_E_NS1_11comp_targetILNS1_3genE0ELNS1_11target_archE4294967295ELNS1_3gpuE0ELNS1_3repE0EEENS1_30default_config_static_selectorELNS0_4arch9wavefront6targetE0EEEvSP_
	.p2align	8
	.type	_ZN7rocprim17ROCPRIM_400000_NS6detail17trampoline_kernelINS0_14default_configENS1_29binary_search_config_selectorIdbEEZNS1_14transform_implILb0ES3_S5_N6thrust23THRUST_200600_302600_NS6detail15normal_iteratorINS8_10device_ptrIdEEEENSA_INSB_IbEEEEZNS1_13binary_searchIS3_S5_SD_SD_SF_NS1_16binary_search_opENS9_16wrapped_functionINS0_4lessIvEEbEEEE10hipError_tPvRmT1_T2_T3_mmT4_T5_P12ihipStream_tbEUlRKdE_EESM_SQ_SR_mSS_SV_bEUlT_E_NS1_11comp_targetILNS1_3genE0ELNS1_11target_archE4294967295ELNS1_3gpuE0ELNS1_3repE0EEENS1_30default_config_static_selectorELNS0_4arch9wavefront6targetE0EEEvSP_,@function
_ZN7rocprim17ROCPRIM_400000_NS6detail17trampoline_kernelINS0_14default_configENS1_29binary_search_config_selectorIdbEEZNS1_14transform_implILb0ES3_S5_N6thrust23THRUST_200600_302600_NS6detail15normal_iteratorINS8_10device_ptrIdEEEENSA_INSB_IbEEEEZNS1_13binary_searchIS3_S5_SD_SD_SF_NS1_16binary_search_opENS9_16wrapped_functionINS0_4lessIvEEbEEEE10hipError_tPvRmT1_T2_T3_mmT4_T5_P12ihipStream_tbEUlRKdE_EESM_SQ_SR_mSS_SV_bEUlT_E_NS1_11comp_targetILNS1_3genE0ELNS1_11target_archE4294967295ELNS1_3gpuE0ELNS1_3repE0EEENS1_30default_config_static_selectorELNS0_4arch9wavefront6targetE0EEEvSP_: ; @_ZN7rocprim17ROCPRIM_400000_NS6detail17trampoline_kernelINS0_14default_configENS1_29binary_search_config_selectorIdbEEZNS1_14transform_implILb0ES3_S5_N6thrust23THRUST_200600_302600_NS6detail15normal_iteratorINS8_10device_ptrIdEEEENSA_INSB_IbEEEEZNS1_13binary_searchIS3_S5_SD_SD_SF_NS1_16binary_search_opENS9_16wrapped_functionINS0_4lessIvEEbEEEE10hipError_tPvRmT1_T2_T3_mmT4_T5_P12ihipStream_tbEUlRKdE_EESM_SQ_SR_mSS_SV_bEUlT_E_NS1_11comp_targetILNS1_3genE0ELNS1_11target_archE4294967295ELNS1_3gpuE0ELNS1_3repE0EEENS1_30default_config_static_selectorELNS0_4arch9wavefront6targetE0EEEvSP_
; %bb.0:
	.section	.rodata,"a",@progbits
	.p2align	6, 0x0
	.amdhsa_kernel _ZN7rocprim17ROCPRIM_400000_NS6detail17trampoline_kernelINS0_14default_configENS1_29binary_search_config_selectorIdbEEZNS1_14transform_implILb0ES3_S5_N6thrust23THRUST_200600_302600_NS6detail15normal_iteratorINS8_10device_ptrIdEEEENSA_INSB_IbEEEEZNS1_13binary_searchIS3_S5_SD_SD_SF_NS1_16binary_search_opENS9_16wrapped_functionINS0_4lessIvEEbEEEE10hipError_tPvRmT1_T2_T3_mmT4_T5_P12ihipStream_tbEUlRKdE_EESM_SQ_SR_mSS_SV_bEUlT_E_NS1_11comp_targetILNS1_3genE0ELNS1_11target_archE4294967295ELNS1_3gpuE0ELNS1_3repE0EEENS1_30default_config_static_selectorELNS0_4arch9wavefront6targetE0EEEvSP_
		.amdhsa_group_segment_fixed_size 0
		.amdhsa_private_segment_fixed_size 0
		.amdhsa_kernarg_size 56
		.amdhsa_user_sgpr_count 15
		.amdhsa_user_sgpr_dispatch_ptr 0
		.amdhsa_user_sgpr_queue_ptr 0
		.amdhsa_user_sgpr_kernarg_segment_ptr 1
		.amdhsa_user_sgpr_dispatch_id 0
		.amdhsa_user_sgpr_private_segment_size 0
		.amdhsa_wavefront_size32 1
		.amdhsa_uses_dynamic_stack 0
		.amdhsa_enable_private_segment 0
		.amdhsa_system_sgpr_workgroup_id_x 1
		.amdhsa_system_sgpr_workgroup_id_y 0
		.amdhsa_system_sgpr_workgroup_id_z 0
		.amdhsa_system_sgpr_workgroup_info 0
		.amdhsa_system_vgpr_workitem_id 0
		.amdhsa_next_free_vgpr 1
		.amdhsa_next_free_sgpr 1
		.amdhsa_reserve_vcc 0
		.amdhsa_float_round_mode_32 0
		.amdhsa_float_round_mode_16_64 0
		.amdhsa_float_denorm_mode_32 3
		.amdhsa_float_denorm_mode_16_64 3
		.amdhsa_dx10_clamp 1
		.amdhsa_ieee_mode 1
		.amdhsa_fp16_overflow 0
		.amdhsa_workgroup_processor_mode 1
		.amdhsa_memory_ordered 1
		.amdhsa_forward_progress 0
		.amdhsa_shared_vgpr_count 0
		.amdhsa_exception_fp_ieee_invalid_op 0
		.amdhsa_exception_fp_denorm_src 0
		.amdhsa_exception_fp_ieee_div_zero 0
		.amdhsa_exception_fp_ieee_overflow 0
		.amdhsa_exception_fp_ieee_underflow 0
		.amdhsa_exception_fp_ieee_inexact 0
		.amdhsa_exception_int_div_zero 0
	.end_amdhsa_kernel
	.section	.text._ZN7rocprim17ROCPRIM_400000_NS6detail17trampoline_kernelINS0_14default_configENS1_29binary_search_config_selectorIdbEEZNS1_14transform_implILb0ES3_S5_N6thrust23THRUST_200600_302600_NS6detail15normal_iteratorINS8_10device_ptrIdEEEENSA_INSB_IbEEEEZNS1_13binary_searchIS3_S5_SD_SD_SF_NS1_16binary_search_opENS9_16wrapped_functionINS0_4lessIvEEbEEEE10hipError_tPvRmT1_T2_T3_mmT4_T5_P12ihipStream_tbEUlRKdE_EESM_SQ_SR_mSS_SV_bEUlT_E_NS1_11comp_targetILNS1_3genE0ELNS1_11target_archE4294967295ELNS1_3gpuE0ELNS1_3repE0EEENS1_30default_config_static_selectorELNS0_4arch9wavefront6targetE0EEEvSP_,"axG",@progbits,_ZN7rocprim17ROCPRIM_400000_NS6detail17trampoline_kernelINS0_14default_configENS1_29binary_search_config_selectorIdbEEZNS1_14transform_implILb0ES3_S5_N6thrust23THRUST_200600_302600_NS6detail15normal_iteratorINS8_10device_ptrIdEEEENSA_INSB_IbEEEEZNS1_13binary_searchIS3_S5_SD_SD_SF_NS1_16binary_search_opENS9_16wrapped_functionINS0_4lessIvEEbEEEE10hipError_tPvRmT1_T2_T3_mmT4_T5_P12ihipStream_tbEUlRKdE_EESM_SQ_SR_mSS_SV_bEUlT_E_NS1_11comp_targetILNS1_3genE0ELNS1_11target_archE4294967295ELNS1_3gpuE0ELNS1_3repE0EEENS1_30default_config_static_selectorELNS0_4arch9wavefront6targetE0EEEvSP_,comdat
.Lfunc_end402:
	.size	_ZN7rocprim17ROCPRIM_400000_NS6detail17trampoline_kernelINS0_14default_configENS1_29binary_search_config_selectorIdbEEZNS1_14transform_implILb0ES3_S5_N6thrust23THRUST_200600_302600_NS6detail15normal_iteratorINS8_10device_ptrIdEEEENSA_INSB_IbEEEEZNS1_13binary_searchIS3_S5_SD_SD_SF_NS1_16binary_search_opENS9_16wrapped_functionINS0_4lessIvEEbEEEE10hipError_tPvRmT1_T2_T3_mmT4_T5_P12ihipStream_tbEUlRKdE_EESM_SQ_SR_mSS_SV_bEUlT_E_NS1_11comp_targetILNS1_3genE0ELNS1_11target_archE4294967295ELNS1_3gpuE0ELNS1_3repE0EEENS1_30default_config_static_selectorELNS0_4arch9wavefront6targetE0EEEvSP_, .Lfunc_end402-_ZN7rocprim17ROCPRIM_400000_NS6detail17trampoline_kernelINS0_14default_configENS1_29binary_search_config_selectorIdbEEZNS1_14transform_implILb0ES3_S5_N6thrust23THRUST_200600_302600_NS6detail15normal_iteratorINS8_10device_ptrIdEEEENSA_INSB_IbEEEEZNS1_13binary_searchIS3_S5_SD_SD_SF_NS1_16binary_search_opENS9_16wrapped_functionINS0_4lessIvEEbEEEE10hipError_tPvRmT1_T2_T3_mmT4_T5_P12ihipStream_tbEUlRKdE_EESM_SQ_SR_mSS_SV_bEUlT_E_NS1_11comp_targetILNS1_3genE0ELNS1_11target_archE4294967295ELNS1_3gpuE0ELNS1_3repE0EEENS1_30default_config_static_selectorELNS0_4arch9wavefront6targetE0EEEvSP_
                                        ; -- End function
	.section	.AMDGPU.csdata,"",@progbits
; Kernel info:
; codeLenInByte = 0
; NumSgprs: 0
; NumVgprs: 0
; ScratchSize: 0
; MemoryBound: 0
; FloatMode: 240
; IeeeMode: 1
; LDSByteSize: 0 bytes/workgroup (compile time only)
; SGPRBlocks: 0
; VGPRBlocks: 0
; NumSGPRsForWavesPerEU: 1
; NumVGPRsForWavesPerEU: 1
; Occupancy: 16
; WaveLimiterHint : 0
; COMPUTE_PGM_RSRC2:SCRATCH_EN: 0
; COMPUTE_PGM_RSRC2:USER_SGPR: 15
; COMPUTE_PGM_RSRC2:TRAP_HANDLER: 0
; COMPUTE_PGM_RSRC2:TGID_X_EN: 1
; COMPUTE_PGM_RSRC2:TGID_Y_EN: 0
; COMPUTE_PGM_RSRC2:TGID_Z_EN: 0
; COMPUTE_PGM_RSRC2:TIDIG_COMP_CNT: 0
	.section	.text._ZN7rocprim17ROCPRIM_400000_NS6detail17trampoline_kernelINS0_14default_configENS1_29binary_search_config_selectorIdbEEZNS1_14transform_implILb0ES3_S5_N6thrust23THRUST_200600_302600_NS6detail15normal_iteratorINS8_10device_ptrIdEEEENSA_INSB_IbEEEEZNS1_13binary_searchIS3_S5_SD_SD_SF_NS1_16binary_search_opENS9_16wrapped_functionINS0_4lessIvEEbEEEE10hipError_tPvRmT1_T2_T3_mmT4_T5_P12ihipStream_tbEUlRKdE_EESM_SQ_SR_mSS_SV_bEUlT_E_NS1_11comp_targetILNS1_3genE5ELNS1_11target_archE942ELNS1_3gpuE9ELNS1_3repE0EEENS1_30default_config_static_selectorELNS0_4arch9wavefront6targetE0EEEvSP_,"axG",@progbits,_ZN7rocprim17ROCPRIM_400000_NS6detail17trampoline_kernelINS0_14default_configENS1_29binary_search_config_selectorIdbEEZNS1_14transform_implILb0ES3_S5_N6thrust23THRUST_200600_302600_NS6detail15normal_iteratorINS8_10device_ptrIdEEEENSA_INSB_IbEEEEZNS1_13binary_searchIS3_S5_SD_SD_SF_NS1_16binary_search_opENS9_16wrapped_functionINS0_4lessIvEEbEEEE10hipError_tPvRmT1_T2_T3_mmT4_T5_P12ihipStream_tbEUlRKdE_EESM_SQ_SR_mSS_SV_bEUlT_E_NS1_11comp_targetILNS1_3genE5ELNS1_11target_archE942ELNS1_3gpuE9ELNS1_3repE0EEENS1_30default_config_static_selectorELNS0_4arch9wavefront6targetE0EEEvSP_,comdat
	.protected	_ZN7rocprim17ROCPRIM_400000_NS6detail17trampoline_kernelINS0_14default_configENS1_29binary_search_config_selectorIdbEEZNS1_14transform_implILb0ES3_S5_N6thrust23THRUST_200600_302600_NS6detail15normal_iteratorINS8_10device_ptrIdEEEENSA_INSB_IbEEEEZNS1_13binary_searchIS3_S5_SD_SD_SF_NS1_16binary_search_opENS9_16wrapped_functionINS0_4lessIvEEbEEEE10hipError_tPvRmT1_T2_T3_mmT4_T5_P12ihipStream_tbEUlRKdE_EESM_SQ_SR_mSS_SV_bEUlT_E_NS1_11comp_targetILNS1_3genE5ELNS1_11target_archE942ELNS1_3gpuE9ELNS1_3repE0EEENS1_30default_config_static_selectorELNS0_4arch9wavefront6targetE0EEEvSP_ ; -- Begin function _ZN7rocprim17ROCPRIM_400000_NS6detail17trampoline_kernelINS0_14default_configENS1_29binary_search_config_selectorIdbEEZNS1_14transform_implILb0ES3_S5_N6thrust23THRUST_200600_302600_NS6detail15normal_iteratorINS8_10device_ptrIdEEEENSA_INSB_IbEEEEZNS1_13binary_searchIS3_S5_SD_SD_SF_NS1_16binary_search_opENS9_16wrapped_functionINS0_4lessIvEEbEEEE10hipError_tPvRmT1_T2_T3_mmT4_T5_P12ihipStream_tbEUlRKdE_EESM_SQ_SR_mSS_SV_bEUlT_E_NS1_11comp_targetILNS1_3genE5ELNS1_11target_archE942ELNS1_3gpuE9ELNS1_3repE0EEENS1_30default_config_static_selectorELNS0_4arch9wavefront6targetE0EEEvSP_
	.globl	_ZN7rocprim17ROCPRIM_400000_NS6detail17trampoline_kernelINS0_14default_configENS1_29binary_search_config_selectorIdbEEZNS1_14transform_implILb0ES3_S5_N6thrust23THRUST_200600_302600_NS6detail15normal_iteratorINS8_10device_ptrIdEEEENSA_INSB_IbEEEEZNS1_13binary_searchIS3_S5_SD_SD_SF_NS1_16binary_search_opENS9_16wrapped_functionINS0_4lessIvEEbEEEE10hipError_tPvRmT1_T2_T3_mmT4_T5_P12ihipStream_tbEUlRKdE_EESM_SQ_SR_mSS_SV_bEUlT_E_NS1_11comp_targetILNS1_3genE5ELNS1_11target_archE942ELNS1_3gpuE9ELNS1_3repE0EEENS1_30default_config_static_selectorELNS0_4arch9wavefront6targetE0EEEvSP_
	.p2align	8
	.type	_ZN7rocprim17ROCPRIM_400000_NS6detail17trampoline_kernelINS0_14default_configENS1_29binary_search_config_selectorIdbEEZNS1_14transform_implILb0ES3_S5_N6thrust23THRUST_200600_302600_NS6detail15normal_iteratorINS8_10device_ptrIdEEEENSA_INSB_IbEEEEZNS1_13binary_searchIS3_S5_SD_SD_SF_NS1_16binary_search_opENS9_16wrapped_functionINS0_4lessIvEEbEEEE10hipError_tPvRmT1_T2_T3_mmT4_T5_P12ihipStream_tbEUlRKdE_EESM_SQ_SR_mSS_SV_bEUlT_E_NS1_11comp_targetILNS1_3genE5ELNS1_11target_archE942ELNS1_3gpuE9ELNS1_3repE0EEENS1_30default_config_static_selectorELNS0_4arch9wavefront6targetE0EEEvSP_,@function
_ZN7rocprim17ROCPRIM_400000_NS6detail17trampoline_kernelINS0_14default_configENS1_29binary_search_config_selectorIdbEEZNS1_14transform_implILb0ES3_S5_N6thrust23THRUST_200600_302600_NS6detail15normal_iteratorINS8_10device_ptrIdEEEENSA_INSB_IbEEEEZNS1_13binary_searchIS3_S5_SD_SD_SF_NS1_16binary_search_opENS9_16wrapped_functionINS0_4lessIvEEbEEEE10hipError_tPvRmT1_T2_T3_mmT4_T5_P12ihipStream_tbEUlRKdE_EESM_SQ_SR_mSS_SV_bEUlT_E_NS1_11comp_targetILNS1_3genE5ELNS1_11target_archE942ELNS1_3gpuE9ELNS1_3repE0EEENS1_30default_config_static_selectorELNS0_4arch9wavefront6targetE0EEEvSP_: ; @_ZN7rocprim17ROCPRIM_400000_NS6detail17trampoline_kernelINS0_14default_configENS1_29binary_search_config_selectorIdbEEZNS1_14transform_implILb0ES3_S5_N6thrust23THRUST_200600_302600_NS6detail15normal_iteratorINS8_10device_ptrIdEEEENSA_INSB_IbEEEEZNS1_13binary_searchIS3_S5_SD_SD_SF_NS1_16binary_search_opENS9_16wrapped_functionINS0_4lessIvEEbEEEE10hipError_tPvRmT1_T2_T3_mmT4_T5_P12ihipStream_tbEUlRKdE_EESM_SQ_SR_mSS_SV_bEUlT_E_NS1_11comp_targetILNS1_3genE5ELNS1_11target_archE942ELNS1_3gpuE9ELNS1_3repE0EEENS1_30default_config_static_selectorELNS0_4arch9wavefront6targetE0EEEvSP_
; %bb.0:
	.section	.rodata,"a",@progbits
	.p2align	6, 0x0
	.amdhsa_kernel _ZN7rocprim17ROCPRIM_400000_NS6detail17trampoline_kernelINS0_14default_configENS1_29binary_search_config_selectorIdbEEZNS1_14transform_implILb0ES3_S5_N6thrust23THRUST_200600_302600_NS6detail15normal_iteratorINS8_10device_ptrIdEEEENSA_INSB_IbEEEEZNS1_13binary_searchIS3_S5_SD_SD_SF_NS1_16binary_search_opENS9_16wrapped_functionINS0_4lessIvEEbEEEE10hipError_tPvRmT1_T2_T3_mmT4_T5_P12ihipStream_tbEUlRKdE_EESM_SQ_SR_mSS_SV_bEUlT_E_NS1_11comp_targetILNS1_3genE5ELNS1_11target_archE942ELNS1_3gpuE9ELNS1_3repE0EEENS1_30default_config_static_selectorELNS0_4arch9wavefront6targetE0EEEvSP_
		.amdhsa_group_segment_fixed_size 0
		.amdhsa_private_segment_fixed_size 0
		.amdhsa_kernarg_size 56
		.amdhsa_user_sgpr_count 15
		.amdhsa_user_sgpr_dispatch_ptr 0
		.amdhsa_user_sgpr_queue_ptr 0
		.amdhsa_user_sgpr_kernarg_segment_ptr 1
		.amdhsa_user_sgpr_dispatch_id 0
		.amdhsa_user_sgpr_private_segment_size 0
		.amdhsa_wavefront_size32 1
		.amdhsa_uses_dynamic_stack 0
		.amdhsa_enable_private_segment 0
		.amdhsa_system_sgpr_workgroup_id_x 1
		.amdhsa_system_sgpr_workgroup_id_y 0
		.amdhsa_system_sgpr_workgroup_id_z 0
		.amdhsa_system_sgpr_workgroup_info 0
		.amdhsa_system_vgpr_workitem_id 0
		.amdhsa_next_free_vgpr 1
		.amdhsa_next_free_sgpr 1
		.amdhsa_reserve_vcc 0
		.amdhsa_float_round_mode_32 0
		.amdhsa_float_round_mode_16_64 0
		.amdhsa_float_denorm_mode_32 3
		.amdhsa_float_denorm_mode_16_64 3
		.amdhsa_dx10_clamp 1
		.amdhsa_ieee_mode 1
		.amdhsa_fp16_overflow 0
		.amdhsa_workgroup_processor_mode 1
		.amdhsa_memory_ordered 1
		.amdhsa_forward_progress 0
		.amdhsa_shared_vgpr_count 0
		.amdhsa_exception_fp_ieee_invalid_op 0
		.amdhsa_exception_fp_denorm_src 0
		.amdhsa_exception_fp_ieee_div_zero 0
		.amdhsa_exception_fp_ieee_overflow 0
		.amdhsa_exception_fp_ieee_underflow 0
		.amdhsa_exception_fp_ieee_inexact 0
		.amdhsa_exception_int_div_zero 0
	.end_amdhsa_kernel
	.section	.text._ZN7rocprim17ROCPRIM_400000_NS6detail17trampoline_kernelINS0_14default_configENS1_29binary_search_config_selectorIdbEEZNS1_14transform_implILb0ES3_S5_N6thrust23THRUST_200600_302600_NS6detail15normal_iteratorINS8_10device_ptrIdEEEENSA_INSB_IbEEEEZNS1_13binary_searchIS3_S5_SD_SD_SF_NS1_16binary_search_opENS9_16wrapped_functionINS0_4lessIvEEbEEEE10hipError_tPvRmT1_T2_T3_mmT4_T5_P12ihipStream_tbEUlRKdE_EESM_SQ_SR_mSS_SV_bEUlT_E_NS1_11comp_targetILNS1_3genE5ELNS1_11target_archE942ELNS1_3gpuE9ELNS1_3repE0EEENS1_30default_config_static_selectorELNS0_4arch9wavefront6targetE0EEEvSP_,"axG",@progbits,_ZN7rocprim17ROCPRIM_400000_NS6detail17trampoline_kernelINS0_14default_configENS1_29binary_search_config_selectorIdbEEZNS1_14transform_implILb0ES3_S5_N6thrust23THRUST_200600_302600_NS6detail15normal_iteratorINS8_10device_ptrIdEEEENSA_INSB_IbEEEEZNS1_13binary_searchIS3_S5_SD_SD_SF_NS1_16binary_search_opENS9_16wrapped_functionINS0_4lessIvEEbEEEE10hipError_tPvRmT1_T2_T3_mmT4_T5_P12ihipStream_tbEUlRKdE_EESM_SQ_SR_mSS_SV_bEUlT_E_NS1_11comp_targetILNS1_3genE5ELNS1_11target_archE942ELNS1_3gpuE9ELNS1_3repE0EEENS1_30default_config_static_selectorELNS0_4arch9wavefront6targetE0EEEvSP_,comdat
.Lfunc_end403:
	.size	_ZN7rocprim17ROCPRIM_400000_NS6detail17trampoline_kernelINS0_14default_configENS1_29binary_search_config_selectorIdbEEZNS1_14transform_implILb0ES3_S5_N6thrust23THRUST_200600_302600_NS6detail15normal_iteratorINS8_10device_ptrIdEEEENSA_INSB_IbEEEEZNS1_13binary_searchIS3_S5_SD_SD_SF_NS1_16binary_search_opENS9_16wrapped_functionINS0_4lessIvEEbEEEE10hipError_tPvRmT1_T2_T3_mmT4_T5_P12ihipStream_tbEUlRKdE_EESM_SQ_SR_mSS_SV_bEUlT_E_NS1_11comp_targetILNS1_3genE5ELNS1_11target_archE942ELNS1_3gpuE9ELNS1_3repE0EEENS1_30default_config_static_selectorELNS0_4arch9wavefront6targetE0EEEvSP_, .Lfunc_end403-_ZN7rocprim17ROCPRIM_400000_NS6detail17trampoline_kernelINS0_14default_configENS1_29binary_search_config_selectorIdbEEZNS1_14transform_implILb0ES3_S5_N6thrust23THRUST_200600_302600_NS6detail15normal_iteratorINS8_10device_ptrIdEEEENSA_INSB_IbEEEEZNS1_13binary_searchIS3_S5_SD_SD_SF_NS1_16binary_search_opENS9_16wrapped_functionINS0_4lessIvEEbEEEE10hipError_tPvRmT1_T2_T3_mmT4_T5_P12ihipStream_tbEUlRKdE_EESM_SQ_SR_mSS_SV_bEUlT_E_NS1_11comp_targetILNS1_3genE5ELNS1_11target_archE942ELNS1_3gpuE9ELNS1_3repE0EEENS1_30default_config_static_selectorELNS0_4arch9wavefront6targetE0EEEvSP_
                                        ; -- End function
	.section	.AMDGPU.csdata,"",@progbits
; Kernel info:
; codeLenInByte = 0
; NumSgprs: 0
; NumVgprs: 0
; ScratchSize: 0
; MemoryBound: 0
; FloatMode: 240
; IeeeMode: 1
; LDSByteSize: 0 bytes/workgroup (compile time only)
; SGPRBlocks: 0
; VGPRBlocks: 0
; NumSGPRsForWavesPerEU: 1
; NumVGPRsForWavesPerEU: 1
; Occupancy: 16
; WaveLimiterHint : 0
; COMPUTE_PGM_RSRC2:SCRATCH_EN: 0
; COMPUTE_PGM_RSRC2:USER_SGPR: 15
; COMPUTE_PGM_RSRC2:TRAP_HANDLER: 0
; COMPUTE_PGM_RSRC2:TGID_X_EN: 1
; COMPUTE_PGM_RSRC2:TGID_Y_EN: 0
; COMPUTE_PGM_RSRC2:TGID_Z_EN: 0
; COMPUTE_PGM_RSRC2:TIDIG_COMP_CNT: 0
	.section	.text._ZN7rocprim17ROCPRIM_400000_NS6detail17trampoline_kernelINS0_14default_configENS1_29binary_search_config_selectorIdbEEZNS1_14transform_implILb0ES3_S5_N6thrust23THRUST_200600_302600_NS6detail15normal_iteratorINS8_10device_ptrIdEEEENSA_INSB_IbEEEEZNS1_13binary_searchIS3_S5_SD_SD_SF_NS1_16binary_search_opENS9_16wrapped_functionINS0_4lessIvEEbEEEE10hipError_tPvRmT1_T2_T3_mmT4_T5_P12ihipStream_tbEUlRKdE_EESM_SQ_SR_mSS_SV_bEUlT_E_NS1_11comp_targetILNS1_3genE4ELNS1_11target_archE910ELNS1_3gpuE8ELNS1_3repE0EEENS1_30default_config_static_selectorELNS0_4arch9wavefront6targetE0EEEvSP_,"axG",@progbits,_ZN7rocprim17ROCPRIM_400000_NS6detail17trampoline_kernelINS0_14default_configENS1_29binary_search_config_selectorIdbEEZNS1_14transform_implILb0ES3_S5_N6thrust23THRUST_200600_302600_NS6detail15normal_iteratorINS8_10device_ptrIdEEEENSA_INSB_IbEEEEZNS1_13binary_searchIS3_S5_SD_SD_SF_NS1_16binary_search_opENS9_16wrapped_functionINS0_4lessIvEEbEEEE10hipError_tPvRmT1_T2_T3_mmT4_T5_P12ihipStream_tbEUlRKdE_EESM_SQ_SR_mSS_SV_bEUlT_E_NS1_11comp_targetILNS1_3genE4ELNS1_11target_archE910ELNS1_3gpuE8ELNS1_3repE0EEENS1_30default_config_static_selectorELNS0_4arch9wavefront6targetE0EEEvSP_,comdat
	.protected	_ZN7rocprim17ROCPRIM_400000_NS6detail17trampoline_kernelINS0_14default_configENS1_29binary_search_config_selectorIdbEEZNS1_14transform_implILb0ES3_S5_N6thrust23THRUST_200600_302600_NS6detail15normal_iteratorINS8_10device_ptrIdEEEENSA_INSB_IbEEEEZNS1_13binary_searchIS3_S5_SD_SD_SF_NS1_16binary_search_opENS9_16wrapped_functionINS0_4lessIvEEbEEEE10hipError_tPvRmT1_T2_T3_mmT4_T5_P12ihipStream_tbEUlRKdE_EESM_SQ_SR_mSS_SV_bEUlT_E_NS1_11comp_targetILNS1_3genE4ELNS1_11target_archE910ELNS1_3gpuE8ELNS1_3repE0EEENS1_30default_config_static_selectorELNS0_4arch9wavefront6targetE0EEEvSP_ ; -- Begin function _ZN7rocprim17ROCPRIM_400000_NS6detail17trampoline_kernelINS0_14default_configENS1_29binary_search_config_selectorIdbEEZNS1_14transform_implILb0ES3_S5_N6thrust23THRUST_200600_302600_NS6detail15normal_iteratorINS8_10device_ptrIdEEEENSA_INSB_IbEEEEZNS1_13binary_searchIS3_S5_SD_SD_SF_NS1_16binary_search_opENS9_16wrapped_functionINS0_4lessIvEEbEEEE10hipError_tPvRmT1_T2_T3_mmT4_T5_P12ihipStream_tbEUlRKdE_EESM_SQ_SR_mSS_SV_bEUlT_E_NS1_11comp_targetILNS1_3genE4ELNS1_11target_archE910ELNS1_3gpuE8ELNS1_3repE0EEENS1_30default_config_static_selectorELNS0_4arch9wavefront6targetE0EEEvSP_
	.globl	_ZN7rocprim17ROCPRIM_400000_NS6detail17trampoline_kernelINS0_14default_configENS1_29binary_search_config_selectorIdbEEZNS1_14transform_implILb0ES3_S5_N6thrust23THRUST_200600_302600_NS6detail15normal_iteratorINS8_10device_ptrIdEEEENSA_INSB_IbEEEEZNS1_13binary_searchIS3_S5_SD_SD_SF_NS1_16binary_search_opENS9_16wrapped_functionINS0_4lessIvEEbEEEE10hipError_tPvRmT1_T2_T3_mmT4_T5_P12ihipStream_tbEUlRKdE_EESM_SQ_SR_mSS_SV_bEUlT_E_NS1_11comp_targetILNS1_3genE4ELNS1_11target_archE910ELNS1_3gpuE8ELNS1_3repE0EEENS1_30default_config_static_selectorELNS0_4arch9wavefront6targetE0EEEvSP_
	.p2align	8
	.type	_ZN7rocprim17ROCPRIM_400000_NS6detail17trampoline_kernelINS0_14default_configENS1_29binary_search_config_selectorIdbEEZNS1_14transform_implILb0ES3_S5_N6thrust23THRUST_200600_302600_NS6detail15normal_iteratorINS8_10device_ptrIdEEEENSA_INSB_IbEEEEZNS1_13binary_searchIS3_S5_SD_SD_SF_NS1_16binary_search_opENS9_16wrapped_functionINS0_4lessIvEEbEEEE10hipError_tPvRmT1_T2_T3_mmT4_T5_P12ihipStream_tbEUlRKdE_EESM_SQ_SR_mSS_SV_bEUlT_E_NS1_11comp_targetILNS1_3genE4ELNS1_11target_archE910ELNS1_3gpuE8ELNS1_3repE0EEENS1_30default_config_static_selectorELNS0_4arch9wavefront6targetE0EEEvSP_,@function
_ZN7rocprim17ROCPRIM_400000_NS6detail17trampoline_kernelINS0_14default_configENS1_29binary_search_config_selectorIdbEEZNS1_14transform_implILb0ES3_S5_N6thrust23THRUST_200600_302600_NS6detail15normal_iteratorINS8_10device_ptrIdEEEENSA_INSB_IbEEEEZNS1_13binary_searchIS3_S5_SD_SD_SF_NS1_16binary_search_opENS9_16wrapped_functionINS0_4lessIvEEbEEEE10hipError_tPvRmT1_T2_T3_mmT4_T5_P12ihipStream_tbEUlRKdE_EESM_SQ_SR_mSS_SV_bEUlT_E_NS1_11comp_targetILNS1_3genE4ELNS1_11target_archE910ELNS1_3gpuE8ELNS1_3repE0EEENS1_30default_config_static_selectorELNS0_4arch9wavefront6targetE0EEEvSP_: ; @_ZN7rocprim17ROCPRIM_400000_NS6detail17trampoline_kernelINS0_14default_configENS1_29binary_search_config_selectorIdbEEZNS1_14transform_implILb0ES3_S5_N6thrust23THRUST_200600_302600_NS6detail15normal_iteratorINS8_10device_ptrIdEEEENSA_INSB_IbEEEEZNS1_13binary_searchIS3_S5_SD_SD_SF_NS1_16binary_search_opENS9_16wrapped_functionINS0_4lessIvEEbEEEE10hipError_tPvRmT1_T2_T3_mmT4_T5_P12ihipStream_tbEUlRKdE_EESM_SQ_SR_mSS_SV_bEUlT_E_NS1_11comp_targetILNS1_3genE4ELNS1_11target_archE910ELNS1_3gpuE8ELNS1_3repE0EEENS1_30default_config_static_selectorELNS0_4arch9wavefront6targetE0EEEvSP_
; %bb.0:
	.section	.rodata,"a",@progbits
	.p2align	6, 0x0
	.amdhsa_kernel _ZN7rocprim17ROCPRIM_400000_NS6detail17trampoline_kernelINS0_14default_configENS1_29binary_search_config_selectorIdbEEZNS1_14transform_implILb0ES3_S5_N6thrust23THRUST_200600_302600_NS6detail15normal_iteratorINS8_10device_ptrIdEEEENSA_INSB_IbEEEEZNS1_13binary_searchIS3_S5_SD_SD_SF_NS1_16binary_search_opENS9_16wrapped_functionINS0_4lessIvEEbEEEE10hipError_tPvRmT1_T2_T3_mmT4_T5_P12ihipStream_tbEUlRKdE_EESM_SQ_SR_mSS_SV_bEUlT_E_NS1_11comp_targetILNS1_3genE4ELNS1_11target_archE910ELNS1_3gpuE8ELNS1_3repE0EEENS1_30default_config_static_selectorELNS0_4arch9wavefront6targetE0EEEvSP_
		.amdhsa_group_segment_fixed_size 0
		.amdhsa_private_segment_fixed_size 0
		.amdhsa_kernarg_size 56
		.amdhsa_user_sgpr_count 15
		.amdhsa_user_sgpr_dispatch_ptr 0
		.amdhsa_user_sgpr_queue_ptr 0
		.amdhsa_user_sgpr_kernarg_segment_ptr 1
		.amdhsa_user_sgpr_dispatch_id 0
		.amdhsa_user_sgpr_private_segment_size 0
		.amdhsa_wavefront_size32 1
		.amdhsa_uses_dynamic_stack 0
		.amdhsa_enable_private_segment 0
		.amdhsa_system_sgpr_workgroup_id_x 1
		.amdhsa_system_sgpr_workgroup_id_y 0
		.amdhsa_system_sgpr_workgroup_id_z 0
		.amdhsa_system_sgpr_workgroup_info 0
		.amdhsa_system_vgpr_workitem_id 0
		.amdhsa_next_free_vgpr 1
		.amdhsa_next_free_sgpr 1
		.amdhsa_reserve_vcc 0
		.amdhsa_float_round_mode_32 0
		.amdhsa_float_round_mode_16_64 0
		.amdhsa_float_denorm_mode_32 3
		.amdhsa_float_denorm_mode_16_64 3
		.amdhsa_dx10_clamp 1
		.amdhsa_ieee_mode 1
		.amdhsa_fp16_overflow 0
		.amdhsa_workgroup_processor_mode 1
		.amdhsa_memory_ordered 1
		.amdhsa_forward_progress 0
		.amdhsa_shared_vgpr_count 0
		.amdhsa_exception_fp_ieee_invalid_op 0
		.amdhsa_exception_fp_denorm_src 0
		.amdhsa_exception_fp_ieee_div_zero 0
		.amdhsa_exception_fp_ieee_overflow 0
		.amdhsa_exception_fp_ieee_underflow 0
		.amdhsa_exception_fp_ieee_inexact 0
		.amdhsa_exception_int_div_zero 0
	.end_amdhsa_kernel
	.section	.text._ZN7rocprim17ROCPRIM_400000_NS6detail17trampoline_kernelINS0_14default_configENS1_29binary_search_config_selectorIdbEEZNS1_14transform_implILb0ES3_S5_N6thrust23THRUST_200600_302600_NS6detail15normal_iteratorINS8_10device_ptrIdEEEENSA_INSB_IbEEEEZNS1_13binary_searchIS3_S5_SD_SD_SF_NS1_16binary_search_opENS9_16wrapped_functionINS0_4lessIvEEbEEEE10hipError_tPvRmT1_T2_T3_mmT4_T5_P12ihipStream_tbEUlRKdE_EESM_SQ_SR_mSS_SV_bEUlT_E_NS1_11comp_targetILNS1_3genE4ELNS1_11target_archE910ELNS1_3gpuE8ELNS1_3repE0EEENS1_30default_config_static_selectorELNS0_4arch9wavefront6targetE0EEEvSP_,"axG",@progbits,_ZN7rocprim17ROCPRIM_400000_NS6detail17trampoline_kernelINS0_14default_configENS1_29binary_search_config_selectorIdbEEZNS1_14transform_implILb0ES3_S5_N6thrust23THRUST_200600_302600_NS6detail15normal_iteratorINS8_10device_ptrIdEEEENSA_INSB_IbEEEEZNS1_13binary_searchIS3_S5_SD_SD_SF_NS1_16binary_search_opENS9_16wrapped_functionINS0_4lessIvEEbEEEE10hipError_tPvRmT1_T2_T3_mmT4_T5_P12ihipStream_tbEUlRKdE_EESM_SQ_SR_mSS_SV_bEUlT_E_NS1_11comp_targetILNS1_3genE4ELNS1_11target_archE910ELNS1_3gpuE8ELNS1_3repE0EEENS1_30default_config_static_selectorELNS0_4arch9wavefront6targetE0EEEvSP_,comdat
.Lfunc_end404:
	.size	_ZN7rocprim17ROCPRIM_400000_NS6detail17trampoline_kernelINS0_14default_configENS1_29binary_search_config_selectorIdbEEZNS1_14transform_implILb0ES3_S5_N6thrust23THRUST_200600_302600_NS6detail15normal_iteratorINS8_10device_ptrIdEEEENSA_INSB_IbEEEEZNS1_13binary_searchIS3_S5_SD_SD_SF_NS1_16binary_search_opENS9_16wrapped_functionINS0_4lessIvEEbEEEE10hipError_tPvRmT1_T2_T3_mmT4_T5_P12ihipStream_tbEUlRKdE_EESM_SQ_SR_mSS_SV_bEUlT_E_NS1_11comp_targetILNS1_3genE4ELNS1_11target_archE910ELNS1_3gpuE8ELNS1_3repE0EEENS1_30default_config_static_selectorELNS0_4arch9wavefront6targetE0EEEvSP_, .Lfunc_end404-_ZN7rocprim17ROCPRIM_400000_NS6detail17trampoline_kernelINS0_14default_configENS1_29binary_search_config_selectorIdbEEZNS1_14transform_implILb0ES3_S5_N6thrust23THRUST_200600_302600_NS6detail15normal_iteratorINS8_10device_ptrIdEEEENSA_INSB_IbEEEEZNS1_13binary_searchIS3_S5_SD_SD_SF_NS1_16binary_search_opENS9_16wrapped_functionINS0_4lessIvEEbEEEE10hipError_tPvRmT1_T2_T3_mmT4_T5_P12ihipStream_tbEUlRKdE_EESM_SQ_SR_mSS_SV_bEUlT_E_NS1_11comp_targetILNS1_3genE4ELNS1_11target_archE910ELNS1_3gpuE8ELNS1_3repE0EEENS1_30default_config_static_selectorELNS0_4arch9wavefront6targetE0EEEvSP_
                                        ; -- End function
	.section	.AMDGPU.csdata,"",@progbits
; Kernel info:
; codeLenInByte = 0
; NumSgprs: 0
; NumVgprs: 0
; ScratchSize: 0
; MemoryBound: 0
; FloatMode: 240
; IeeeMode: 1
; LDSByteSize: 0 bytes/workgroup (compile time only)
; SGPRBlocks: 0
; VGPRBlocks: 0
; NumSGPRsForWavesPerEU: 1
; NumVGPRsForWavesPerEU: 1
; Occupancy: 16
; WaveLimiterHint : 0
; COMPUTE_PGM_RSRC2:SCRATCH_EN: 0
; COMPUTE_PGM_RSRC2:USER_SGPR: 15
; COMPUTE_PGM_RSRC2:TRAP_HANDLER: 0
; COMPUTE_PGM_RSRC2:TGID_X_EN: 1
; COMPUTE_PGM_RSRC2:TGID_Y_EN: 0
; COMPUTE_PGM_RSRC2:TGID_Z_EN: 0
; COMPUTE_PGM_RSRC2:TIDIG_COMP_CNT: 0
	.section	.text._ZN7rocprim17ROCPRIM_400000_NS6detail17trampoline_kernelINS0_14default_configENS1_29binary_search_config_selectorIdbEEZNS1_14transform_implILb0ES3_S5_N6thrust23THRUST_200600_302600_NS6detail15normal_iteratorINS8_10device_ptrIdEEEENSA_INSB_IbEEEEZNS1_13binary_searchIS3_S5_SD_SD_SF_NS1_16binary_search_opENS9_16wrapped_functionINS0_4lessIvEEbEEEE10hipError_tPvRmT1_T2_T3_mmT4_T5_P12ihipStream_tbEUlRKdE_EESM_SQ_SR_mSS_SV_bEUlT_E_NS1_11comp_targetILNS1_3genE3ELNS1_11target_archE908ELNS1_3gpuE7ELNS1_3repE0EEENS1_30default_config_static_selectorELNS0_4arch9wavefront6targetE0EEEvSP_,"axG",@progbits,_ZN7rocprim17ROCPRIM_400000_NS6detail17trampoline_kernelINS0_14default_configENS1_29binary_search_config_selectorIdbEEZNS1_14transform_implILb0ES3_S5_N6thrust23THRUST_200600_302600_NS6detail15normal_iteratorINS8_10device_ptrIdEEEENSA_INSB_IbEEEEZNS1_13binary_searchIS3_S5_SD_SD_SF_NS1_16binary_search_opENS9_16wrapped_functionINS0_4lessIvEEbEEEE10hipError_tPvRmT1_T2_T3_mmT4_T5_P12ihipStream_tbEUlRKdE_EESM_SQ_SR_mSS_SV_bEUlT_E_NS1_11comp_targetILNS1_3genE3ELNS1_11target_archE908ELNS1_3gpuE7ELNS1_3repE0EEENS1_30default_config_static_selectorELNS0_4arch9wavefront6targetE0EEEvSP_,comdat
	.protected	_ZN7rocprim17ROCPRIM_400000_NS6detail17trampoline_kernelINS0_14default_configENS1_29binary_search_config_selectorIdbEEZNS1_14transform_implILb0ES3_S5_N6thrust23THRUST_200600_302600_NS6detail15normal_iteratorINS8_10device_ptrIdEEEENSA_INSB_IbEEEEZNS1_13binary_searchIS3_S5_SD_SD_SF_NS1_16binary_search_opENS9_16wrapped_functionINS0_4lessIvEEbEEEE10hipError_tPvRmT1_T2_T3_mmT4_T5_P12ihipStream_tbEUlRKdE_EESM_SQ_SR_mSS_SV_bEUlT_E_NS1_11comp_targetILNS1_3genE3ELNS1_11target_archE908ELNS1_3gpuE7ELNS1_3repE0EEENS1_30default_config_static_selectorELNS0_4arch9wavefront6targetE0EEEvSP_ ; -- Begin function _ZN7rocprim17ROCPRIM_400000_NS6detail17trampoline_kernelINS0_14default_configENS1_29binary_search_config_selectorIdbEEZNS1_14transform_implILb0ES3_S5_N6thrust23THRUST_200600_302600_NS6detail15normal_iteratorINS8_10device_ptrIdEEEENSA_INSB_IbEEEEZNS1_13binary_searchIS3_S5_SD_SD_SF_NS1_16binary_search_opENS9_16wrapped_functionINS0_4lessIvEEbEEEE10hipError_tPvRmT1_T2_T3_mmT4_T5_P12ihipStream_tbEUlRKdE_EESM_SQ_SR_mSS_SV_bEUlT_E_NS1_11comp_targetILNS1_3genE3ELNS1_11target_archE908ELNS1_3gpuE7ELNS1_3repE0EEENS1_30default_config_static_selectorELNS0_4arch9wavefront6targetE0EEEvSP_
	.globl	_ZN7rocprim17ROCPRIM_400000_NS6detail17trampoline_kernelINS0_14default_configENS1_29binary_search_config_selectorIdbEEZNS1_14transform_implILb0ES3_S5_N6thrust23THRUST_200600_302600_NS6detail15normal_iteratorINS8_10device_ptrIdEEEENSA_INSB_IbEEEEZNS1_13binary_searchIS3_S5_SD_SD_SF_NS1_16binary_search_opENS9_16wrapped_functionINS0_4lessIvEEbEEEE10hipError_tPvRmT1_T2_T3_mmT4_T5_P12ihipStream_tbEUlRKdE_EESM_SQ_SR_mSS_SV_bEUlT_E_NS1_11comp_targetILNS1_3genE3ELNS1_11target_archE908ELNS1_3gpuE7ELNS1_3repE0EEENS1_30default_config_static_selectorELNS0_4arch9wavefront6targetE0EEEvSP_
	.p2align	8
	.type	_ZN7rocprim17ROCPRIM_400000_NS6detail17trampoline_kernelINS0_14default_configENS1_29binary_search_config_selectorIdbEEZNS1_14transform_implILb0ES3_S5_N6thrust23THRUST_200600_302600_NS6detail15normal_iteratorINS8_10device_ptrIdEEEENSA_INSB_IbEEEEZNS1_13binary_searchIS3_S5_SD_SD_SF_NS1_16binary_search_opENS9_16wrapped_functionINS0_4lessIvEEbEEEE10hipError_tPvRmT1_T2_T3_mmT4_T5_P12ihipStream_tbEUlRKdE_EESM_SQ_SR_mSS_SV_bEUlT_E_NS1_11comp_targetILNS1_3genE3ELNS1_11target_archE908ELNS1_3gpuE7ELNS1_3repE0EEENS1_30default_config_static_selectorELNS0_4arch9wavefront6targetE0EEEvSP_,@function
_ZN7rocprim17ROCPRIM_400000_NS6detail17trampoline_kernelINS0_14default_configENS1_29binary_search_config_selectorIdbEEZNS1_14transform_implILb0ES3_S5_N6thrust23THRUST_200600_302600_NS6detail15normal_iteratorINS8_10device_ptrIdEEEENSA_INSB_IbEEEEZNS1_13binary_searchIS3_S5_SD_SD_SF_NS1_16binary_search_opENS9_16wrapped_functionINS0_4lessIvEEbEEEE10hipError_tPvRmT1_T2_T3_mmT4_T5_P12ihipStream_tbEUlRKdE_EESM_SQ_SR_mSS_SV_bEUlT_E_NS1_11comp_targetILNS1_3genE3ELNS1_11target_archE908ELNS1_3gpuE7ELNS1_3repE0EEENS1_30default_config_static_selectorELNS0_4arch9wavefront6targetE0EEEvSP_: ; @_ZN7rocprim17ROCPRIM_400000_NS6detail17trampoline_kernelINS0_14default_configENS1_29binary_search_config_selectorIdbEEZNS1_14transform_implILb0ES3_S5_N6thrust23THRUST_200600_302600_NS6detail15normal_iteratorINS8_10device_ptrIdEEEENSA_INSB_IbEEEEZNS1_13binary_searchIS3_S5_SD_SD_SF_NS1_16binary_search_opENS9_16wrapped_functionINS0_4lessIvEEbEEEE10hipError_tPvRmT1_T2_T3_mmT4_T5_P12ihipStream_tbEUlRKdE_EESM_SQ_SR_mSS_SV_bEUlT_E_NS1_11comp_targetILNS1_3genE3ELNS1_11target_archE908ELNS1_3gpuE7ELNS1_3repE0EEENS1_30default_config_static_selectorELNS0_4arch9wavefront6targetE0EEEvSP_
; %bb.0:
	.section	.rodata,"a",@progbits
	.p2align	6, 0x0
	.amdhsa_kernel _ZN7rocprim17ROCPRIM_400000_NS6detail17trampoline_kernelINS0_14default_configENS1_29binary_search_config_selectorIdbEEZNS1_14transform_implILb0ES3_S5_N6thrust23THRUST_200600_302600_NS6detail15normal_iteratorINS8_10device_ptrIdEEEENSA_INSB_IbEEEEZNS1_13binary_searchIS3_S5_SD_SD_SF_NS1_16binary_search_opENS9_16wrapped_functionINS0_4lessIvEEbEEEE10hipError_tPvRmT1_T2_T3_mmT4_T5_P12ihipStream_tbEUlRKdE_EESM_SQ_SR_mSS_SV_bEUlT_E_NS1_11comp_targetILNS1_3genE3ELNS1_11target_archE908ELNS1_3gpuE7ELNS1_3repE0EEENS1_30default_config_static_selectorELNS0_4arch9wavefront6targetE0EEEvSP_
		.amdhsa_group_segment_fixed_size 0
		.amdhsa_private_segment_fixed_size 0
		.amdhsa_kernarg_size 56
		.amdhsa_user_sgpr_count 15
		.amdhsa_user_sgpr_dispatch_ptr 0
		.amdhsa_user_sgpr_queue_ptr 0
		.amdhsa_user_sgpr_kernarg_segment_ptr 1
		.amdhsa_user_sgpr_dispatch_id 0
		.amdhsa_user_sgpr_private_segment_size 0
		.amdhsa_wavefront_size32 1
		.amdhsa_uses_dynamic_stack 0
		.amdhsa_enable_private_segment 0
		.amdhsa_system_sgpr_workgroup_id_x 1
		.amdhsa_system_sgpr_workgroup_id_y 0
		.amdhsa_system_sgpr_workgroup_id_z 0
		.amdhsa_system_sgpr_workgroup_info 0
		.amdhsa_system_vgpr_workitem_id 0
		.amdhsa_next_free_vgpr 1
		.amdhsa_next_free_sgpr 1
		.amdhsa_reserve_vcc 0
		.amdhsa_float_round_mode_32 0
		.amdhsa_float_round_mode_16_64 0
		.amdhsa_float_denorm_mode_32 3
		.amdhsa_float_denorm_mode_16_64 3
		.amdhsa_dx10_clamp 1
		.amdhsa_ieee_mode 1
		.amdhsa_fp16_overflow 0
		.amdhsa_workgroup_processor_mode 1
		.amdhsa_memory_ordered 1
		.amdhsa_forward_progress 0
		.amdhsa_shared_vgpr_count 0
		.amdhsa_exception_fp_ieee_invalid_op 0
		.amdhsa_exception_fp_denorm_src 0
		.amdhsa_exception_fp_ieee_div_zero 0
		.amdhsa_exception_fp_ieee_overflow 0
		.amdhsa_exception_fp_ieee_underflow 0
		.amdhsa_exception_fp_ieee_inexact 0
		.amdhsa_exception_int_div_zero 0
	.end_amdhsa_kernel
	.section	.text._ZN7rocprim17ROCPRIM_400000_NS6detail17trampoline_kernelINS0_14default_configENS1_29binary_search_config_selectorIdbEEZNS1_14transform_implILb0ES3_S5_N6thrust23THRUST_200600_302600_NS6detail15normal_iteratorINS8_10device_ptrIdEEEENSA_INSB_IbEEEEZNS1_13binary_searchIS3_S5_SD_SD_SF_NS1_16binary_search_opENS9_16wrapped_functionINS0_4lessIvEEbEEEE10hipError_tPvRmT1_T2_T3_mmT4_T5_P12ihipStream_tbEUlRKdE_EESM_SQ_SR_mSS_SV_bEUlT_E_NS1_11comp_targetILNS1_3genE3ELNS1_11target_archE908ELNS1_3gpuE7ELNS1_3repE0EEENS1_30default_config_static_selectorELNS0_4arch9wavefront6targetE0EEEvSP_,"axG",@progbits,_ZN7rocprim17ROCPRIM_400000_NS6detail17trampoline_kernelINS0_14default_configENS1_29binary_search_config_selectorIdbEEZNS1_14transform_implILb0ES3_S5_N6thrust23THRUST_200600_302600_NS6detail15normal_iteratorINS8_10device_ptrIdEEEENSA_INSB_IbEEEEZNS1_13binary_searchIS3_S5_SD_SD_SF_NS1_16binary_search_opENS9_16wrapped_functionINS0_4lessIvEEbEEEE10hipError_tPvRmT1_T2_T3_mmT4_T5_P12ihipStream_tbEUlRKdE_EESM_SQ_SR_mSS_SV_bEUlT_E_NS1_11comp_targetILNS1_3genE3ELNS1_11target_archE908ELNS1_3gpuE7ELNS1_3repE0EEENS1_30default_config_static_selectorELNS0_4arch9wavefront6targetE0EEEvSP_,comdat
.Lfunc_end405:
	.size	_ZN7rocprim17ROCPRIM_400000_NS6detail17trampoline_kernelINS0_14default_configENS1_29binary_search_config_selectorIdbEEZNS1_14transform_implILb0ES3_S5_N6thrust23THRUST_200600_302600_NS6detail15normal_iteratorINS8_10device_ptrIdEEEENSA_INSB_IbEEEEZNS1_13binary_searchIS3_S5_SD_SD_SF_NS1_16binary_search_opENS9_16wrapped_functionINS0_4lessIvEEbEEEE10hipError_tPvRmT1_T2_T3_mmT4_T5_P12ihipStream_tbEUlRKdE_EESM_SQ_SR_mSS_SV_bEUlT_E_NS1_11comp_targetILNS1_3genE3ELNS1_11target_archE908ELNS1_3gpuE7ELNS1_3repE0EEENS1_30default_config_static_selectorELNS0_4arch9wavefront6targetE0EEEvSP_, .Lfunc_end405-_ZN7rocprim17ROCPRIM_400000_NS6detail17trampoline_kernelINS0_14default_configENS1_29binary_search_config_selectorIdbEEZNS1_14transform_implILb0ES3_S5_N6thrust23THRUST_200600_302600_NS6detail15normal_iteratorINS8_10device_ptrIdEEEENSA_INSB_IbEEEEZNS1_13binary_searchIS3_S5_SD_SD_SF_NS1_16binary_search_opENS9_16wrapped_functionINS0_4lessIvEEbEEEE10hipError_tPvRmT1_T2_T3_mmT4_T5_P12ihipStream_tbEUlRKdE_EESM_SQ_SR_mSS_SV_bEUlT_E_NS1_11comp_targetILNS1_3genE3ELNS1_11target_archE908ELNS1_3gpuE7ELNS1_3repE0EEENS1_30default_config_static_selectorELNS0_4arch9wavefront6targetE0EEEvSP_
                                        ; -- End function
	.section	.AMDGPU.csdata,"",@progbits
; Kernel info:
; codeLenInByte = 0
; NumSgprs: 0
; NumVgprs: 0
; ScratchSize: 0
; MemoryBound: 0
; FloatMode: 240
; IeeeMode: 1
; LDSByteSize: 0 bytes/workgroup (compile time only)
; SGPRBlocks: 0
; VGPRBlocks: 0
; NumSGPRsForWavesPerEU: 1
; NumVGPRsForWavesPerEU: 1
; Occupancy: 16
; WaveLimiterHint : 0
; COMPUTE_PGM_RSRC2:SCRATCH_EN: 0
; COMPUTE_PGM_RSRC2:USER_SGPR: 15
; COMPUTE_PGM_RSRC2:TRAP_HANDLER: 0
; COMPUTE_PGM_RSRC2:TGID_X_EN: 1
; COMPUTE_PGM_RSRC2:TGID_Y_EN: 0
; COMPUTE_PGM_RSRC2:TGID_Z_EN: 0
; COMPUTE_PGM_RSRC2:TIDIG_COMP_CNT: 0
	.section	.text._ZN7rocprim17ROCPRIM_400000_NS6detail17trampoline_kernelINS0_14default_configENS1_29binary_search_config_selectorIdbEEZNS1_14transform_implILb0ES3_S5_N6thrust23THRUST_200600_302600_NS6detail15normal_iteratorINS8_10device_ptrIdEEEENSA_INSB_IbEEEEZNS1_13binary_searchIS3_S5_SD_SD_SF_NS1_16binary_search_opENS9_16wrapped_functionINS0_4lessIvEEbEEEE10hipError_tPvRmT1_T2_T3_mmT4_T5_P12ihipStream_tbEUlRKdE_EESM_SQ_SR_mSS_SV_bEUlT_E_NS1_11comp_targetILNS1_3genE2ELNS1_11target_archE906ELNS1_3gpuE6ELNS1_3repE0EEENS1_30default_config_static_selectorELNS0_4arch9wavefront6targetE0EEEvSP_,"axG",@progbits,_ZN7rocprim17ROCPRIM_400000_NS6detail17trampoline_kernelINS0_14default_configENS1_29binary_search_config_selectorIdbEEZNS1_14transform_implILb0ES3_S5_N6thrust23THRUST_200600_302600_NS6detail15normal_iteratorINS8_10device_ptrIdEEEENSA_INSB_IbEEEEZNS1_13binary_searchIS3_S5_SD_SD_SF_NS1_16binary_search_opENS9_16wrapped_functionINS0_4lessIvEEbEEEE10hipError_tPvRmT1_T2_T3_mmT4_T5_P12ihipStream_tbEUlRKdE_EESM_SQ_SR_mSS_SV_bEUlT_E_NS1_11comp_targetILNS1_3genE2ELNS1_11target_archE906ELNS1_3gpuE6ELNS1_3repE0EEENS1_30default_config_static_selectorELNS0_4arch9wavefront6targetE0EEEvSP_,comdat
	.protected	_ZN7rocprim17ROCPRIM_400000_NS6detail17trampoline_kernelINS0_14default_configENS1_29binary_search_config_selectorIdbEEZNS1_14transform_implILb0ES3_S5_N6thrust23THRUST_200600_302600_NS6detail15normal_iteratorINS8_10device_ptrIdEEEENSA_INSB_IbEEEEZNS1_13binary_searchIS3_S5_SD_SD_SF_NS1_16binary_search_opENS9_16wrapped_functionINS0_4lessIvEEbEEEE10hipError_tPvRmT1_T2_T3_mmT4_T5_P12ihipStream_tbEUlRKdE_EESM_SQ_SR_mSS_SV_bEUlT_E_NS1_11comp_targetILNS1_3genE2ELNS1_11target_archE906ELNS1_3gpuE6ELNS1_3repE0EEENS1_30default_config_static_selectorELNS0_4arch9wavefront6targetE0EEEvSP_ ; -- Begin function _ZN7rocprim17ROCPRIM_400000_NS6detail17trampoline_kernelINS0_14default_configENS1_29binary_search_config_selectorIdbEEZNS1_14transform_implILb0ES3_S5_N6thrust23THRUST_200600_302600_NS6detail15normal_iteratorINS8_10device_ptrIdEEEENSA_INSB_IbEEEEZNS1_13binary_searchIS3_S5_SD_SD_SF_NS1_16binary_search_opENS9_16wrapped_functionINS0_4lessIvEEbEEEE10hipError_tPvRmT1_T2_T3_mmT4_T5_P12ihipStream_tbEUlRKdE_EESM_SQ_SR_mSS_SV_bEUlT_E_NS1_11comp_targetILNS1_3genE2ELNS1_11target_archE906ELNS1_3gpuE6ELNS1_3repE0EEENS1_30default_config_static_selectorELNS0_4arch9wavefront6targetE0EEEvSP_
	.globl	_ZN7rocprim17ROCPRIM_400000_NS6detail17trampoline_kernelINS0_14default_configENS1_29binary_search_config_selectorIdbEEZNS1_14transform_implILb0ES3_S5_N6thrust23THRUST_200600_302600_NS6detail15normal_iteratorINS8_10device_ptrIdEEEENSA_INSB_IbEEEEZNS1_13binary_searchIS3_S5_SD_SD_SF_NS1_16binary_search_opENS9_16wrapped_functionINS0_4lessIvEEbEEEE10hipError_tPvRmT1_T2_T3_mmT4_T5_P12ihipStream_tbEUlRKdE_EESM_SQ_SR_mSS_SV_bEUlT_E_NS1_11comp_targetILNS1_3genE2ELNS1_11target_archE906ELNS1_3gpuE6ELNS1_3repE0EEENS1_30default_config_static_selectorELNS0_4arch9wavefront6targetE0EEEvSP_
	.p2align	8
	.type	_ZN7rocprim17ROCPRIM_400000_NS6detail17trampoline_kernelINS0_14default_configENS1_29binary_search_config_selectorIdbEEZNS1_14transform_implILb0ES3_S5_N6thrust23THRUST_200600_302600_NS6detail15normal_iteratorINS8_10device_ptrIdEEEENSA_INSB_IbEEEEZNS1_13binary_searchIS3_S5_SD_SD_SF_NS1_16binary_search_opENS9_16wrapped_functionINS0_4lessIvEEbEEEE10hipError_tPvRmT1_T2_T3_mmT4_T5_P12ihipStream_tbEUlRKdE_EESM_SQ_SR_mSS_SV_bEUlT_E_NS1_11comp_targetILNS1_3genE2ELNS1_11target_archE906ELNS1_3gpuE6ELNS1_3repE0EEENS1_30default_config_static_selectorELNS0_4arch9wavefront6targetE0EEEvSP_,@function
_ZN7rocprim17ROCPRIM_400000_NS6detail17trampoline_kernelINS0_14default_configENS1_29binary_search_config_selectorIdbEEZNS1_14transform_implILb0ES3_S5_N6thrust23THRUST_200600_302600_NS6detail15normal_iteratorINS8_10device_ptrIdEEEENSA_INSB_IbEEEEZNS1_13binary_searchIS3_S5_SD_SD_SF_NS1_16binary_search_opENS9_16wrapped_functionINS0_4lessIvEEbEEEE10hipError_tPvRmT1_T2_T3_mmT4_T5_P12ihipStream_tbEUlRKdE_EESM_SQ_SR_mSS_SV_bEUlT_E_NS1_11comp_targetILNS1_3genE2ELNS1_11target_archE906ELNS1_3gpuE6ELNS1_3repE0EEENS1_30default_config_static_selectorELNS0_4arch9wavefront6targetE0EEEvSP_: ; @_ZN7rocprim17ROCPRIM_400000_NS6detail17trampoline_kernelINS0_14default_configENS1_29binary_search_config_selectorIdbEEZNS1_14transform_implILb0ES3_S5_N6thrust23THRUST_200600_302600_NS6detail15normal_iteratorINS8_10device_ptrIdEEEENSA_INSB_IbEEEEZNS1_13binary_searchIS3_S5_SD_SD_SF_NS1_16binary_search_opENS9_16wrapped_functionINS0_4lessIvEEbEEEE10hipError_tPvRmT1_T2_T3_mmT4_T5_P12ihipStream_tbEUlRKdE_EESM_SQ_SR_mSS_SV_bEUlT_E_NS1_11comp_targetILNS1_3genE2ELNS1_11target_archE906ELNS1_3gpuE6ELNS1_3repE0EEENS1_30default_config_static_selectorELNS0_4arch9wavefront6targetE0EEEvSP_
; %bb.0:
	.section	.rodata,"a",@progbits
	.p2align	6, 0x0
	.amdhsa_kernel _ZN7rocprim17ROCPRIM_400000_NS6detail17trampoline_kernelINS0_14default_configENS1_29binary_search_config_selectorIdbEEZNS1_14transform_implILb0ES3_S5_N6thrust23THRUST_200600_302600_NS6detail15normal_iteratorINS8_10device_ptrIdEEEENSA_INSB_IbEEEEZNS1_13binary_searchIS3_S5_SD_SD_SF_NS1_16binary_search_opENS9_16wrapped_functionINS0_4lessIvEEbEEEE10hipError_tPvRmT1_T2_T3_mmT4_T5_P12ihipStream_tbEUlRKdE_EESM_SQ_SR_mSS_SV_bEUlT_E_NS1_11comp_targetILNS1_3genE2ELNS1_11target_archE906ELNS1_3gpuE6ELNS1_3repE0EEENS1_30default_config_static_selectorELNS0_4arch9wavefront6targetE0EEEvSP_
		.amdhsa_group_segment_fixed_size 0
		.amdhsa_private_segment_fixed_size 0
		.amdhsa_kernarg_size 56
		.amdhsa_user_sgpr_count 15
		.amdhsa_user_sgpr_dispatch_ptr 0
		.amdhsa_user_sgpr_queue_ptr 0
		.amdhsa_user_sgpr_kernarg_segment_ptr 1
		.amdhsa_user_sgpr_dispatch_id 0
		.amdhsa_user_sgpr_private_segment_size 0
		.amdhsa_wavefront_size32 1
		.amdhsa_uses_dynamic_stack 0
		.amdhsa_enable_private_segment 0
		.amdhsa_system_sgpr_workgroup_id_x 1
		.amdhsa_system_sgpr_workgroup_id_y 0
		.amdhsa_system_sgpr_workgroup_id_z 0
		.amdhsa_system_sgpr_workgroup_info 0
		.amdhsa_system_vgpr_workitem_id 0
		.amdhsa_next_free_vgpr 1
		.amdhsa_next_free_sgpr 1
		.amdhsa_reserve_vcc 0
		.amdhsa_float_round_mode_32 0
		.amdhsa_float_round_mode_16_64 0
		.amdhsa_float_denorm_mode_32 3
		.amdhsa_float_denorm_mode_16_64 3
		.amdhsa_dx10_clamp 1
		.amdhsa_ieee_mode 1
		.amdhsa_fp16_overflow 0
		.amdhsa_workgroup_processor_mode 1
		.amdhsa_memory_ordered 1
		.amdhsa_forward_progress 0
		.amdhsa_shared_vgpr_count 0
		.amdhsa_exception_fp_ieee_invalid_op 0
		.amdhsa_exception_fp_denorm_src 0
		.amdhsa_exception_fp_ieee_div_zero 0
		.amdhsa_exception_fp_ieee_overflow 0
		.amdhsa_exception_fp_ieee_underflow 0
		.amdhsa_exception_fp_ieee_inexact 0
		.amdhsa_exception_int_div_zero 0
	.end_amdhsa_kernel
	.section	.text._ZN7rocprim17ROCPRIM_400000_NS6detail17trampoline_kernelINS0_14default_configENS1_29binary_search_config_selectorIdbEEZNS1_14transform_implILb0ES3_S5_N6thrust23THRUST_200600_302600_NS6detail15normal_iteratorINS8_10device_ptrIdEEEENSA_INSB_IbEEEEZNS1_13binary_searchIS3_S5_SD_SD_SF_NS1_16binary_search_opENS9_16wrapped_functionINS0_4lessIvEEbEEEE10hipError_tPvRmT1_T2_T3_mmT4_T5_P12ihipStream_tbEUlRKdE_EESM_SQ_SR_mSS_SV_bEUlT_E_NS1_11comp_targetILNS1_3genE2ELNS1_11target_archE906ELNS1_3gpuE6ELNS1_3repE0EEENS1_30default_config_static_selectorELNS0_4arch9wavefront6targetE0EEEvSP_,"axG",@progbits,_ZN7rocprim17ROCPRIM_400000_NS6detail17trampoline_kernelINS0_14default_configENS1_29binary_search_config_selectorIdbEEZNS1_14transform_implILb0ES3_S5_N6thrust23THRUST_200600_302600_NS6detail15normal_iteratorINS8_10device_ptrIdEEEENSA_INSB_IbEEEEZNS1_13binary_searchIS3_S5_SD_SD_SF_NS1_16binary_search_opENS9_16wrapped_functionINS0_4lessIvEEbEEEE10hipError_tPvRmT1_T2_T3_mmT4_T5_P12ihipStream_tbEUlRKdE_EESM_SQ_SR_mSS_SV_bEUlT_E_NS1_11comp_targetILNS1_3genE2ELNS1_11target_archE906ELNS1_3gpuE6ELNS1_3repE0EEENS1_30default_config_static_selectorELNS0_4arch9wavefront6targetE0EEEvSP_,comdat
.Lfunc_end406:
	.size	_ZN7rocprim17ROCPRIM_400000_NS6detail17trampoline_kernelINS0_14default_configENS1_29binary_search_config_selectorIdbEEZNS1_14transform_implILb0ES3_S5_N6thrust23THRUST_200600_302600_NS6detail15normal_iteratorINS8_10device_ptrIdEEEENSA_INSB_IbEEEEZNS1_13binary_searchIS3_S5_SD_SD_SF_NS1_16binary_search_opENS9_16wrapped_functionINS0_4lessIvEEbEEEE10hipError_tPvRmT1_T2_T3_mmT4_T5_P12ihipStream_tbEUlRKdE_EESM_SQ_SR_mSS_SV_bEUlT_E_NS1_11comp_targetILNS1_3genE2ELNS1_11target_archE906ELNS1_3gpuE6ELNS1_3repE0EEENS1_30default_config_static_selectorELNS0_4arch9wavefront6targetE0EEEvSP_, .Lfunc_end406-_ZN7rocprim17ROCPRIM_400000_NS6detail17trampoline_kernelINS0_14default_configENS1_29binary_search_config_selectorIdbEEZNS1_14transform_implILb0ES3_S5_N6thrust23THRUST_200600_302600_NS6detail15normal_iteratorINS8_10device_ptrIdEEEENSA_INSB_IbEEEEZNS1_13binary_searchIS3_S5_SD_SD_SF_NS1_16binary_search_opENS9_16wrapped_functionINS0_4lessIvEEbEEEE10hipError_tPvRmT1_T2_T3_mmT4_T5_P12ihipStream_tbEUlRKdE_EESM_SQ_SR_mSS_SV_bEUlT_E_NS1_11comp_targetILNS1_3genE2ELNS1_11target_archE906ELNS1_3gpuE6ELNS1_3repE0EEENS1_30default_config_static_selectorELNS0_4arch9wavefront6targetE0EEEvSP_
                                        ; -- End function
	.section	.AMDGPU.csdata,"",@progbits
; Kernel info:
; codeLenInByte = 0
; NumSgprs: 0
; NumVgprs: 0
; ScratchSize: 0
; MemoryBound: 0
; FloatMode: 240
; IeeeMode: 1
; LDSByteSize: 0 bytes/workgroup (compile time only)
; SGPRBlocks: 0
; VGPRBlocks: 0
; NumSGPRsForWavesPerEU: 1
; NumVGPRsForWavesPerEU: 1
; Occupancy: 16
; WaveLimiterHint : 0
; COMPUTE_PGM_RSRC2:SCRATCH_EN: 0
; COMPUTE_PGM_RSRC2:USER_SGPR: 15
; COMPUTE_PGM_RSRC2:TRAP_HANDLER: 0
; COMPUTE_PGM_RSRC2:TGID_X_EN: 1
; COMPUTE_PGM_RSRC2:TGID_Y_EN: 0
; COMPUTE_PGM_RSRC2:TGID_Z_EN: 0
; COMPUTE_PGM_RSRC2:TIDIG_COMP_CNT: 0
	.section	.text._ZN7rocprim17ROCPRIM_400000_NS6detail17trampoline_kernelINS0_14default_configENS1_29binary_search_config_selectorIdbEEZNS1_14transform_implILb0ES3_S5_N6thrust23THRUST_200600_302600_NS6detail15normal_iteratorINS8_10device_ptrIdEEEENSA_INSB_IbEEEEZNS1_13binary_searchIS3_S5_SD_SD_SF_NS1_16binary_search_opENS9_16wrapped_functionINS0_4lessIvEEbEEEE10hipError_tPvRmT1_T2_T3_mmT4_T5_P12ihipStream_tbEUlRKdE_EESM_SQ_SR_mSS_SV_bEUlT_E_NS1_11comp_targetILNS1_3genE10ELNS1_11target_archE1201ELNS1_3gpuE5ELNS1_3repE0EEENS1_30default_config_static_selectorELNS0_4arch9wavefront6targetE0EEEvSP_,"axG",@progbits,_ZN7rocprim17ROCPRIM_400000_NS6detail17trampoline_kernelINS0_14default_configENS1_29binary_search_config_selectorIdbEEZNS1_14transform_implILb0ES3_S5_N6thrust23THRUST_200600_302600_NS6detail15normal_iteratorINS8_10device_ptrIdEEEENSA_INSB_IbEEEEZNS1_13binary_searchIS3_S5_SD_SD_SF_NS1_16binary_search_opENS9_16wrapped_functionINS0_4lessIvEEbEEEE10hipError_tPvRmT1_T2_T3_mmT4_T5_P12ihipStream_tbEUlRKdE_EESM_SQ_SR_mSS_SV_bEUlT_E_NS1_11comp_targetILNS1_3genE10ELNS1_11target_archE1201ELNS1_3gpuE5ELNS1_3repE0EEENS1_30default_config_static_selectorELNS0_4arch9wavefront6targetE0EEEvSP_,comdat
	.protected	_ZN7rocprim17ROCPRIM_400000_NS6detail17trampoline_kernelINS0_14default_configENS1_29binary_search_config_selectorIdbEEZNS1_14transform_implILb0ES3_S5_N6thrust23THRUST_200600_302600_NS6detail15normal_iteratorINS8_10device_ptrIdEEEENSA_INSB_IbEEEEZNS1_13binary_searchIS3_S5_SD_SD_SF_NS1_16binary_search_opENS9_16wrapped_functionINS0_4lessIvEEbEEEE10hipError_tPvRmT1_T2_T3_mmT4_T5_P12ihipStream_tbEUlRKdE_EESM_SQ_SR_mSS_SV_bEUlT_E_NS1_11comp_targetILNS1_3genE10ELNS1_11target_archE1201ELNS1_3gpuE5ELNS1_3repE0EEENS1_30default_config_static_selectorELNS0_4arch9wavefront6targetE0EEEvSP_ ; -- Begin function _ZN7rocprim17ROCPRIM_400000_NS6detail17trampoline_kernelINS0_14default_configENS1_29binary_search_config_selectorIdbEEZNS1_14transform_implILb0ES3_S5_N6thrust23THRUST_200600_302600_NS6detail15normal_iteratorINS8_10device_ptrIdEEEENSA_INSB_IbEEEEZNS1_13binary_searchIS3_S5_SD_SD_SF_NS1_16binary_search_opENS9_16wrapped_functionINS0_4lessIvEEbEEEE10hipError_tPvRmT1_T2_T3_mmT4_T5_P12ihipStream_tbEUlRKdE_EESM_SQ_SR_mSS_SV_bEUlT_E_NS1_11comp_targetILNS1_3genE10ELNS1_11target_archE1201ELNS1_3gpuE5ELNS1_3repE0EEENS1_30default_config_static_selectorELNS0_4arch9wavefront6targetE0EEEvSP_
	.globl	_ZN7rocprim17ROCPRIM_400000_NS6detail17trampoline_kernelINS0_14default_configENS1_29binary_search_config_selectorIdbEEZNS1_14transform_implILb0ES3_S5_N6thrust23THRUST_200600_302600_NS6detail15normal_iteratorINS8_10device_ptrIdEEEENSA_INSB_IbEEEEZNS1_13binary_searchIS3_S5_SD_SD_SF_NS1_16binary_search_opENS9_16wrapped_functionINS0_4lessIvEEbEEEE10hipError_tPvRmT1_T2_T3_mmT4_T5_P12ihipStream_tbEUlRKdE_EESM_SQ_SR_mSS_SV_bEUlT_E_NS1_11comp_targetILNS1_3genE10ELNS1_11target_archE1201ELNS1_3gpuE5ELNS1_3repE0EEENS1_30default_config_static_selectorELNS0_4arch9wavefront6targetE0EEEvSP_
	.p2align	8
	.type	_ZN7rocprim17ROCPRIM_400000_NS6detail17trampoline_kernelINS0_14default_configENS1_29binary_search_config_selectorIdbEEZNS1_14transform_implILb0ES3_S5_N6thrust23THRUST_200600_302600_NS6detail15normal_iteratorINS8_10device_ptrIdEEEENSA_INSB_IbEEEEZNS1_13binary_searchIS3_S5_SD_SD_SF_NS1_16binary_search_opENS9_16wrapped_functionINS0_4lessIvEEbEEEE10hipError_tPvRmT1_T2_T3_mmT4_T5_P12ihipStream_tbEUlRKdE_EESM_SQ_SR_mSS_SV_bEUlT_E_NS1_11comp_targetILNS1_3genE10ELNS1_11target_archE1201ELNS1_3gpuE5ELNS1_3repE0EEENS1_30default_config_static_selectorELNS0_4arch9wavefront6targetE0EEEvSP_,@function
_ZN7rocprim17ROCPRIM_400000_NS6detail17trampoline_kernelINS0_14default_configENS1_29binary_search_config_selectorIdbEEZNS1_14transform_implILb0ES3_S5_N6thrust23THRUST_200600_302600_NS6detail15normal_iteratorINS8_10device_ptrIdEEEENSA_INSB_IbEEEEZNS1_13binary_searchIS3_S5_SD_SD_SF_NS1_16binary_search_opENS9_16wrapped_functionINS0_4lessIvEEbEEEE10hipError_tPvRmT1_T2_T3_mmT4_T5_P12ihipStream_tbEUlRKdE_EESM_SQ_SR_mSS_SV_bEUlT_E_NS1_11comp_targetILNS1_3genE10ELNS1_11target_archE1201ELNS1_3gpuE5ELNS1_3repE0EEENS1_30default_config_static_selectorELNS0_4arch9wavefront6targetE0EEEvSP_: ; @_ZN7rocprim17ROCPRIM_400000_NS6detail17trampoline_kernelINS0_14default_configENS1_29binary_search_config_selectorIdbEEZNS1_14transform_implILb0ES3_S5_N6thrust23THRUST_200600_302600_NS6detail15normal_iteratorINS8_10device_ptrIdEEEENSA_INSB_IbEEEEZNS1_13binary_searchIS3_S5_SD_SD_SF_NS1_16binary_search_opENS9_16wrapped_functionINS0_4lessIvEEbEEEE10hipError_tPvRmT1_T2_T3_mmT4_T5_P12ihipStream_tbEUlRKdE_EESM_SQ_SR_mSS_SV_bEUlT_E_NS1_11comp_targetILNS1_3genE10ELNS1_11target_archE1201ELNS1_3gpuE5ELNS1_3repE0EEENS1_30default_config_static_selectorELNS0_4arch9wavefront6targetE0EEEvSP_
; %bb.0:
	.section	.rodata,"a",@progbits
	.p2align	6, 0x0
	.amdhsa_kernel _ZN7rocprim17ROCPRIM_400000_NS6detail17trampoline_kernelINS0_14default_configENS1_29binary_search_config_selectorIdbEEZNS1_14transform_implILb0ES3_S5_N6thrust23THRUST_200600_302600_NS6detail15normal_iteratorINS8_10device_ptrIdEEEENSA_INSB_IbEEEEZNS1_13binary_searchIS3_S5_SD_SD_SF_NS1_16binary_search_opENS9_16wrapped_functionINS0_4lessIvEEbEEEE10hipError_tPvRmT1_T2_T3_mmT4_T5_P12ihipStream_tbEUlRKdE_EESM_SQ_SR_mSS_SV_bEUlT_E_NS1_11comp_targetILNS1_3genE10ELNS1_11target_archE1201ELNS1_3gpuE5ELNS1_3repE0EEENS1_30default_config_static_selectorELNS0_4arch9wavefront6targetE0EEEvSP_
		.amdhsa_group_segment_fixed_size 0
		.amdhsa_private_segment_fixed_size 0
		.amdhsa_kernarg_size 56
		.amdhsa_user_sgpr_count 15
		.amdhsa_user_sgpr_dispatch_ptr 0
		.amdhsa_user_sgpr_queue_ptr 0
		.amdhsa_user_sgpr_kernarg_segment_ptr 1
		.amdhsa_user_sgpr_dispatch_id 0
		.amdhsa_user_sgpr_private_segment_size 0
		.amdhsa_wavefront_size32 1
		.amdhsa_uses_dynamic_stack 0
		.amdhsa_enable_private_segment 0
		.amdhsa_system_sgpr_workgroup_id_x 1
		.amdhsa_system_sgpr_workgroup_id_y 0
		.amdhsa_system_sgpr_workgroup_id_z 0
		.amdhsa_system_sgpr_workgroup_info 0
		.amdhsa_system_vgpr_workitem_id 0
		.amdhsa_next_free_vgpr 1
		.amdhsa_next_free_sgpr 1
		.amdhsa_reserve_vcc 0
		.amdhsa_float_round_mode_32 0
		.amdhsa_float_round_mode_16_64 0
		.amdhsa_float_denorm_mode_32 3
		.amdhsa_float_denorm_mode_16_64 3
		.amdhsa_dx10_clamp 1
		.amdhsa_ieee_mode 1
		.amdhsa_fp16_overflow 0
		.amdhsa_workgroup_processor_mode 1
		.amdhsa_memory_ordered 1
		.amdhsa_forward_progress 0
		.amdhsa_shared_vgpr_count 0
		.amdhsa_exception_fp_ieee_invalid_op 0
		.amdhsa_exception_fp_denorm_src 0
		.amdhsa_exception_fp_ieee_div_zero 0
		.amdhsa_exception_fp_ieee_overflow 0
		.amdhsa_exception_fp_ieee_underflow 0
		.amdhsa_exception_fp_ieee_inexact 0
		.amdhsa_exception_int_div_zero 0
	.end_amdhsa_kernel
	.section	.text._ZN7rocprim17ROCPRIM_400000_NS6detail17trampoline_kernelINS0_14default_configENS1_29binary_search_config_selectorIdbEEZNS1_14transform_implILb0ES3_S5_N6thrust23THRUST_200600_302600_NS6detail15normal_iteratorINS8_10device_ptrIdEEEENSA_INSB_IbEEEEZNS1_13binary_searchIS3_S5_SD_SD_SF_NS1_16binary_search_opENS9_16wrapped_functionINS0_4lessIvEEbEEEE10hipError_tPvRmT1_T2_T3_mmT4_T5_P12ihipStream_tbEUlRKdE_EESM_SQ_SR_mSS_SV_bEUlT_E_NS1_11comp_targetILNS1_3genE10ELNS1_11target_archE1201ELNS1_3gpuE5ELNS1_3repE0EEENS1_30default_config_static_selectorELNS0_4arch9wavefront6targetE0EEEvSP_,"axG",@progbits,_ZN7rocprim17ROCPRIM_400000_NS6detail17trampoline_kernelINS0_14default_configENS1_29binary_search_config_selectorIdbEEZNS1_14transform_implILb0ES3_S5_N6thrust23THRUST_200600_302600_NS6detail15normal_iteratorINS8_10device_ptrIdEEEENSA_INSB_IbEEEEZNS1_13binary_searchIS3_S5_SD_SD_SF_NS1_16binary_search_opENS9_16wrapped_functionINS0_4lessIvEEbEEEE10hipError_tPvRmT1_T2_T3_mmT4_T5_P12ihipStream_tbEUlRKdE_EESM_SQ_SR_mSS_SV_bEUlT_E_NS1_11comp_targetILNS1_3genE10ELNS1_11target_archE1201ELNS1_3gpuE5ELNS1_3repE0EEENS1_30default_config_static_selectorELNS0_4arch9wavefront6targetE0EEEvSP_,comdat
.Lfunc_end407:
	.size	_ZN7rocprim17ROCPRIM_400000_NS6detail17trampoline_kernelINS0_14default_configENS1_29binary_search_config_selectorIdbEEZNS1_14transform_implILb0ES3_S5_N6thrust23THRUST_200600_302600_NS6detail15normal_iteratorINS8_10device_ptrIdEEEENSA_INSB_IbEEEEZNS1_13binary_searchIS3_S5_SD_SD_SF_NS1_16binary_search_opENS9_16wrapped_functionINS0_4lessIvEEbEEEE10hipError_tPvRmT1_T2_T3_mmT4_T5_P12ihipStream_tbEUlRKdE_EESM_SQ_SR_mSS_SV_bEUlT_E_NS1_11comp_targetILNS1_3genE10ELNS1_11target_archE1201ELNS1_3gpuE5ELNS1_3repE0EEENS1_30default_config_static_selectorELNS0_4arch9wavefront6targetE0EEEvSP_, .Lfunc_end407-_ZN7rocprim17ROCPRIM_400000_NS6detail17trampoline_kernelINS0_14default_configENS1_29binary_search_config_selectorIdbEEZNS1_14transform_implILb0ES3_S5_N6thrust23THRUST_200600_302600_NS6detail15normal_iteratorINS8_10device_ptrIdEEEENSA_INSB_IbEEEEZNS1_13binary_searchIS3_S5_SD_SD_SF_NS1_16binary_search_opENS9_16wrapped_functionINS0_4lessIvEEbEEEE10hipError_tPvRmT1_T2_T3_mmT4_T5_P12ihipStream_tbEUlRKdE_EESM_SQ_SR_mSS_SV_bEUlT_E_NS1_11comp_targetILNS1_3genE10ELNS1_11target_archE1201ELNS1_3gpuE5ELNS1_3repE0EEENS1_30default_config_static_selectorELNS0_4arch9wavefront6targetE0EEEvSP_
                                        ; -- End function
	.section	.AMDGPU.csdata,"",@progbits
; Kernel info:
; codeLenInByte = 0
; NumSgprs: 0
; NumVgprs: 0
; ScratchSize: 0
; MemoryBound: 0
; FloatMode: 240
; IeeeMode: 1
; LDSByteSize: 0 bytes/workgroup (compile time only)
; SGPRBlocks: 0
; VGPRBlocks: 0
; NumSGPRsForWavesPerEU: 1
; NumVGPRsForWavesPerEU: 1
; Occupancy: 16
; WaveLimiterHint : 0
; COMPUTE_PGM_RSRC2:SCRATCH_EN: 0
; COMPUTE_PGM_RSRC2:USER_SGPR: 15
; COMPUTE_PGM_RSRC2:TRAP_HANDLER: 0
; COMPUTE_PGM_RSRC2:TGID_X_EN: 1
; COMPUTE_PGM_RSRC2:TGID_Y_EN: 0
; COMPUTE_PGM_RSRC2:TGID_Z_EN: 0
; COMPUTE_PGM_RSRC2:TIDIG_COMP_CNT: 0
	.section	.text._ZN7rocprim17ROCPRIM_400000_NS6detail17trampoline_kernelINS0_14default_configENS1_29binary_search_config_selectorIdbEEZNS1_14transform_implILb0ES3_S5_N6thrust23THRUST_200600_302600_NS6detail15normal_iteratorINS8_10device_ptrIdEEEENSA_INSB_IbEEEEZNS1_13binary_searchIS3_S5_SD_SD_SF_NS1_16binary_search_opENS9_16wrapped_functionINS0_4lessIvEEbEEEE10hipError_tPvRmT1_T2_T3_mmT4_T5_P12ihipStream_tbEUlRKdE_EESM_SQ_SR_mSS_SV_bEUlT_E_NS1_11comp_targetILNS1_3genE10ELNS1_11target_archE1200ELNS1_3gpuE4ELNS1_3repE0EEENS1_30default_config_static_selectorELNS0_4arch9wavefront6targetE0EEEvSP_,"axG",@progbits,_ZN7rocprim17ROCPRIM_400000_NS6detail17trampoline_kernelINS0_14default_configENS1_29binary_search_config_selectorIdbEEZNS1_14transform_implILb0ES3_S5_N6thrust23THRUST_200600_302600_NS6detail15normal_iteratorINS8_10device_ptrIdEEEENSA_INSB_IbEEEEZNS1_13binary_searchIS3_S5_SD_SD_SF_NS1_16binary_search_opENS9_16wrapped_functionINS0_4lessIvEEbEEEE10hipError_tPvRmT1_T2_T3_mmT4_T5_P12ihipStream_tbEUlRKdE_EESM_SQ_SR_mSS_SV_bEUlT_E_NS1_11comp_targetILNS1_3genE10ELNS1_11target_archE1200ELNS1_3gpuE4ELNS1_3repE0EEENS1_30default_config_static_selectorELNS0_4arch9wavefront6targetE0EEEvSP_,comdat
	.protected	_ZN7rocprim17ROCPRIM_400000_NS6detail17trampoline_kernelINS0_14default_configENS1_29binary_search_config_selectorIdbEEZNS1_14transform_implILb0ES3_S5_N6thrust23THRUST_200600_302600_NS6detail15normal_iteratorINS8_10device_ptrIdEEEENSA_INSB_IbEEEEZNS1_13binary_searchIS3_S5_SD_SD_SF_NS1_16binary_search_opENS9_16wrapped_functionINS0_4lessIvEEbEEEE10hipError_tPvRmT1_T2_T3_mmT4_T5_P12ihipStream_tbEUlRKdE_EESM_SQ_SR_mSS_SV_bEUlT_E_NS1_11comp_targetILNS1_3genE10ELNS1_11target_archE1200ELNS1_3gpuE4ELNS1_3repE0EEENS1_30default_config_static_selectorELNS0_4arch9wavefront6targetE0EEEvSP_ ; -- Begin function _ZN7rocprim17ROCPRIM_400000_NS6detail17trampoline_kernelINS0_14default_configENS1_29binary_search_config_selectorIdbEEZNS1_14transform_implILb0ES3_S5_N6thrust23THRUST_200600_302600_NS6detail15normal_iteratorINS8_10device_ptrIdEEEENSA_INSB_IbEEEEZNS1_13binary_searchIS3_S5_SD_SD_SF_NS1_16binary_search_opENS9_16wrapped_functionINS0_4lessIvEEbEEEE10hipError_tPvRmT1_T2_T3_mmT4_T5_P12ihipStream_tbEUlRKdE_EESM_SQ_SR_mSS_SV_bEUlT_E_NS1_11comp_targetILNS1_3genE10ELNS1_11target_archE1200ELNS1_3gpuE4ELNS1_3repE0EEENS1_30default_config_static_selectorELNS0_4arch9wavefront6targetE0EEEvSP_
	.globl	_ZN7rocprim17ROCPRIM_400000_NS6detail17trampoline_kernelINS0_14default_configENS1_29binary_search_config_selectorIdbEEZNS1_14transform_implILb0ES3_S5_N6thrust23THRUST_200600_302600_NS6detail15normal_iteratorINS8_10device_ptrIdEEEENSA_INSB_IbEEEEZNS1_13binary_searchIS3_S5_SD_SD_SF_NS1_16binary_search_opENS9_16wrapped_functionINS0_4lessIvEEbEEEE10hipError_tPvRmT1_T2_T3_mmT4_T5_P12ihipStream_tbEUlRKdE_EESM_SQ_SR_mSS_SV_bEUlT_E_NS1_11comp_targetILNS1_3genE10ELNS1_11target_archE1200ELNS1_3gpuE4ELNS1_3repE0EEENS1_30default_config_static_selectorELNS0_4arch9wavefront6targetE0EEEvSP_
	.p2align	8
	.type	_ZN7rocprim17ROCPRIM_400000_NS6detail17trampoline_kernelINS0_14default_configENS1_29binary_search_config_selectorIdbEEZNS1_14transform_implILb0ES3_S5_N6thrust23THRUST_200600_302600_NS6detail15normal_iteratorINS8_10device_ptrIdEEEENSA_INSB_IbEEEEZNS1_13binary_searchIS3_S5_SD_SD_SF_NS1_16binary_search_opENS9_16wrapped_functionINS0_4lessIvEEbEEEE10hipError_tPvRmT1_T2_T3_mmT4_T5_P12ihipStream_tbEUlRKdE_EESM_SQ_SR_mSS_SV_bEUlT_E_NS1_11comp_targetILNS1_3genE10ELNS1_11target_archE1200ELNS1_3gpuE4ELNS1_3repE0EEENS1_30default_config_static_selectorELNS0_4arch9wavefront6targetE0EEEvSP_,@function
_ZN7rocprim17ROCPRIM_400000_NS6detail17trampoline_kernelINS0_14default_configENS1_29binary_search_config_selectorIdbEEZNS1_14transform_implILb0ES3_S5_N6thrust23THRUST_200600_302600_NS6detail15normal_iteratorINS8_10device_ptrIdEEEENSA_INSB_IbEEEEZNS1_13binary_searchIS3_S5_SD_SD_SF_NS1_16binary_search_opENS9_16wrapped_functionINS0_4lessIvEEbEEEE10hipError_tPvRmT1_T2_T3_mmT4_T5_P12ihipStream_tbEUlRKdE_EESM_SQ_SR_mSS_SV_bEUlT_E_NS1_11comp_targetILNS1_3genE10ELNS1_11target_archE1200ELNS1_3gpuE4ELNS1_3repE0EEENS1_30default_config_static_selectorELNS0_4arch9wavefront6targetE0EEEvSP_: ; @_ZN7rocprim17ROCPRIM_400000_NS6detail17trampoline_kernelINS0_14default_configENS1_29binary_search_config_selectorIdbEEZNS1_14transform_implILb0ES3_S5_N6thrust23THRUST_200600_302600_NS6detail15normal_iteratorINS8_10device_ptrIdEEEENSA_INSB_IbEEEEZNS1_13binary_searchIS3_S5_SD_SD_SF_NS1_16binary_search_opENS9_16wrapped_functionINS0_4lessIvEEbEEEE10hipError_tPvRmT1_T2_T3_mmT4_T5_P12ihipStream_tbEUlRKdE_EESM_SQ_SR_mSS_SV_bEUlT_E_NS1_11comp_targetILNS1_3genE10ELNS1_11target_archE1200ELNS1_3gpuE4ELNS1_3repE0EEENS1_30default_config_static_selectorELNS0_4arch9wavefront6targetE0EEEvSP_
; %bb.0:
	.section	.rodata,"a",@progbits
	.p2align	6, 0x0
	.amdhsa_kernel _ZN7rocprim17ROCPRIM_400000_NS6detail17trampoline_kernelINS0_14default_configENS1_29binary_search_config_selectorIdbEEZNS1_14transform_implILb0ES3_S5_N6thrust23THRUST_200600_302600_NS6detail15normal_iteratorINS8_10device_ptrIdEEEENSA_INSB_IbEEEEZNS1_13binary_searchIS3_S5_SD_SD_SF_NS1_16binary_search_opENS9_16wrapped_functionINS0_4lessIvEEbEEEE10hipError_tPvRmT1_T2_T3_mmT4_T5_P12ihipStream_tbEUlRKdE_EESM_SQ_SR_mSS_SV_bEUlT_E_NS1_11comp_targetILNS1_3genE10ELNS1_11target_archE1200ELNS1_3gpuE4ELNS1_3repE0EEENS1_30default_config_static_selectorELNS0_4arch9wavefront6targetE0EEEvSP_
		.amdhsa_group_segment_fixed_size 0
		.amdhsa_private_segment_fixed_size 0
		.amdhsa_kernarg_size 56
		.amdhsa_user_sgpr_count 15
		.amdhsa_user_sgpr_dispatch_ptr 0
		.amdhsa_user_sgpr_queue_ptr 0
		.amdhsa_user_sgpr_kernarg_segment_ptr 1
		.amdhsa_user_sgpr_dispatch_id 0
		.amdhsa_user_sgpr_private_segment_size 0
		.amdhsa_wavefront_size32 1
		.amdhsa_uses_dynamic_stack 0
		.amdhsa_enable_private_segment 0
		.amdhsa_system_sgpr_workgroup_id_x 1
		.amdhsa_system_sgpr_workgroup_id_y 0
		.amdhsa_system_sgpr_workgroup_id_z 0
		.amdhsa_system_sgpr_workgroup_info 0
		.amdhsa_system_vgpr_workitem_id 0
		.amdhsa_next_free_vgpr 1
		.amdhsa_next_free_sgpr 1
		.amdhsa_reserve_vcc 0
		.amdhsa_float_round_mode_32 0
		.amdhsa_float_round_mode_16_64 0
		.amdhsa_float_denorm_mode_32 3
		.amdhsa_float_denorm_mode_16_64 3
		.amdhsa_dx10_clamp 1
		.amdhsa_ieee_mode 1
		.amdhsa_fp16_overflow 0
		.amdhsa_workgroup_processor_mode 1
		.amdhsa_memory_ordered 1
		.amdhsa_forward_progress 0
		.amdhsa_shared_vgpr_count 0
		.amdhsa_exception_fp_ieee_invalid_op 0
		.amdhsa_exception_fp_denorm_src 0
		.amdhsa_exception_fp_ieee_div_zero 0
		.amdhsa_exception_fp_ieee_overflow 0
		.amdhsa_exception_fp_ieee_underflow 0
		.amdhsa_exception_fp_ieee_inexact 0
		.amdhsa_exception_int_div_zero 0
	.end_amdhsa_kernel
	.section	.text._ZN7rocprim17ROCPRIM_400000_NS6detail17trampoline_kernelINS0_14default_configENS1_29binary_search_config_selectorIdbEEZNS1_14transform_implILb0ES3_S5_N6thrust23THRUST_200600_302600_NS6detail15normal_iteratorINS8_10device_ptrIdEEEENSA_INSB_IbEEEEZNS1_13binary_searchIS3_S5_SD_SD_SF_NS1_16binary_search_opENS9_16wrapped_functionINS0_4lessIvEEbEEEE10hipError_tPvRmT1_T2_T3_mmT4_T5_P12ihipStream_tbEUlRKdE_EESM_SQ_SR_mSS_SV_bEUlT_E_NS1_11comp_targetILNS1_3genE10ELNS1_11target_archE1200ELNS1_3gpuE4ELNS1_3repE0EEENS1_30default_config_static_selectorELNS0_4arch9wavefront6targetE0EEEvSP_,"axG",@progbits,_ZN7rocprim17ROCPRIM_400000_NS6detail17trampoline_kernelINS0_14default_configENS1_29binary_search_config_selectorIdbEEZNS1_14transform_implILb0ES3_S5_N6thrust23THRUST_200600_302600_NS6detail15normal_iteratorINS8_10device_ptrIdEEEENSA_INSB_IbEEEEZNS1_13binary_searchIS3_S5_SD_SD_SF_NS1_16binary_search_opENS9_16wrapped_functionINS0_4lessIvEEbEEEE10hipError_tPvRmT1_T2_T3_mmT4_T5_P12ihipStream_tbEUlRKdE_EESM_SQ_SR_mSS_SV_bEUlT_E_NS1_11comp_targetILNS1_3genE10ELNS1_11target_archE1200ELNS1_3gpuE4ELNS1_3repE0EEENS1_30default_config_static_selectorELNS0_4arch9wavefront6targetE0EEEvSP_,comdat
.Lfunc_end408:
	.size	_ZN7rocprim17ROCPRIM_400000_NS6detail17trampoline_kernelINS0_14default_configENS1_29binary_search_config_selectorIdbEEZNS1_14transform_implILb0ES3_S5_N6thrust23THRUST_200600_302600_NS6detail15normal_iteratorINS8_10device_ptrIdEEEENSA_INSB_IbEEEEZNS1_13binary_searchIS3_S5_SD_SD_SF_NS1_16binary_search_opENS9_16wrapped_functionINS0_4lessIvEEbEEEE10hipError_tPvRmT1_T2_T3_mmT4_T5_P12ihipStream_tbEUlRKdE_EESM_SQ_SR_mSS_SV_bEUlT_E_NS1_11comp_targetILNS1_3genE10ELNS1_11target_archE1200ELNS1_3gpuE4ELNS1_3repE0EEENS1_30default_config_static_selectorELNS0_4arch9wavefront6targetE0EEEvSP_, .Lfunc_end408-_ZN7rocprim17ROCPRIM_400000_NS6detail17trampoline_kernelINS0_14default_configENS1_29binary_search_config_selectorIdbEEZNS1_14transform_implILb0ES3_S5_N6thrust23THRUST_200600_302600_NS6detail15normal_iteratorINS8_10device_ptrIdEEEENSA_INSB_IbEEEEZNS1_13binary_searchIS3_S5_SD_SD_SF_NS1_16binary_search_opENS9_16wrapped_functionINS0_4lessIvEEbEEEE10hipError_tPvRmT1_T2_T3_mmT4_T5_P12ihipStream_tbEUlRKdE_EESM_SQ_SR_mSS_SV_bEUlT_E_NS1_11comp_targetILNS1_3genE10ELNS1_11target_archE1200ELNS1_3gpuE4ELNS1_3repE0EEENS1_30default_config_static_selectorELNS0_4arch9wavefront6targetE0EEEvSP_
                                        ; -- End function
	.section	.AMDGPU.csdata,"",@progbits
; Kernel info:
; codeLenInByte = 0
; NumSgprs: 0
; NumVgprs: 0
; ScratchSize: 0
; MemoryBound: 0
; FloatMode: 240
; IeeeMode: 1
; LDSByteSize: 0 bytes/workgroup (compile time only)
; SGPRBlocks: 0
; VGPRBlocks: 0
; NumSGPRsForWavesPerEU: 1
; NumVGPRsForWavesPerEU: 1
; Occupancy: 16
; WaveLimiterHint : 0
; COMPUTE_PGM_RSRC2:SCRATCH_EN: 0
; COMPUTE_PGM_RSRC2:USER_SGPR: 15
; COMPUTE_PGM_RSRC2:TRAP_HANDLER: 0
; COMPUTE_PGM_RSRC2:TGID_X_EN: 1
; COMPUTE_PGM_RSRC2:TGID_Y_EN: 0
; COMPUTE_PGM_RSRC2:TGID_Z_EN: 0
; COMPUTE_PGM_RSRC2:TIDIG_COMP_CNT: 0
	.section	.text._ZN7rocprim17ROCPRIM_400000_NS6detail17trampoline_kernelINS0_14default_configENS1_29binary_search_config_selectorIdbEEZNS1_14transform_implILb0ES3_S5_N6thrust23THRUST_200600_302600_NS6detail15normal_iteratorINS8_10device_ptrIdEEEENSA_INSB_IbEEEEZNS1_13binary_searchIS3_S5_SD_SD_SF_NS1_16binary_search_opENS9_16wrapped_functionINS0_4lessIvEEbEEEE10hipError_tPvRmT1_T2_T3_mmT4_T5_P12ihipStream_tbEUlRKdE_EESM_SQ_SR_mSS_SV_bEUlT_E_NS1_11comp_targetILNS1_3genE9ELNS1_11target_archE1100ELNS1_3gpuE3ELNS1_3repE0EEENS1_30default_config_static_selectorELNS0_4arch9wavefront6targetE0EEEvSP_,"axG",@progbits,_ZN7rocprim17ROCPRIM_400000_NS6detail17trampoline_kernelINS0_14default_configENS1_29binary_search_config_selectorIdbEEZNS1_14transform_implILb0ES3_S5_N6thrust23THRUST_200600_302600_NS6detail15normal_iteratorINS8_10device_ptrIdEEEENSA_INSB_IbEEEEZNS1_13binary_searchIS3_S5_SD_SD_SF_NS1_16binary_search_opENS9_16wrapped_functionINS0_4lessIvEEbEEEE10hipError_tPvRmT1_T2_T3_mmT4_T5_P12ihipStream_tbEUlRKdE_EESM_SQ_SR_mSS_SV_bEUlT_E_NS1_11comp_targetILNS1_3genE9ELNS1_11target_archE1100ELNS1_3gpuE3ELNS1_3repE0EEENS1_30default_config_static_selectorELNS0_4arch9wavefront6targetE0EEEvSP_,comdat
	.protected	_ZN7rocprim17ROCPRIM_400000_NS6detail17trampoline_kernelINS0_14default_configENS1_29binary_search_config_selectorIdbEEZNS1_14transform_implILb0ES3_S5_N6thrust23THRUST_200600_302600_NS6detail15normal_iteratorINS8_10device_ptrIdEEEENSA_INSB_IbEEEEZNS1_13binary_searchIS3_S5_SD_SD_SF_NS1_16binary_search_opENS9_16wrapped_functionINS0_4lessIvEEbEEEE10hipError_tPvRmT1_T2_T3_mmT4_T5_P12ihipStream_tbEUlRKdE_EESM_SQ_SR_mSS_SV_bEUlT_E_NS1_11comp_targetILNS1_3genE9ELNS1_11target_archE1100ELNS1_3gpuE3ELNS1_3repE0EEENS1_30default_config_static_selectorELNS0_4arch9wavefront6targetE0EEEvSP_ ; -- Begin function _ZN7rocprim17ROCPRIM_400000_NS6detail17trampoline_kernelINS0_14default_configENS1_29binary_search_config_selectorIdbEEZNS1_14transform_implILb0ES3_S5_N6thrust23THRUST_200600_302600_NS6detail15normal_iteratorINS8_10device_ptrIdEEEENSA_INSB_IbEEEEZNS1_13binary_searchIS3_S5_SD_SD_SF_NS1_16binary_search_opENS9_16wrapped_functionINS0_4lessIvEEbEEEE10hipError_tPvRmT1_T2_T3_mmT4_T5_P12ihipStream_tbEUlRKdE_EESM_SQ_SR_mSS_SV_bEUlT_E_NS1_11comp_targetILNS1_3genE9ELNS1_11target_archE1100ELNS1_3gpuE3ELNS1_3repE0EEENS1_30default_config_static_selectorELNS0_4arch9wavefront6targetE0EEEvSP_
	.globl	_ZN7rocprim17ROCPRIM_400000_NS6detail17trampoline_kernelINS0_14default_configENS1_29binary_search_config_selectorIdbEEZNS1_14transform_implILb0ES3_S5_N6thrust23THRUST_200600_302600_NS6detail15normal_iteratorINS8_10device_ptrIdEEEENSA_INSB_IbEEEEZNS1_13binary_searchIS3_S5_SD_SD_SF_NS1_16binary_search_opENS9_16wrapped_functionINS0_4lessIvEEbEEEE10hipError_tPvRmT1_T2_T3_mmT4_T5_P12ihipStream_tbEUlRKdE_EESM_SQ_SR_mSS_SV_bEUlT_E_NS1_11comp_targetILNS1_3genE9ELNS1_11target_archE1100ELNS1_3gpuE3ELNS1_3repE0EEENS1_30default_config_static_selectorELNS0_4arch9wavefront6targetE0EEEvSP_
	.p2align	8
	.type	_ZN7rocprim17ROCPRIM_400000_NS6detail17trampoline_kernelINS0_14default_configENS1_29binary_search_config_selectorIdbEEZNS1_14transform_implILb0ES3_S5_N6thrust23THRUST_200600_302600_NS6detail15normal_iteratorINS8_10device_ptrIdEEEENSA_INSB_IbEEEEZNS1_13binary_searchIS3_S5_SD_SD_SF_NS1_16binary_search_opENS9_16wrapped_functionINS0_4lessIvEEbEEEE10hipError_tPvRmT1_T2_T3_mmT4_T5_P12ihipStream_tbEUlRKdE_EESM_SQ_SR_mSS_SV_bEUlT_E_NS1_11comp_targetILNS1_3genE9ELNS1_11target_archE1100ELNS1_3gpuE3ELNS1_3repE0EEENS1_30default_config_static_selectorELNS0_4arch9wavefront6targetE0EEEvSP_,@function
_ZN7rocprim17ROCPRIM_400000_NS6detail17trampoline_kernelINS0_14default_configENS1_29binary_search_config_selectorIdbEEZNS1_14transform_implILb0ES3_S5_N6thrust23THRUST_200600_302600_NS6detail15normal_iteratorINS8_10device_ptrIdEEEENSA_INSB_IbEEEEZNS1_13binary_searchIS3_S5_SD_SD_SF_NS1_16binary_search_opENS9_16wrapped_functionINS0_4lessIvEEbEEEE10hipError_tPvRmT1_T2_T3_mmT4_T5_P12ihipStream_tbEUlRKdE_EESM_SQ_SR_mSS_SV_bEUlT_E_NS1_11comp_targetILNS1_3genE9ELNS1_11target_archE1100ELNS1_3gpuE3ELNS1_3repE0EEENS1_30default_config_static_selectorELNS0_4arch9wavefront6targetE0EEEvSP_: ; @_ZN7rocprim17ROCPRIM_400000_NS6detail17trampoline_kernelINS0_14default_configENS1_29binary_search_config_selectorIdbEEZNS1_14transform_implILb0ES3_S5_N6thrust23THRUST_200600_302600_NS6detail15normal_iteratorINS8_10device_ptrIdEEEENSA_INSB_IbEEEEZNS1_13binary_searchIS3_S5_SD_SD_SF_NS1_16binary_search_opENS9_16wrapped_functionINS0_4lessIvEEbEEEE10hipError_tPvRmT1_T2_T3_mmT4_T5_P12ihipStream_tbEUlRKdE_EESM_SQ_SR_mSS_SV_bEUlT_E_NS1_11comp_targetILNS1_3genE9ELNS1_11target_archE1100ELNS1_3gpuE3ELNS1_3repE0EEENS1_30default_config_static_selectorELNS0_4arch9wavefront6targetE0EEEvSP_
; %bb.0:
	s_clause 0x2
	s_load_b256 s[4:11], s[0:1], 0x0
	s_load_b32 s2, s[0:1], 0x38
	s_load_b128 s[20:23], s[0:1], 0x20
	s_mov_b32 s19, 0
	s_waitcnt lgkmcnt(0)
	s_lshl_b64 s[0:1], s[6:7], 3
	s_delay_alu instid0(SALU_CYCLE_1)
	s_add_u32 s3, s4, s0
	s_addc_u32 s4, s5, s1
	s_add_u32 s17, s10, s6
	s_addc_u32 s24, s11, s7
	s_lshl_b32 s18, s15, 10
	s_add_i32 s2, s2, -1
	s_lshl_b64 s[0:1], s[18:19], 3
	s_delay_alu instid0(SALU_CYCLE_1)
	s_add_u32 s16, s3, s0
	s_addc_u32 s25, s4, s1
	s_cmp_lg_u32 s15, s2
	s_mov_b32 s0, -1
	s_cbranch_scc0 .LBB409_98
; %bb.1:
	v_lshlrev_b32_e32 v1, 3, v0
	s_cmp_lg_u64 s[22:23], 0
	s_mov_b32 s1, 0
	s_cselect_b32 s2, -1, 0
	s_cmp_eq_u64 s[22:23], 0
	v_add_co_u32 v1, s0, s16, v1
	s_delay_alu instid0(VALU_DEP_1)
	v_add_co_ci_u32_e64 v2, null, s25, 0, s0
	s_clause 0x3
	flat_load_b64 v[31:32], v[1:2]
	flat_load_b64 v[29:30], v[1:2] offset:512
	flat_load_b64 v[27:28], v[1:2] offset:1024
	;; [unrolled: 1-line block ×3, first 2 shown]
	v_add_co_u32 v33, vcc_lo, 0x1000, v1
	v_add_co_ci_u32_e32 v34, vcc_lo, 0, v2, vcc_lo
	s_clause 0xb
	flat_load_b64 v[23:24], v[1:2] offset:2048
	flat_load_b64 v[21:22], v[1:2] offset:2560
	;; [unrolled: 1-line block ×4, first 2 shown]
	flat_load_b64 v[15:16], v[33:34]
	flat_load_b64 v[13:14], v[33:34] offset:512
	flat_load_b64 v[11:12], v[33:34] offset:1024
	;; [unrolled: 1-line block ×7, first 2 shown]
	v_mov_b32_e32 v33, 0
	v_mov_b32_e32 v34, 0
	s_cbranch_scc1 .LBB409_5
; %bb.2:
	v_dual_mov_b32 v33, 0 :: v_dual_mov_b32 v36, s23
	v_dual_mov_b32 v34, 0 :: v_dual_mov_b32 v35, s22
	s_set_inst_prefetch_distance 0x1
	.p2align	6
.LBB409_3:                              ; =>This Inner Loop Header: Depth=1
	s_delay_alu instid0(VALU_DEP_1) | instskip(NEXT) | instid1(VALU_DEP_2)
	v_sub_co_u32 v37, vcc_lo, v35, v33
	v_sub_co_ci_u32_e32 v38, vcc_lo, v36, v34, vcc_lo
	s_delay_alu instid0(VALU_DEP_1) | instskip(SKIP_1) | instid1(VALU_DEP_2)
	v_lshrrev_b64 v[39:40], 1, v[37:38]
	v_lshrrev_b64 v[37:38], 6, v[37:38]
	v_add_co_u32 v39, vcc_lo, v39, v33
	s_delay_alu instid0(VALU_DEP_3) | instskip(NEXT) | instid1(VALU_DEP_2)
	v_add_co_ci_u32_e32 v40, vcc_lo, v40, v34, vcc_lo
	v_add_co_u32 v37, vcc_lo, v39, v37
	s_delay_alu instid0(VALU_DEP_2) | instskip(NEXT) | instid1(VALU_DEP_1)
	v_add_co_ci_u32_e32 v38, vcc_lo, v40, v38, vcc_lo
	v_lshlrev_b64 v[39:40], 3, v[37:38]
	s_delay_alu instid0(VALU_DEP_1) | instskip(NEXT) | instid1(VALU_DEP_2)
	v_add_co_u32 v39, vcc_lo, s20, v39
	v_add_co_ci_u32_e32 v40, vcc_lo, s21, v40, vcc_lo
	global_load_b64 v[39:40], v[39:40], off
	s_waitcnt vmcnt(0) lgkmcnt(15)
	v_cmp_lt_f64_e32 vcc_lo, v[39:40], v[31:32]
	v_add_co_u32 v39, s0, v37, 1
	s_delay_alu instid0(VALU_DEP_1) | instskip(SKIP_1) | instid1(VALU_DEP_2)
	v_add_co_ci_u32_e64 v40, s0, 0, v38, s0
	v_dual_cndmask_b32 v36, v38, v36 :: v_dual_cndmask_b32 v35, v37, v35
	v_dual_cndmask_b32 v34, v34, v40 :: v_dual_cndmask_b32 v33, v33, v39
	s_delay_alu instid0(VALU_DEP_1) | instskip(SKIP_1) | instid1(SALU_CYCLE_1)
	v_cmp_ge_u64_e32 vcc_lo, v[33:34], v[35:36]
	s_or_b32 s1, vcc_lo, s1
	s_and_not1_b32 exec_lo, exec_lo, s1
	s_cbranch_execnz .LBB409_3
; %bb.4:
	s_set_inst_prefetch_distance 0x2
	s_or_b32 exec_lo, exec_lo, s1
.LBB409_5:
	s_mov_b32 s1, 0
	s_mov_b32 s0, exec_lo
	s_delay_alu instid0(VALU_DEP_1)
	v_cmpx_ne_u64_e64 s[22:23], v[33:34]
	s_cbranch_execz .LBB409_7
; %bb.6:
	v_lshlrev_b64 v[33:34], 3, v[33:34]
	s_delay_alu instid0(VALU_DEP_1) | instskip(NEXT) | instid1(VALU_DEP_2)
	v_add_co_u32 v33, vcc_lo, s20, v33
	v_add_co_ci_u32_e32 v34, vcc_lo, s21, v34, vcc_lo
	global_load_b64 v[33:34], v[33:34], off
	s_waitcnt vmcnt(0) lgkmcnt(15)
	v_cmp_ngt_f64_e32 vcc_lo, v[33:34], v[31:32]
	s_and_b32 s1, vcc_lo, exec_lo
.LBB409_7:
	s_or_b32 exec_lo, exec_lo, s0
	s_waitcnt vmcnt(15) lgkmcnt(15)
	v_mov_b32_e32 v31, 0
	v_cndmask_b32_e64 v35, 0, 1, s2
	v_mov_b32_e32 v32, 0
	s_and_not1_b32 vcc_lo, exec_lo, s2
	s_cbranch_vccnz .LBB409_11
; %bb.8:
	v_dual_mov_b32 v34, s23 :: v_dual_mov_b32 v33, s22
	s_mov_b32 s2, 0
	s_set_inst_prefetch_distance 0x1
	.p2align	6
.LBB409_9:                              ; =>This Inner Loop Header: Depth=1
	s_delay_alu instid0(VALU_DEP_1) | instskip(NEXT) | instid1(VALU_DEP_2)
	v_sub_co_u32 v36, vcc_lo, v33, v31
	v_sub_co_ci_u32_e32 v37, vcc_lo, v34, v32, vcc_lo
	s_delay_alu instid0(VALU_DEP_1) | instskip(SKIP_1) | instid1(VALU_DEP_2)
	v_lshrrev_b64 v[38:39], 1, v[36:37]
	v_lshrrev_b64 v[36:37], 6, v[36:37]
	v_add_co_u32 v38, vcc_lo, v38, v31
	s_delay_alu instid0(VALU_DEP_3) | instskip(NEXT) | instid1(VALU_DEP_2)
	v_add_co_ci_u32_e32 v39, vcc_lo, v39, v32, vcc_lo
	v_add_co_u32 v36, vcc_lo, v38, v36
	s_delay_alu instid0(VALU_DEP_2) | instskip(NEXT) | instid1(VALU_DEP_1)
	v_add_co_ci_u32_e32 v37, vcc_lo, v39, v37, vcc_lo
	v_lshlrev_b64 v[38:39], 3, v[36:37]
	s_delay_alu instid0(VALU_DEP_1) | instskip(NEXT) | instid1(VALU_DEP_2)
	v_add_co_u32 v38, vcc_lo, s20, v38
	v_add_co_ci_u32_e32 v39, vcc_lo, s21, v39, vcc_lo
	global_load_b64 v[38:39], v[38:39], off
	s_waitcnt vmcnt(0) lgkmcnt(14)
	v_cmp_lt_f64_e32 vcc_lo, v[38:39], v[29:30]
	v_add_co_u32 v38, s0, v36, 1
	s_delay_alu instid0(VALU_DEP_1) | instskip(SKIP_1) | instid1(VALU_DEP_2)
	v_add_co_ci_u32_e64 v39, s0, 0, v37, s0
	v_dual_cndmask_b32 v34, v37, v34 :: v_dual_cndmask_b32 v33, v36, v33
	v_dual_cndmask_b32 v32, v32, v39 :: v_dual_cndmask_b32 v31, v31, v38
	s_delay_alu instid0(VALU_DEP_1) | instskip(SKIP_1) | instid1(SALU_CYCLE_1)
	v_cmp_ge_u64_e32 vcc_lo, v[31:32], v[33:34]
	s_or_b32 s2, vcc_lo, s2
	s_and_not1_b32 exec_lo, exec_lo, s2
	s_cbranch_execnz .LBB409_9
; %bb.10:
	s_set_inst_prefetch_distance 0x2
	s_or_b32 exec_lo, exec_lo, s2
.LBB409_11:
	s_mov_b32 s2, 0
	s_mov_b32 s0, exec_lo
	v_cmpx_ne_u64_e64 s[22:23], v[31:32]
	s_cbranch_execz .LBB409_13
; %bb.12:
	v_lshlrev_b64 v[31:32], 3, v[31:32]
	s_delay_alu instid0(VALU_DEP_1) | instskip(NEXT) | instid1(VALU_DEP_2)
	v_add_co_u32 v31, vcc_lo, s20, v31
	v_add_co_ci_u32_e32 v32, vcc_lo, s21, v32, vcc_lo
	global_load_b64 v[31:32], v[31:32], off
	s_waitcnt vmcnt(0) lgkmcnt(14)
	v_cmp_ngt_f64_e32 vcc_lo, v[31:32], v[29:30]
	s_and_b32 s2, vcc_lo, exec_lo
.LBB409_13:
	s_or_b32 exec_lo, exec_lo, s0
	v_cmp_ne_u32_e32 vcc_lo, 1, v35
	s_waitcnt vmcnt(14) lgkmcnt(14)
	v_mov_b32_e32 v29, 0
	v_mov_b32_e32 v30, 0
	s_cbranch_vccnz .LBB409_17
; %bb.14:
	v_dual_mov_b32 v32, s23 :: v_dual_mov_b32 v31, s22
	s_mov_b32 s3, 0
	s_set_inst_prefetch_distance 0x1
	.p2align	6
.LBB409_15:                             ; =>This Inner Loop Header: Depth=1
	s_delay_alu instid0(VALU_DEP_1) | instskip(NEXT) | instid1(VALU_DEP_2)
	v_sub_co_u32 v33, vcc_lo, v31, v29
	v_sub_co_ci_u32_e32 v34, vcc_lo, v32, v30, vcc_lo
	s_delay_alu instid0(VALU_DEP_1) | instskip(SKIP_1) | instid1(VALU_DEP_2)
	v_lshrrev_b64 v[36:37], 1, v[33:34]
	v_lshrrev_b64 v[33:34], 6, v[33:34]
	v_add_co_u32 v36, vcc_lo, v36, v29
	s_delay_alu instid0(VALU_DEP_3) | instskip(NEXT) | instid1(VALU_DEP_2)
	v_add_co_ci_u32_e32 v37, vcc_lo, v37, v30, vcc_lo
	v_add_co_u32 v33, vcc_lo, v36, v33
	s_delay_alu instid0(VALU_DEP_2) | instskip(NEXT) | instid1(VALU_DEP_1)
	v_add_co_ci_u32_e32 v34, vcc_lo, v37, v34, vcc_lo
	v_lshlrev_b64 v[36:37], 3, v[33:34]
	s_delay_alu instid0(VALU_DEP_1) | instskip(NEXT) | instid1(VALU_DEP_2)
	v_add_co_u32 v36, vcc_lo, s20, v36
	v_add_co_ci_u32_e32 v37, vcc_lo, s21, v37, vcc_lo
	global_load_b64 v[36:37], v[36:37], off
	s_waitcnt vmcnt(0) lgkmcnt(13)
	v_cmp_lt_f64_e32 vcc_lo, v[36:37], v[27:28]
	v_add_co_u32 v36, s0, v33, 1
	s_delay_alu instid0(VALU_DEP_1) | instskip(SKIP_1) | instid1(VALU_DEP_2)
	v_add_co_ci_u32_e64 v37, s0, 0, v34, s0
	v_dual_cndmask_b32 v32, v34, v32 :: v_dual_cndmask_b32 v31, v33, v31
	v_dual_cndmask_b32 v30, v30, v37 :: v_dual_cndmask_b32 v29, v29, v36
	s_delay_alu instid0(VALU_DEP_1) | instskip(SKIP_1) | instid1(SALU_CYCLE_1)
	v_cmp_ge_u64_e32 vcc_lo, v[29:30], v[31:32]
	s_or_b32 s3, vcc_lo, s3
	s_and_not1_b32 exec_lo, exec_lo, s3
	s_cbranch_execnz .LBB409_15
; %bb.16:
	s_set_inst_prefetch_distance 0x2
	s_or_b32 exec_lo, exec_lo, s3
.LBB409_17:
	s_mov_b32 s3, 0
	s_mov_b32 s0, exec_lo
	s_delay_alu instid0(VALU_DEP_1)
	v_cmpx_ne_u64_e64 s[22:23], v[29:30]
	s_cbranch_execz .LBB409_19
; %bb.18:
	v_lshlrev_b64 v[29:30], 3, v[29:30]
	s_delay_alu instid0(VALU_DEP_1) | instskip(NEXT) | instid1(VALU_DEP_2)
	v_add_co_u32 v29, vcc_lo, s20, v29
	v_add_co_ci_u32_e32 v30, vcc_lo, s21, v30, vcc_lo
	global_load_b64 v[29:30], v[29:30], off
	s_waitcnt vmcnt(0) lgkmcnt(13)
	v_cmp_ngt_f64_e32 vcc_lo, v[29:30], v[27:28]
	s_and_b32 s3, vcc_lo, exec_lo
.LBB409_19:
	s_or_b32 exec_lo, exec_lo, s0
	v_cmp_ne_u32_e32 vcc_lo, 1, v35
	s_waitcnt vmcnt(13) lgkmcnt(13)
	v_mov_b32_e32 v27, 0
	v_mov_b32_e32 v28, 0
	s_cbranch_vccnz .LBB409_23
; %bb.20:
	v_dual_mov_b32 v30, s23 :: v_dual_mov_b32 v29, s22
	s_mov_b32 s4, 0
	s_set_inst_prefetch_distance 0x1
	.p2align	6
.LBB409_21:                             ; =>This Inner Loop Header: Depth=1
	s_delay_alu instid0(VALU_DEP_1) | instskip(NEXT) | instid1(VALU_DEP_2)
	v_sub_co_u32 v31, vcc_lo, v29, v27
	v_sub_co_ci_u32_e32 v32, vcc_lo, v30, v28, vcc_lo
	s_delay_alu instid0(VALU_DEP_1) | instskip(SKIP_1) | instid1(VALU_DEP_2)
	v_lshrrev_b64 v[33:34], 1, v[31:32]
	v_lshrrev_b64 v[31:32], 6, v[31:32]
	v_add_co_u32 v33, vcc_lo, v33, v27
	s_delay_alu instid0(VALU_DEP_3) | instskip(NEXT) | instid1(VALU_DEP_2)
	v_add_co_ci_u32_e32 v34, vcc_lo, v34, v28, vcc_lo
	v_add_co_u32 v31, vcc_lo, v33, v31
	s_delay_alu instid0(VALU_DEP_2) | instskip(NEXT) | instid1(VALU_DEP_1)
	v_add_co_ci_u32_e32 v32, vcc_lo, v34, v32, vcc_lo
	v_lshlrev_b64 v[33:34], 3, v[31:32]
	s_delay_alu instid0(VALU_DEP_1) | instskip(NEXT) | instid1(VALU_DEP_2)
	v_add_co_u32 v33, vcc_lo, s20, v33
	v_add_co_ci_u32_e32 v34, vcc_lo, s21, v34, vcc_lo
	global_load_b64 v[33:34], v[33:34], off
	s_waitcnt vmcnt(0) lgkmcnt(12)
	v_cmp_lt_f64_e32 vcc_lo, v[33:34], v[25:26]
	v_add_co_u32 v33, s0, v31, 1
	s_delay_alu instid0(VALU_DEP_1) | instskip(SKIP_1) | instid1(VALU_DEP_2)
	v_add_co_ci_u32_e64 v34, s0, 0, v32, s0
	v_dual_cndmask_b32 v30, v32, v30 :: v_dual_cndmask_b32 v29, v31, v29
	v_dual_cndmask_b32 v28, v28, v34 :: v_dual_cndmask_b32 v27, v27, v33
	s_delay_alu instid0(VALU_DEP_1) | instskip(SKIP_1) | instid1(SALU_CYCLE_1)
	v_cmp_ge_u64_e32 vcc_lo, v[27:28], v[29:30]
	s_or_b32 s4, vcc_lo, s4
	s_and_not1_b32 exec_lo, exec_lo, s4
	s_cbranch_execnz .LBB409_21
; %bb.22:
	s_set_inst_prefetch_distance 0x2
	s_or_b32 exec_lo, exec_lo, s4
.LBB409_23:
	s_mov_b32 s4, 0
	s_mov_b32 s0, exec_lo
	s_delay_alu instid0(VALU_DEP_1)
	v_cmpx_ne_u64_e64 s[22:23], v[27:28]
	s_cbranch_execz .LBB409_25
; %bb.24:
	v_lshlrev_b64 v[27:28], 3, v[27:28]
	s_delay_alu instid0(VALU_DEP_1) | instskip(NEXT) | instid1(VALU_DEP_2)
	v_add_co_u32 v27, vcc_lo, s20, v27
	v_add_co_ci_u32_e32 v28, vcc_lo, s21, v28, vcc_lo
	global_load_b64 v[27:28], v[27:28], off
	s_waitcnt vmcnt(0) lgkmcnt(12)
	v_cmp_ngt_f64_e32 vcc_lo, v[27:28], v[25:26]
	s_and_b32 s4, vcc_lo, exec_lo
.LBB409_25:
	s_or_b32 exec_lo, exec_lo, s0
	v_cmp_ne_u32_e32 vcc_lo, 1, v35
	s_waitcnt vmcnt(12) lgkmcnt(12)
	v_mov_b32_e32 v25, 0
	v_mov_b32_e32 v26, 0
	s_cbranch_vccnz .LBB409_29
; %bb.26:
	v_dual_mov_b32 v28, s23 :: v_dual_mov_b32 v27, s22
	s_mov_b32 s5, 0
	s_set_inst_prefetch_distance 0x1
	.p2align	6
.LBB409_27:                             ; =>This Inner Loop Header: Depth=1
	s_delay_alu instid0(VALU_DEP_1) | instskip(NEXT) | instid1(VALU_DEP_2)
	v_sub_co_u32 v29, vcc_lo, v27, v25
	v_sub_co_ci_u32_e32 v30, vcc_lo, v28, v26, vcc_lo
	s_delay_alu instid0(VALU_DEP_1) | instskip(SKIP_1) | instid1(VALU_DEP_2)
	v_lshrrev_b64 v[31:32], 1, v[29:30]
	v_lshrrev_b64 v[29:30], 6, v[29:30]
	v_add_co_u32 v31, vcc_lo, v31, v25
	s_delay_alu instid0(VALU_DEP_3) | instskip(NEXT) | instid1(VALU_DEP_2)
	v_add_co_ci_u32_e32 v32, vcc_lo, v32, v26, vcc_lo
	v_add_co_u32 v29, vcc_lo, v31, v29
	s_delay_alu instid0(VALU_DEP_2) | instskip(NEXT) | instid1(VALU_DEP_1)
	v_add_co_ci_u32_e32 v30, vcc_lo, v32, v30, vcc_lo
	v_lshlrev_b64 v[31:32], 3, v[29:30]
	s_delay_alu instid0(VALU_DEP_1) | instskip(NEXT) | instid1(VALU_DEP_2)
	v_add_co_u32 v31, vcc_lo, s20, v31
	v_add_co_ci_u32_e32 v32, vcc_lo, s21, v32, vcc_lo
	global_load_b64 v[31:32], v[31:32], off
	s_waitcnt vmcnt(0) lgkmcnt(11)
	v_cmp_lt_f64_e32 vcc_lo, v[31:32], v[23:24]
	v_add_co_u32 v31, s0, v29, 1
	s_delay_alu instid0(VALU_DEP_1) | instskip(SKIP_1) | instid1(VALU_DEP_2)
	v_add_co_ci_u32_e64 v32, s0, 0, v30, s0
	v_dual_cndmask_b32 v28, v30, v28 :: v_dual_cndmask_b32 v27, v29, v27
	v_dual_cndmask_b32 v26, v26, v32 :: v_dual_cndmask_b32 v25, v25, v31
	s_delay_alu instid0(VALU_DEP_1) | instskip(SKIP_1) | instid1(SALU_CYCLE_1)
	v_cmp_ge_u64_e32 vcc_lo, v[25:26], v[27:28]
	s_or_b32 s5, vcc_lo, s5
	s_and_not1_b32 exec_lo, exec_lo, s5
	s_cbranch_execnz .LBB409_27
; %bb.28:
	s_set_inst_prefetch_distance 0x2
	s_or_b32 exec_lo, exec_lo, s5
.LBB409_29:
	s_mov_b32 s5, 0
	s_mov_b32 s0, exec_lo
	s_delay_alu instid0(VALU_DEP_1)
	v_cmpx_ne_u64_e64 s[22:23], v[25:26]
	s_cbranch_execz .LBB409_31
; %bb.30:
	v_lshlrev_b64 v[25:26], 3, v[25:26]
	s_delay_alu instid0(VALU_DEP_1) | instskip(NEXT) | instid1(VALU_DEP_2)
	v_add_co_u32 v25, vcc_lo, s20, v25
	v_add_co_ci_u32_e32 v26, vcc_lo, s21, v26, vcc_lo
	global_load_b64 v[25:26], v[25:26], off
	s_waitcnt vmcnt(0) lgkmcnt(11)
	v_cmp_ngt_f64_e32 vcc_lo, v[25:26], v[23:24]
	s_and_b32 s5, vcc_lo, exec_lo
.LBB409_31:
	s_or_b32 exec_lo, exec_lo, s0
	v_cmp_ne_u32_e32 vcc_lo, 1, v35
	s_waitcnt vmcnt(11) lgkmcnt(11)
	v_mov_b32_e32 v23, 0
	v_mov_b32_e32 v24, 0
	s_cbranch_vccnz .LBB409_35
; %bb.32:
	v_dual_mov_b32 v26, s23 :: v_dual_mov_b32 v25, s22
	s_mov_b32 s6, 0
	s_set_inst_prefetch_distance 0x1
	.p2align	6
.LBB409_33:                             ; =>This Inner Loop Header: Depth=1
	s_delay_alu instid0(VALU_DEP_1) | instskip(NEXT) | instid1(VALU_DEP_2)
	v_sub_co_u32 v27, vcc_lo, v25, v23
	v_sub_co_ci_u32_e32 v28, vcc_lo, v26, v24, vcc_lo
	s_delay_alu instid0(VALU_DEP_1) | instskip(SKIP_1) | instid1(VALU_DEP_2)
	v_lshrrev_b64 v[29:30], 1, v[27:28]
	v_lshrrev_b64 v[27:28], 6, v[27:28]
	v_add_co_u32 v29, vcc_lo, v29, v23
	s_delay_alu instid0(VALU_DEP_3) | instskip(NEXT) | instid1(VALU_DEP_2)
	v_add_co_ci_u32_e32 v30, vcc_lo, v30, v24, vcc_lo
	v_add_co_u32 v27, vcc_lo, v29, v27
	s_delay_alu instid0(VALU_DEP_2) | instskip(NEXT) | instid1(VALU_DEP_1)
	v_add_co_ci_u32_e32 v28, vcc_lo, v30, v28, vcc_lo
	v_lshlrev_b64 v[29:30], 3, v[27:28]
	s_delay_alu instid0(VALU_DEP_1) | instskip(NEXT) | instid1(VALU_DEP_2)
	v_add_co_u32 v29, vcc_lo, s20, v29
	v_add_co_ci_u32_e32 v30, vcc_lo, s21, v30, vcc_lo
	global_load_b64 v[29:30], v[29:30], off
	s_waitcnt vmcnt(0) lgkmcnt(10)
	v_cmp_lt_f64_e32 vcc_lo, v[29:30], v[21:22]
	v_add_co_u32 v29, s0, v27, 1
	s_delay_alu instid0(VALU_DEP_1) | instskip(SKIP_1) | instid1(VALU_DEP_2)
	v_add_co_ci_u32_e64 v30, s0, 0, v28, s0
	v_dual_cndmask_b32 v26, v28, v26 :: v_dual_cndmask_b32 v25, v27, v25
	v_dual_cndmask_b32 v24, v24, v30 :: v_dual_cndmask_b32 v23, v23, v29
	s_delay_alu instid0(VALU_DEP_1) | instskip(SKIP_1) | instid1(SALU_CYCLE_1)
	v_cmp_ge_u64_e32 vcc_lo, v[23:24], v[25:26]
	s_or_b32 s6, vcc_lo, s6
	s_and_not1_b32 exec_lo, exec_lo, s6
	s_cbranch_execnz .LBB409_33
; %bb.34:
	s_set_inst_prefetch_distance 0x2
	s_or_b32 exec_lo, exec_lo, s6
.LBB409_35:
	s_mov_b32 s6, 0
	s_mov_b32 s0, exec_lo
	s_delay_alu instid0(VALU_DEP_1)
	v_cmpx_ne_u64_e64 s[22:23], v[23:24]
	s_cbranch_execz .LBB409_37
; %bb.36:
	v_lshlrev_b64 v[23:24], 3, v[23:24]
	s_delay_alu instid0(VALU_DEP_1) | instskip(NEXT) | instid1(VALU_DEP_2)
	v_add_co_u32 v23, vcc_lo, s20, v23
	v_add_co_ci_u32_e32 v24, vcc_lo, s21, v24, vcc_lo
	global_load_b64 v[23:24], v[23:24], off
	s_waitcnt vmcnt(0) lgkmcnt(10)
	v_cmp_ngt_f64_e32 vcc_lo, v[23:24], v[21:22]
	s_and_b32 s6, vcc_lo, exec_lo
.LBB409_37:
	s_or_b32 exec_lo, exec_lo, s0
	v_cmp_ne_u32_e32 vcc_lo, 1, v35
	s_waitcnt vmcnt(10) lgkmcnt(10)
	v_mov_b32_e32 v21, 0
	v_mov_b32_e32 v22, 0
	s_cbranch_vccnz .LBB409_41
; %bb.38:
	v_dual_mov_b32 v24, s23 :: v_dual_mov_b32 v23, s22
	s_mov_b32 s7, 0
	s_set_inst_prefetch_distance 0x1
	.p2align	6
.LBB409_39:                             ; =>This Inner Loop Header: Depth=1
	s_delay_alu instid0(VALU_DEP_1) | instskip(NEXT) | instid1(VALU_DEP_2)
	v_sub_co_u32 v25, vcc_lo, v23, v21
	v_sub_co_ci_u32_e32 v26, vcc_lo, v24, v22, vcc_lo
	s_delay_alu instid0(VALU_DEP_1) | instskip(SKIP_1) | instid1(VALU_DEP_2)
	v_lshrrev_b64 v[27:28], 1, v[25:26]
	v_lshrrev_b64 v[25:26], 6, v[25:26]
	v_add_co_u32 v27, vcc_lo, v27, v21
	s_delay_alu instid0(VALU_DEP_3) | instskip(NEXT) | instid1(VALU_DEP_2)
	v_add_co_ci_u32_e32 v28, vcc_lo, v28, v22, vcc_lo
	v_add_co_u32 v25, vcc_lo, v27, v25
	s_delay_alu instid0(VALU_DEP_2) | instskip(NEXT) | instid1(VALU_DEP_1)
	v_add_co_ci_u32_e32 v26, vcc_lo, v28, v26, vcc_lo
	v_lshlrev_b64 v[27:28], 3, v[25:26]
	s_delay_alu instid0(VALU_DEP_1) | instskip(NEXT) | instid1(VALU_DEP_2)
	v_add_co_u32 v27, vcc_lo, s20, v27
	v_add_co_ci_u32_e32 v28, vcc_lo, s21, v28, vcc_lo
	global_load_b64 v[27:28], v[27:28], off
	s_waitcnt vmcnt(0) lgkmcnt(9)
	v_cmp_lt_f64_e32 vcc_lo, v[27:28], v[19:20]
	v_add_co_u32 v27, s0, v25, 1
	s_delay_alu instid0(VALU_DEP_1) | instskip(SKIP_1) | instid1(VALU_DEP_2)
	v_add_co_ci_u32_e64 v28, s0, 0, v26, s0
	v_dual_cndmask_b32 v24, v26, v24 :: v_dual_cndmask_b32 v23, v25, v23
	v_dual_cndmask_b32 v22, v22, v28 :: v_dual_cndmask_b32 v21, v21, v27
	s_delay_alu instid0(VALU_DEP_1) | instskip(SKIP_1) | instid1(SALU_CYCLE_1)
	v_cmp_ge_u64_e32 vcc_lo, v[21:22], v[23:24]
	s_or_b32 s7, vcc_lo, s7
	s_and_not1_b32 exec_lo, exec_lo, s7
	s_cbranch_execnz .LBB409_39
; %bb.40:
	s_set_inst_prefetch_distance 0x2
	s_or_b32 exec_lo, exec_lo, s7
.LBB409_41:
	s_mov_b32 s7, 0
	s_mov_b32 s0, exec_lo
	s_delay_alu instid0(VALU_DEP_1)
	v_cmpx_ne_u64_e64 s[22:23], v[21:22]
	s_cbranch_execz .LBB409_43
; %bb.42:
	v_lshlrev_b64 v[21:22], 3, v[21:22]
	s_delay_alu instid0(VALU_DEP_1) | instskip(NEXT) | instid1(VALU_DEP_2)
	v_add_co_u32 v21, vcc_lo, s20, v21
	v_add_co_ci_u32_e32 v22, vcc_lo, s21, v22, vcc_lo
	global_load_b64 v[21:22], v[21:22], off
	s_waitcnt vmcnt(0) lgkmcnt(9)
	v_cmp_ngt_f64_e32 vcc_lo, v[21:22], v[19:20]
	s_and_b32 s7, vcc_lo, exec_lo
.LBB409_43:
	s_or_b32 exec_lo, exec_lo, s0
	v_cmp_ne_u32_e32 vcc_lo, 1, v35
	s_waitcnt vmcnt(9) lgkmcnt(9)
	v_mov_b32_e32 v19, 0
	v_mov_b32_e32 v20, 0
	s_cbranch_vccnz .LBB409_47
; %bb.44:
	v_dual_mov_b32 v21, s22 :: v_dual_mov_b32 v22, s23
	s_mov_b32 s9, 0
	s_set_inst_prefetch_distance 0x1
	.p2align	6
.LBB409_45:                             ; =>This Inner Loop Header: Depth=1
	s_delay_alu instid0(VALU_DEP_1) | instskip(NEXT) | instid1(VALU_DEP_2)
	v_sub_co_u32 v23, vcc_lo, v21, v19
	v_sub_co_ci_u32_e32 v24, vcc_lo, v22, v20, vcc_lo
	s_delay_alu instid0(VALU_DEP_1) | instskip(SKIP_1) | instid1(VALU_DEP_2)
	v_lshrrev_b64 v[25:26], 1, v[23:24]
	v_lshrrev_b64 v[23:24], 6, v[23:24]
	v_add_co_u32 v25, vcc_lo, v25, v19
	s_delay_alu instid0(VALU_DEP_3) | instskip(NEXT) | instid1(VALU_DEP_2)
	v_add_co_ci_u32_e32 v26, vcc_lo, v26, v20, vcc_lo
	v_add_co_u32 v23, vcc_lo, v25, v23
	s_delay_alu instid0(VALU_DEP_2) | instskip(NEXT) | instid1(VALU_DEP_1)
	v_add_co_ci_u32_e32 v24, vcc_lo, v26, v24, vcc_lo
	v_lshlrev_b64 v[25:26], 3, v[23:24]
	s_delay_alu instid0(VALU_DEP_1) | instskip(NEXT) | instid1(VALU_DEP_2)
	v_add_co_u32 v25, vcc_lo, s20, v25
	v_add_co_ci_u32_e32 v26, vcc_lo, s21, v26, vcc_lo
	global_load_b64 v[25:26], v[25:26], off
	s_waitcnt vmcnt(0) lgkmcnt(8)
	v_cmp_lt_f64_e32 vcc_lo, v[25:26], v[17:18]
	v_add_co_u32 v25, s0, v23, 1
	s_delay_alu instid0(VALU_DEP_1) | instskip(SKIP_1) | instid1(VALU_DEP_2)
	v_add_co_ci_u32_e64 v26, s0, 0, v24, s0
	v_dual_cndmask_b32 v22, v24, v22 :: v_dual_cndmask_b32 v21, v23, v21
	v_dual_cndmask_b32 v20, v20, v26 :: v_dual_cndmask_b32 v19, v19, v25
	s_delay_alu instid0(VALU_DEP_1) | instskip(SKIP_1) | instid1(SALU_CYCLE_1)
	v_cmp_ge_u64_e32 vcc_lo, v[19:20], v[21:22]
	s_or_b32 s9, vcc_lo, s9
	s_and_not1_b32 exec_lo, exec_lo, s9
	s_cbranch_execnz .LBB409_45
; %bb.46:
	s_set_inst_prefetch_distance 0x2
	s_or_b32 exec_lo, exec_lo, s9
.LBB409_47:
	s_mov_b32 s9, 0
	s_mov_b32 s0, exec_lo
	s_delay_alu instid0(VALU_DEP_1)
	v_cmpx_ne_u64_e64 s[22:23], v[19:20]
	s_cbranch_execz .LBB409_49
; %bb.48:
	v_lshlrev_b64 v[19:20], 3, v[19:20]
	s_delay_alu instid0(VALU_DEP_1) | instskip(NEXT) | instid1(VALU_DEP_2)
	v_add_co_u32 v19, vcc_lo, s20, v19
	v_add_co_ci_u32_e32 v20, vcc_lo, s21, v20, vcc_lo
	global_load_b64 v[19:20], v[19:20], off
	s_waitcnt vmcnt(0) lgkmcnt(8)
	v_cmp_ngt_f64_e32 vcc_lo, v[19:20], v[17:18]
	s_and_b32 s9, vcc_lo, exec_lo
.LBB409_49:
	s_or_b32 exec_lo, exec_lo, s0
	v_cmp_ne_u32_e32 vcc_lo, 1, v35
	s_waitcnt vmcnt(8) lgkmcnt(8)
	v_mov_b32_e32 v17, 0
	v_mov_b32_e32 v18, 0
	s_cbranch_vccnz .LBB409_53
; %bb.50:
	v_dual_mov_b32 v19, s22 :: v_dual_mov_b32 v20, s23
	s_mov_b32 s10, 0
	s_set_inst_prefetch_distance 0x1
	.p2align	6
.LBB409_51:                             ; =>This Inner Loop Header: Depth=1
	s_delay_alu instid0(VALU_DEP_1) | instskip(NEXT) | instid1(VALU_DEP_2)
	v_sub_co_u32 v21, vcc_lo, v19, v17
	v_sub_co_ci_u32_e32 v22, vcc_lo, v20, v18, vcc_lo
	s_delay_alu instid0(VALU_DEP_1) | instskip(SKIP_1) | instid1(VALU_DEP_2)
	v_lshrrev_b64 v[23:24], 1, v[21:22]
	v_lshrrev_b64 v[21:22], 6, v[21:22]
	v_add_co_u32 v23, vcc_lo, v23, v17
	s_delay_alu instid0(VALU_DEP_3) | instskip(NEXT) | instid1(VALU_DEP_2)
	v_add_co_ci_u32_e32 v24, vcc_lo, v24, v18, vcc_lo
	v_add_co_u32 v21, vcc_lo, v23, v21
	s_delay_alu instid0(VALU_DEP_2) | instskip(NEXT) | instid1(VALU_DEP_1)
	v_add_co_ci_u32_e32 v22, vcc_lo, v24, v22, vcc_lo
	v_lshlrev_b64 v[23:24], 3, v[21:22]
	s_delay_alu instid0(VALU_DEP_1) | instskip(NEXT) | instid1(VALU_DEP_2)
	v_add_co_u32 v23, vcc_lo, s20, v23
	v_add_co_ci_u32_e32 v24, vcc_lo, s21, v24, vcc_lo
	global_load_b64 v[23:24], v[23:24], off
	s_waitcnt vmcnt(0) lgkmcnt(7)
	v_cmp_lt_f64_e32 vcc_lo, v[23:24], v[15:16]
	v_add_co_u32 v23, s0, v21, 1
	s_delay_alu instid0(VALU_DEP_1) | instskip(SKIP_1) | instid1(VALU_DEP_2)
	v_add_co_ci_u32_e64 v24, s0, 0, v22, s0
	v_dual_cndmask_b32 v20, v22, v20 :: v_dual_cndmask_b32 v19, v21, v19
	v_dual_cndmask_b32 v18, v18, v24 :: v_dual_cndmask_b32 v17, v17, v23
	s_delay_alu instid0(VALU_DEP_1) | instskip(SKIP_1) | instid1(SALU_CYCLE_1)
	v_cmp_ge_u64_e32 vcc_lo, v[17:18], v[19:20]
	s_or_b32 s10, vcc_lo, s10
	s_and_not1_b32 exec_lo, exec_lo, s10
	s_cbranch_execnz .LBB409_51
; %bb.52:
	s_set_inst_prefetch_distance 0x2
	s_or_b32 exec_lo, exec_lo, s10
.LBB409_53:
	s_mov_b32 s10, 0
	s_mov_b32 s0, exec_lo
	s_delay_alu instid0(VALU_DEP_1)
	v_cmpx_ne_u64_e64 s[22:23], v[17:18]
	s_cbranch_execz .LBB409_55
; %bb.54:
	v_lshlrev_b64 v[17:18], 3, v[17:18]
	s_delay_alu instid0(VALU_DEP_1) | instskip(NEXT) | instid1(VALU_DEP_2)
	v_add_co_u32 v17, vcc_lo, s20, v17
	v_add_co_ci_u32_e32 v18, vcc_lo, s21, v18, vcc_lo
	global_load_b64 v[17:18], v[17:18], off
	s_waitcnt vmcnt(0) lgkmcnt(7)
	v_cmp_ngt_f64_e32 vcc_lo, v[17:18], v[15:16]
	s_and_b32 s10, vcc_lo, exec_lo
.LBB409_55:
	s_or_b32 exec_lo, exec_lo, s0
	v_cmp_ne_u32_e32 vcc_lo, 1, v35
	s_waitcnt vmcnt(7) lgkmcnt(7)
	v_mov_b32_e32 v15, 0
	v_mov_b32_e32 v16, 0
	s_cbranch_vccnz .LBB409_59
; %bb.56:
	v_dual_mov_b32 v17, s22 :: v_dual_mov_b32 v18, s23
	s_mov_b32 s11, 0
	s_set_inst_prefetch_distance 0x1
	.p2align	6
.LBB409_57:                             ; =>This Inner Loop Header: Depth=1
	s_delay_alu instid0(VALU_DEP_1) | instskip(NEXT) | instid1(VALU_DEP_2)
	v_sub_co_u32 v19, vcc_lo, v17, v15
	v_sub_co_ci_u32_e32 v20, vcc_lo, v18, v16, vcc_lo
	s_delay_alu instid0(VALU_DEP_1) | instskip(SKIP_1) | instid1(VALU_DEP_2)
	v_lshrrev_b64 v[21:22], 1, v[19:20]
	v_lshrrev_b64 v[19:20], 6, v[19:20]
	v_add_co_u32 v21, vcc_lo, v21, v15
	s_delay_alu instid0(VALU_DEP_3) | instskip(NEXT) | instid1(VALU_DEP_2)
	v_add_co_ci_u32_e32 v22, vcc_lo, v22, v16, vcc_lo
	v_add_co_u32 v19, vcc_lo, v21, v19
	s_delay_alu instid0(VALU_DEP_2) | instskip(NEXT) | instid1(VALU_DEP_1)
	v_add_co_ci_u32_e32 v20, vcc_lo, v22, v20, vcc_lo
	v_lshlrev_b64 v[21:22], 3, v[19:20]
	s_delay_alu instid0(VALU_DEP_1) | instskip(NEXT) | instid1(VALU_DEP_2)
	v_add_co_u32 v21, vcc_lo, s20, v21
	v_add_co_ci_u32_e32 v22, vcc_lo, s21, v22, vcc_lo
	global_load_b64 v[21:22], v[21:22], off
	s_waitcnt vmcnt(0) lgkmcnt(6)
	v_cmp_lt_f64_e32 vcc_lo, v[21:22], v[13:14]
	v_add_co_u32 v21, s0, v19, 1
	s_delay_alu instid0(VALU_DEP_1) | instskip(SKIP_1) | instid1(VALU_DEP_2)
	v_add_co_ci_u32_e64 v22, s0, 0, v20, s0
	v_dual_cndmask_b32 v18, v20, v18 :: v_dual_cndmask_b32 v17, v19, v17
	v_dual_cndmask_b32 v16, v16, v22 :: v_dual_cndmask_b32 v15, v15, v21
	s_delay_alu instid0(VALU_DEP_1) | instskip(SKIP_1) | instid1(SALU_CYCLE_1)
	v_cmp_ge_u64_e32 vcc_lo, v[15:16], v[17:18]
	s_or_b32 s11, vcc_lo, s11
	s_and_not1_b32 exec_lo, exec_lo, s11
	s_cbranch_execnz .LBB409_57
; %bb.58:
	s_set_inst_prefetch_distance 0x2
	s_or_b32 exec_lo, exec_lo, s11
.LBB409_59:
	s_mov_b32 s11, 0
	s_mov_b32 s0, exec_lo
	s_delay_alu instid0(VALU_DEP_1)
	v_cmpx_ne_u64_e64 s[22:23], v[15:16]
	s_cbranch_execz .LBB409_61
; %bb.60:
	v_lshlrev_b64 v[15:16], 3, v[15:16]
	s_delay_alu instid0(VALU_DEP_1) | instskip(NEXT) | instid1(VALU_DEP_2)
	v_add_co_u32 v15, vcc_lo, s20, v15
	v_add_co_ci_u32_e32 v16, vcc_lo, s21, v16, vcc_lo
	global_load_b64 v[15:16], v[15:16], off
	s_waitcnt vmcnt(0) lgkmcnt(6)
	v_cmp_ngt_f64_e32 vcc_lo, v[15:16], v[13:14]
	s_and_b32 s11, vcc_lo, exec_lo
.LBB409_61:
	s_or_b32 exec_lo, exec_lo, s0
	v_cmp_ne_u32_e32 vcc_lo, 1, v35
	s_waitcnt vmcnt(6) lgkmcnt(6)
	v_mov_b32_e32 v13, 0
	v_mov_b32_e32 v14, 0
	s_cbranch_vccnz .LBB409_65
; %bb.62:
	v_dual_mov_b32 v15, s22 :: v_dual_mov_b32 v16, s23
	s_mov_b32 s12, 0
	s_set_inst_prefetch_distance 0x1
	.p2align	6
.LBB409_63:                             ; =>This Inner Loop Header: Depth=1
	s_delay_alu instid0(VALU_DEP_1) | instskip(NEXT) | instid1(VALU_DEP_2)
	v_sub_co_u32 v17, vcc_lo, v15, v13
	v_sub_co_ci_u32_e32 v18, vcc_lo, v16, v14, vcc_lo
	s_delay_alu instid0(VALU_DEP_1) | instskip(SKIP_1) | instid1(VALU_DEP_2)
	v_lshrrev_b64 v[19:20], 1, v[17:18]
	v_lshrrev_b64 v[17:18], 6, v[17:18]
	v_add_co_u32 v19, vcc_lo, v19, v13
	s_delay_alu instid0(VALU_DEP_3) | instskip(NEXT) | instid1(VALU_DEP_2)
	v_add_co_ci_u32_e32 v20, vcc_lo, v20, v14, vcc_lo
	v_add_co_u32 v17, vcc_lo, v19, v17
	s_delay_alu instid0(VALU_DEP_2) | instskip(NEXT) | instid1(VALU_DEP_1)
	v_add_co_ci_u32_e32 v18, vcc_lo, v20, v18, vcc_lo
	v_lshlrev_b64 v[19:20], 3, v[17:18]
	s_delay_alu instid0(VALU_DEP_1) | instskip(NEXT) | instid1(VALU_DEP_2)
	v_add_co_u32 v19, vcc_lo, s20, v19
	v_add_co_ci_u32_e32 v20, vcc_lo, s21, v20, vcc_lo
	global_load_b64 v[19:20], v[19:20], off
	s_waitcnt vmcnt(0) lgkmcnt(5)
	v_cmp_lt_f64_e32 vcc_lo, v[19:20], v[11:12]
	v_add_co_u32 v19, s0, v17, 1
	s_delay_alu instid0(VALU_DEP_1) | instskip(SKIP_1) | instid1(VALU_DEP_2)
	v_add_co_ci_u32_e64 v20, s0, 0, v18, s0
	v_dual_cndmask_b32 v16, v18, v16 :: v_dual_cndmask_b32 v15, v17, v15
	v_dual_cndmask_b32 v14, v14, v20 :: v_dual_cndmask_b32 v13, v13, v19
	s_delay_alu instid0(VALU_DEP_1) | instskip(SKIP_1) | instid1(SALU_CYCLE_1)
	v_cmp_ge_u64_e32 vcc_lo, v[13:14], v[15:16]
	s_or_b32 s12, vcc_lo, s12
	s_and_not1_b32 exec_lo, exec_lo, s12
	s_cbranch_execnz .LBB409_63
; %bb.64:
	s_set_inst_prefetch_distance 0x2
	s_or_b32 exec_lo, exec_lo, s12
.LBB409_65:
	s_mov_b32 s12, 0
	s_mov_b32 s0, exec_lo
	s_delay_alu instid0(VALU_DEP_1)
	v_cmpx_ne_u64_e64 s[22:23], v[13:14]
	s_cbranch_execz .LBB409_67
; %bb.66:
	v_lshlrev_b64 v[13:14], 3, v[13:14]
	s_delay_alu instid0(VALU_DEP_1) | instskip(NEXT) | instid1(VALU_DEP_2)
	v_add_co_u32 v13, vcc_lo, s20, v13
	v_add_co_ci_u32_e32 v14, vcc_lo, s21, v14, vcc_lo
	global_load_b64 v[13:14], v[13:14], off
	s_waitcnt vmcnt(0) lgkmcnt(5)
	v_cmp_ngt_f64_e32 vcc_lo, v[13:14], v[11:12]
	s_and_b32 s12, vcc_lo, exec_lo
.LBB409_67:
	s_or_b32 exec_lo, exec_lo, s0
	v_cmp_ne_u32_e32 vcc_lo, 1, v35
	s_waitcnt vmcnt(5) lgkmcnt(5)
	v_mov_b32_e32 v11, 0
	v_mov_b32_e32 v12, 0
	s_cbranch_vccnz .LBB409_71
; %bb.68:
	v_dual_mov_b32 v13, s22 :: v_dual_mov_b32 v14, s23
	s_mov_b32 s13, 0
	s_set_inst_prefetch_distance 0x1
	.p2align	6
.LBB409_69:                             ; =>This Inner Loop Header: Depth=1
	s_delay_alu instid0(VALU_DEP_1) | instskip(NEXT) | instid1(VALU_DEP_2)
	v_sub_co_u32 v15, vcc_lo, v13, v11
	v_sub_co_ci_u32_e32 v16, vcc_lo, v14, v12, vcc_lo
	s_delay_alu instid0(VALU_DEP_1) | instskip(SKIP_1) | instid1(VALU_DEP_2)
	v_lshrrev_b64 v[17:18], 1, v[15:16]
	v_lshrrev_b64 v[15:16], 6, v[15:16]
	v_add_co_u32 v17, vcc_lo, v17, v11
	s_delay_alu instid0(VALU_DEP_3) | instskip(NEXT) | instid1(VALU_DEP_2)
	v_add_co_ci_u32_e32 v18, vcc_lo, v18, v12, vcc_lo
	v_add_co_u32 v15, vcc_lo, v17, v15
	s_delay_alu instid0(VALU_DEP_2) | instskip(NEXT) | instid1(VALU_DEP_1)
	v_add_co_ci_u32_e32 v16, vcc_lo, v18, v16, vcc_lo
	v_lshlrev_b64 v[17:18], 3, v[15:16]
	s_delay_alu instid0(VALU_DEP_1) | instskip(NEXT) | instid1(VALU_DEP_2)
	v_add_co_u32 v17, vcc_lo, s20, v17
	v_add_co_ci_u32_e32 v18, vcc_lo, s21, v18, vcc_lo
	global_load_b64 v[17:18], v[17:18], off
	s_waitcnt vmcnt(0) lgkmcnt(4)
	v_cmp_lt_f64_e32 vcc_lo, v[17:18], v[9:10]
	v_add_co_u32 v17, s0, v15, 1
	s_delay_alu instid0(VALU_DEP_1) | instskip(SKIP_1) | instid1(VALU_DEP_2)
	v_add_co_ci_u32_e64 v18, s0, 0, v16, s0
	v_dual_cndmask_b32 v14, v16, v14 :: v_dual_cndmask_b32 v13, v15, v13
	v_dual_cndmask_b32 v12, v12, v18 :: v_dual_cndmask_b32 v11, v11, v17
	s_delay_alu instid0(VALU_DEP_1) | instskip(SKIP_1) | instid1(SALU_CYCLE_1)
	v_cmp_ge_u64_e32 vcc_lo, v[11:12], v[13:14]
	s_or_b32 s13, vcc_lo, s13
	s_and_not1_b32 exec_lo, exec_lo, s13
	s_cbranch_execnz .LBB409_69
; %bb.70:
	s_set_inst_prefetch_distance 0x2
	s_or_b32 exec_lo, exec_lo, s13
.LBB409_71:
	s_mov_b32 s13, 0
	s_mov_b32 s0, exec_lo
	s_delay_alu instid0(VALU_DEP_1)
	v_cmpx_ne_u64_e64 s[22:23], v[11:12]
	s_cbranch_execz .LBB409_73
; %bb.72:
	v_lshlrev_b64 v[11:12], 3, v[11:12]
	s_delay_alu instid0(VALU_DEP_1) | instskip(NEXT) | instid1(VALU_DEP_2)
	v_add_co_u32 v11, vcc_lo, s20, v11
	v_add_co_ci_u32_e32 v12, vcc_lo, s21, v12, vcc_lo
	global_load_b64 v[11:12], v[11:12], off
	s_waitcnt vmcnt(0) lgkmcnt(4)
	v_cmp_ngt_f64_e32 vcc_lo, v[11:12], v[9:10]
	s_and_b32 s13, vcc_lo, exec_lo
.LBB409_73:
	s_or_b32 exec_lo, exec_lo, s0
	v_cmp_ne_u32_e32 vcc_lo, 1, v35
	s_waitcnt vmcnt(4) lgkmcnt(4)
	v_mov_b32_e32 v9, 0
	v_mov_b32_e32 v10, 0
	s_cbranch_vccnz .LBB409_77
; %bb.74:
	v_dual_mov_b32 v11, s22 :: v_dual_mov_b32 v12, s23
	s_mov_b32 s14, 0
	s_set_inst_prefetch_distance 0x1
	.p2align	6
.LBB409_75:                             ; =>This Inner Loop Header: Depth=1
	s_delay_alu instid0(VALU_DEP_1) | instskip(NEXT) | instid1(VALU_DEP_2)
	v_sub_co_u32 v13, vcc_lo, v11, v9
	v_sub_co_ci_u32_e32 v14, vcc_lo, v12, v10, vcc_lo
	s_delay_alu instid0(VALU_DEP_1) | instskip(SKIP_1) | instid1(VALU_DEP_2)
	v_lshrrev_b64 v[15:16], 1, v[13:14]
	v_lshrrev_b64 v[13:14], 6, v[13:14]
	v_add_co_u32 v15, vcc_lo, v15, v9
	s_delay_alu instid0(VALU_DEP_3) | instskip(NEXT) | instid1(VALU_DEP_2)
	v_add_co_ci_u32_e32 v16, vcc_lo, v16, v10, vcc_lo
	v_add_co_u32 v13, vcc_lo, v15, v13
	s_delay_alu instid0(VALU_DEP_2) | instskip(NEXT) | instid1(VALU_DEP_1)
	v_add_co_ci_u32_e32 v14, vcc_lo, v16, v14, vcc_lo
	v_lshlrev_b64 v[15:16], 3, v[13:14]
	s_delay_alu instid0(VALU_DEP_1) | instskip(NEXT) | instid1(VALU_DEP_2)
	v_add_co_u32 v15, vcc_lo, s20, v15
	v_add_co_ci_u32_e32 v16, vcc_lo, s21, v16, vcc_lo
	global_load_b64 v[15:16], v[15:16], off
	s_waitcnt vmcnt(0) lgkmcnt(3)
	v_cmp_lt_f64_e32 vcc_lo, v[15:16], v[7:8]
	v_add_co_u32 v15, s0, v13, 1
	s_delay_alu instid0(VALU_DEP_1) | instskip(SKIP_1) | instid1(VALU_DEP_2)
	v_add_co_ci_u32_e64 v16, s0, 0, v14, s0
	v_dual_cndmask_b32 v12, v14, v12 :: v_dual_cndmask_b32 v11, v13, v11
	v_dual_cndmask_b32 v10, v10, v16 :: v_dual_cndmask_b32 v9, v9, v15
	s_delay_alu instid0(VALU_DEP_1) | instskip(SKIP_1) | instid1(SALU_CYCLE_1)
	v_cmp_ge_u64_e32 vcc_lo, v[9:10], v[11:12]
	s_or_b32 s14, vcc_lo, s14
	s_and_not1_b32 exec_lo, exec_lo, s14
	s_cbranch_execnz .LBB409_75
; %bb.76:
	s_set_inst_prefetch_distance 0x2
	s_or_b32 exec_lo, exec_lo, s14
.LBB409_77:
	s_mov_b32 s14, 0
	s_mov_b32 s0, exec_lo
	s_delay_alu instid0(VALU_DEP_1)
	v_cmpx_ne_u64_e64 s[22:23], v[9:10]
	s_cbranch_execz .LBB409_79
; %bb.78:
	v_lshlrev_b64 v[9:10], 3, v[9:10]
	s_delay_alu instid0(VALU_DEP_1) | instskip(NEXT) | instid1(VALU_DEP_2)
	v_add_co_u32 v9, vcc_lo, s20, v9
	v_add_co_ci_u32_e32 v10, vcc_lo, s21, v10, vcc_lo
	global_load_b64 v[9:10], v[9:10], off
	s_waitcnt vmcnt(0) lgkmcnt(3)
	v_cmp_ngt_f64_e32 vcc_lo, v[9:10], v[7:8]
	s_and_b32 s14, vcc_lo, exec_lo
.LBB409_79:
	s_or_b32 exec_lo, exec_lo, s0
	v_cmp_ne_u32_e32 vcc_lo, 1, v35
	s_waitcnt vmcnt(3) lgkmcnt(3)
	v_mov_b32_e32 v7, 0
	v_mov_b32_e32 v8, 0
	s_cbranch_vccnz .LBB409_83
; %bb.80:
	v_dual_mov_b32 v9, s22 :: v_dual_mov_b32 v10, s23
	s_mov_b32 s15, 0
	s_set_inst_prefetch_distance 0x1
	.p2align	6
.LBB409_81:                             ; =>This Inner Loop Header: Depth=1
	s_delay_alu instid0(VALU_DEP_1) | instskip(NEXT) | instid1(VALU_DEP_2)
	v_sub_co_u32 v11, vcc_lo, v9, v7
	v_sub_co_ci_u32_e32 v12, vcc_lo, v10, v8, vcc_lo
	s_delay_alu instid0(VALU_DEP_1) | instskip(SKIP_1) | instid1(VALU_DEP_2)
	v_lshrrev_b64 v[13:14], 1, v[11:12]
	v_lshrrev_b64 v[11:12], 6, v[11:12]
	v_add_co_u32 v13, vcc_lo, v13, v7
	s_delay_alu instid0(VALU_DEP_3) | instskip(NEXT) | instid1(VALU_DEP_2)
	v_add_co_ci_u32_e32 v14, vcc_lo, v14, v8, vcc_lo
	v_add_co_u32 v11, vcc_lo, v13, v11
	s_delay_alu instid0(VALU_DEP_2) | instskip(NEXT) | instid1(VALU_DEP_1)
	v_add_co_ci_u32_e32 v12, vcc_lo, v14, v12, vcc_lo
	v_lshlrev_b64 v[13:14], 3, v[11:12]
	s_delay_alu instid0(VALU_DEP_1) | instskip(NEXT) | instid1(VALU_DEP_2)
	v_add_co_u32 v13, vcc_lo, s20, v13
	v_add_co_ci_u32_e32 v14, vcc_lo, s21, v14, vcc_lo
	global_load_b64 v[13:14], v[13:14], off
	s_waitcnt vmcnt(0) lgkmcnt(2)
	v_cmp_lt_f64_e32 vcc_lo, v[13:14], v[5:6]
	v_add_co_u32 v13, s0, v11, 1
	s_delay_alu instid0(VALU_DEP_1) | instskip(SKIP_1) | instid1(VALU_DEP_2)
	v_add_co_ci_u32_e64 v14, s0, 0, v12, s0
	v_dual_cndmask_b32 v10, v12, v10 :: v_dual_cndmask_b32 v9, v11, v9
	v_dual_cndmask_b32 v8, v8, v14 :: v_dual_cndmask_b32 v7, v7, v13
	s_delay_alu instid0(VALU_DEP_1) | instskip(SKIP_1) | instid1(SALU_CYCLE_1)
	v_cmp_ge_u64_e32 vcc_lo, v[7:8], v[9:10]
	s_or_b32 s15, vcc_lo, s15
	s_and_not1_b32 exec_lo, exec_lo, s15
	s_cbranch_execnz .LBB409_81
; %bb.82:
	s_set_inst_prefetch_distance 0x2
	s_or_b32 exec_lo, exec_lo, s15
.LBB409_83:
	s_mov_b32 s15, 0
	s_mov_b32 s0, exec_lo
	s_delay_alu instid0(VALU_DEP_1)
	v_cmpx_ne_u64_e64 s[22:23], v[7:8]
	s_cbranch_execz .LBB409_85
; %bb.84:
	v_lshlrev_b64 v[7:8], 3, v[7:8]
	s_delay_alu instid0(VALU_DEP_1) | instskip(NEXT) | instid1(VALU_DEP_2)
	v_add_co_u32 v7, vcc_lo, s20, v7
	v_add_co_ci_u32_e32 v8, vcc_lo, s21, v8, vcc_lo
	global_load_b64 v[7:8], v[7:8], off
	s_waitcnt vmcnt(0) lgkmcnt(2)
	v_cmp_ngt_f64_e32 vcc_lo, v[7:8], v[5:6]
	s_and_b32 s15, vcc_lo, exec_lo
.LBB409_85:
	s_or_b32 exec_lo, exec_lo, s0
	v_cmp_ne_u32_e32 vcc_lo, 1, v35
	s_waitcnt vmcnt(2) lgkmcnt(2)
	v_mov_b32_e32 v5, 0
	v_mov_b32_e32 v6, 0
	s_cbranch_vccnz .LBB409_89
; %bb.86:
	v_dual_mov_b32 v7, s22 :: v_dual_mov_b32 v8, s23
	s_mov_b32 s19, 0
	s_set_inst_prefetch_distance 0x1
	.p2align	6
.LBB409_87:                             ; =>This Inner Loop Header: Depth=1
	s_delay_alu instid0(VALU_DEP_1) | instskip(NEXT) | instid1(VALU_DEP_2)
	v_sub_co_u32 v9, vcc_lo, v7, v5
	v_sub_co_ci_u32_e32 v10, vcc_lo, v8, v6, vcc_lo
	s_delay_alu instid0(VALU_DEP_1) | instskip(SKIP_1) | instid1(VALU_DEP_2)
	v_lshrrev_b64 v[11:12], 1, v[9:10]
	v_lshrrev_b64 v[9:10], 6, v[9:10]
	v_add_co_u32 v11, vcc_lo, v11, v5
	s_delay_alu instid0(VALU_DEP_3) | instskip(NEXT) | instid1(VALU_DEP_2)
	v_add_co_ci_u32_e32 v12, vcc_lo, v12, v6, vcc_lo
	v_add_co_u32 v9, vcc_lo, v11, v9
	s_delay_alu instid0(VALU_DEP_2) | instskip(NEXT) | instid1(VALU_DEP_1)
	v_add_co_ci_u32_e32 v10, vcc_lo, v12, v10, vcc_lo
	v_lshlrev_b64 v[11:12], 3, v[9:10]
	s_delay_alu instid0(VALU_DEP_1) | instskip(NEXT) | instid1(VALU_DEP_2)
	v_add_co_u32 v11, vcc_lo, s20, v11
	v_add_co_ci_u32_e32 v12, vcc_lo, s21, v12, vcc_lo
	global_load_b64 v[11:12], v[11:12], off
	s_waitcnt vmcnt(0) lgkmcnt(1)
	v_cmp_lt_f64_e32 vcc_lo, v[11:12], v[3:4]
	v_add_co_u32 v11, s0, v9, 1
	s_delay_alu instid0(VALU_DEP_1) | instskip(SKIP_1) | instid1(VALU_DEP_2)
	v_add_co_ci_u32_e64 v12, s0, 0, v10, s0
	v_dual_cndmask_b32 v8, v10, v8 :: v_dual_cndmask_b32 v7, v9, v7
	v_dual_cndmask_b32 v6, v6, v12 :: v_dual_cndmask_b32 v5, v5, v11
	s_delay_alu instid0(VALU_DEP_1) | instskip(SKIP_1) | instid1(SALU_CYCLE_1)
	v_cmp_ge_u64_e32 vcc_lo, v[5:6], v[7:8]
	s_or_b32 s19, vcc_lo, s19
	s_and_not1_b32 exec_lo, exec_lo, s19
	s_cbranch_execnz .LBB409_87
; %bb.88:
	s_set_inst_prefetch_distance 0x2
	s_or_b32 exec_lo, exec_lo, s19
.LBB409_89:
	s_mov_b32 s19, 0
	s_mov_b32 s0, exec_lo
	s_delay_alu instid0(VALU_DEP_1)
	v_cmpx_ne_u64_e64 s[22:23], v[5:6]
	s_cbranch_execz .LBB409_91
; %bb.90:
	v_lshlrev_b64 v[5:6], 3, v[5:6]
	s_delay_alu instid0(VALU_DEP_1) | instskip(NEXT) | instid1(VALU_DEP_2)
	v_add_co_u32 v5, vcc_lo, s20, v5
	v_add_co_ci_u32_e32 v6, vcc_lo, s21, v6, vcc_lo
	global_load_b64 v[5:6], v[5:6], off
	s_waitcnt vmcnt(0) lgkmcnt(1)
	v_cmp_ngt_f64_e32 vcc_lo, v[5:6], v[3:4]
	s_and_b32 s19, vcc_lo, exec_lo
.LBB409_91:
	s_or_b32 exec_lo, exec_lo, s0
	v_cmp_ne_u32_e32 vcc_lo, 1, v35
	s_waitcnt vmcnt(1) lgkmcnt(1)
	v_mov_b32_e32 v3, 0
	v_mov_b32_e32 v4, 0
	s_cbranch_vccnz .LBB409_95
; %bb.92:
	v_dual_mov_b32 v5, s22 :: v_dual_mov_b32 v6, s23
	s_mov_b32 s26, 0
	s_set_inst_prefetch_distance 0x1
	.p2align	6
.LBB409_93:                             ; =>This Inner Loop Header: Depth=1
	s_delay_alu instid0(VALU_DEP_1) | instskip(NEXT) | instid1(VALU_DEP_2)
	v_sub_co_u32 v7, vcc_lo, v5, v3
	v_sub_co_ci_u32_e32 v8, vcc_lo, v6, v4, vcc_lo
	s_delay_alu instid0(VALU_DEP_1) | instskip(SKIP_1) | instid1(VALU_DEP_2)
	v_lshrrev_b64 v[9:10], 1, v[7:8]
	v_lshrrev_b64 v[7:8], 6, v[7:8]
	v_add_co_u32 v9, vcc_lo, v9, v3
	s_delay_alu instid0(VALU_DEP_3) | instskip(NEXT) | instid1(VALU_DEP_2)
	v_add_co_ci_u32_e32 v10, vcc_lo, v10, v4, vcc_lo
	v_add_co_u32 v7, vcc_lo, v9, v7
	s_delay_alu instid0(VALU_DEP_2) | instskip(NEXT) | instid1(VALU_DEP_1)
	v_add_co_ci_u32_e32 v8, vcc_lo, v10, v8, vcc_lo
	v_lshlrev_b64 v[9:10], 3, v[7:8]
	s_delay_alu instid0(VALU_DEP_1) | instskip(NEXT) | instid1(VALU_DEP_2)
	v_add_co_u32 v9, vcc_lo, s20, v9
	v_add_co_ci_u32_e32 v10, vcc_lo, s21, v10, vcc_lo
	global_load_b64 v[9:10], v[9:10], off
	s_waitcnt vmcnt(0) lgkmcnt(0)
	v_cmp_lt_f64_e32 vcc_lo, v[9:10], v[1:2]
	v_add_co_u32 v9, s0, v7, 1
	s_delay_alu instid0(VALU_DEP_1) | instskip(SKIP_1) | instid1(VALU_DEP_2)
	v_add_co_ci_u32_e64 v10, s0, 0, v8, s0
	v_dual_cndmask_b32 v6, v8, v6 :: v_dual_cndmask_b32 v5, v7, v5
	v_dual_cndmask_b32 v4, v4, v10 :: v_dual_cndmask_b32 v3, v3, v9
	s_delay_alu instid0(VALU_DEP_1) | instskip(SKIP_1) | instid1(SALU_CYCLE_1)
	v_cmp_ge_u64_e32 vcc_lo, v[3:4], v[5:6]
	s_or_b32 s26, vcc_lo, s26
	s_and_not1_b32 exec_lo, exec_lo, s26
	s_cbranch_execnz .LBB409_93
; %bb.94:
	s_set_inst_prefetch_distance 0x2
	s_or_b32 exec_lo, exec_lo, s26
.LBB409_95:
	s_mov_b32 s0, 0
	s_mov_b32 s26, 0
	s_mov_b32 s27, exec_lo
	v_cmpx_ne_u64_e64 s[22:23], v[3:4]
	s_cbranch_execz .LBB409_97
; %bb.96:
	v_lshlrev_b64 v[3:4], 3, v[3:4]
	s_delay_alu instid0(VALU_DEP_1) | instskip(NEXT) | instid1(VALU_DEP_2)
	v_add_co_u32 v3, vcc_lo, s20, v3
	v_add_co_ci_u32_e32 v4, vcc_lo, s21, v4, vcc_lo
	global_load_b64 v[3:4], v[3:4], off
	s_waitcnt vmcnt(0) lgkmcnt(0)
	v_cmp_ngt_f64_e32 vcc_lo, v[3:4], v[1:2]
	s_and_b32 s26, vcc_lo, exec_lo
.LBB409_97:
	s_or_b32 exec_lo, exec_lo, s27
	v_cndmask_b32_e64 v15, 0, 1, s1
	s_add_u32 s1, s17, s18
	v_cndmask_b32_e64 v14, 0, 1, s5
	s_addc_u32 s5, s24, 0
	s_waitcnt vmcnt(0) lgkmcnt(0)
	v_add_co_u32 v1, s1, s1, v0
	v_cndmask_b32_e64 v10, 0, 1, s10
	v_add_co_ci_u32_e64 v2, null, s5, 0, s1
	v_cndmask_b32_e64 v9, 0, 1, s11
	v_cndmask_b32_e64 v16, 0, 1, s2
	;; [unrolled: 1-line block ×13, first 2 shown]
	s_clause 0x7
	flat_store_b8 v[1:2], v15
	flat_store_b8 v[1:2], v16 offset:64
	flat_store_b8 v[1:2], v17 offset:128
	;; [unrolled: 1-line block ×7, first 2 shown]
	s_mov_b32 s19, -1
	s_clause 0x6
	flat_store_b8 v[1:2], v10 offset:512
	flat_store_b8 v[1:2], v9 offset:576
	flat_store_b8 v[1:2], v8 offset:640
	flat_store_b8 v[1:2], v7 offset:704
	flat_store_b8 v[1:2], v6 offset:768
	flat_store_b8 v[1:2], v5 offset:832
	flat_store_b8 v[1:2], v4 offset:896
	s_and_b32 vcc_lo, exec_lo, s0
	s_cbranch_vccnz .LBB409_99
	s_branch .LBB409_277
.LBB409_98:
                                        ; implicit-def: $vgpr3
                                        ; implicit-def: $vgpr1_vgpr2
	s_and_b32 vcc_lo, exec_lo, s0
	s_cbranch_vccz .LBB409_277
.LBB409_99:
	s_sub_i32 s15, s8, s18
                                        ; implicit-def: $vgpr31_vgpr32
	s_delay_alu instid0(SALU_CYCLE_1) | instskip(NEXT) | instid1(VALU_DEP_1)
	v_cmp_gt_u32_e64 s0, s15, v0
	s_and_saveexec_b32 s1, s0
	s_cbranch_execz .LBB409_101
; %bb.100:
	v_lshlrev_b32_e32 v1, 3, v0
	s_delay_alu instid0(VALU_DEP_1) | instskip(NEXT) | instid1(VALU_DEP_1)
	v_add_co_u32 v1, s2, s16, v1
	v_add_co_ci_u32_e64 v2, null, s25, 0, s2
	flat_load_b64 v[31:32], v[1:2]
.LBB409_101:
	s_or_b32 exec_lo, exec_lo, s1
	v_or_b32_e32 v1, 64, v0
                                        ; implicit-def: $vgpr29_vgpr30
	s_delay_alu instid0(VALU_DEP_1) | instskip(NEXT) | instid1(VALU_DEP_1)
	v_cmp_gt_u32_e64 s1, s15, v1
	s_and_saveexec_b32 s2, s1
	s_cbranch_execz .LBB409_103
; %bb.102:
	v_lshlrev_b32_e32 v1, 3, v0
	s_delay_alu instid0(VALU_DEP_1) | instskip(NEXT) | instid1(VALU_DEP_1)
	v_add_co_u32 v1, s3, s16, v1
	v_add_co_ci_u32_e64 v2, null, s25, 0, s3
	flat_load_b64 v[29:30], v[1:2] offset:512
.LBB409_103:
	s_or_b32 exec_lo, exec_lo, s2
	v_or_b32_e32 v1, 0x80, v0
                                        ; implicit-def: $vgpr27_vgpr28
	s_delay_alu instid0(VALU_DEP_1) | instskip(NEXT) | instid1(VALU_DEP_1)
	v_cmp_gt_u32_e64 s2, s15, v1
	s_and_saveexec_b32 s3, s2
	s_cbranch_execz .LBB409_105
; %bb.104:
	v_lshlrev_b32_e32 v1, 3, v0
	s_delay_alu instid0(VALU_DEP_1) | instskip(NEXT) | instid1(VALU_DEP_1)
	v_add_co_u32 v1, s4, s16, v1
	v_add_co_ci_u32_e64 v2, null, s25, 0, s4
	flat_load_b64 v[27:28], v[1:2] offset:1024
.LBB409_105:
	s_or_b32 exec_lo, exec_lo, s3
	v_or_b32_e32 v1, 0xc0, v0
                                        ; implicit-def: $vgpr25_vgpr26
	s_delay_alu instid0(VALU_DEP_1) | instskip(NEXT) | instid1(VALU_DEP_1)
	v_cmp_gt_u32_e64 s3, s15, v1
	s_and_saveexec_b32 s4, s3
	s_cbranch_execz .LBB409_107
; %bb.106:
	v_lshlrev_b32_e32 v1, 3, v0
	s_delay_alu instid0(VALU_DEP_1) | instskip(NEXT) | instid1(VALU_DEP_1)
	v_add_co_u32 v1, s5, s16, v1
	v_add_co_ci_u32_e64 v2, null, s25, 0, s5
	flat_load_b64 v[25:26], v[1:2] offset:1536
.LBB409_107:
	s_or_b32 exec_lo, exec_lo, s4
	v_or_b32_e32 v1, 0x100, v0
                                        ; implicit-def: $vgpr23_vgpr24
	s_delay_alu instid0(VALU_DEP_1) | instskip(NEXT) | instid1(VALU_DEP_1)
	v_cmp_gt_u32_e64 s4, s15, v1
	s_and_saveexec_b32 s5, s4
	s_cbranch_execz .LBB409_109
; %bb.108:
	v_lshlrev_b32_e32 v1, 3, v0
	s_delay_alu instid0(VALU_DEP_1) | instskip(NEXT) | instid1(VALU_DEP_1)
	v_add_co_u32 v1, s6, s16, v1
	v_add_co_ci_u32_e64 v2, null, s25, 0, s6
	flat_load_b64 v[23:24], v[1:2] offset:2048
.LBB409_109:
	s_or_b32 exec_lo, exec_lo, s5
	v_or_b32_e32 v1, 0x140, v0
                                        ; implicit-def: $vgpr21_vgpr22
	s_delay_alu instid0(VALU_DEP_1) | instskip(NEXT) | instid1(VALU_DEP_1)
	v_cmp_gt_u32_e64 s5, s15, v1
	s_and_saveexec_b32 s6, s5
	s_cbranch_execz .LBB409_111
; %bb.110:
	v_lshlrev_b32_e32 v1, 3, v0
	s_delay_alu instid0(VALU_DEP_1) | instskip(NEXT) | instid1(VALU_DEP_1)
	v_add_co_u32 v1, s7, s16, v1
	v_add_co_ci_u32_e64 v2, null, s25, 0, s7
	flat_load_b64 v[21:22], v[1:2] offset:2560
.LBB409_111:
	s_or_b32 exec_lo, exec_lo, s6
	v_or_b32_e32 v1, 0x180, v0
                                        ; implicit-def: $vgpr19_vgpr20
	s_delay_alu instid0(VALU_DEP_1) | instskip(NEXT) | instid1(VALU_DEP_1)
	v_cmp_gt_u32_e64 s6, s15, v1
	s_and_saveexec_b32 s7, s6
	s_cbranch_execz .LBB409_113
; %bb.112:
	v_lshlrev_b32_e32 v1, 3, v0
	s_delay_alu instid0(VALU_DEP_1) | instskip(NEXT) | instid1(VALU_DEP_1)
	v_add_co_u32 v1, s8, s16, v1
	v_add_co_ci_u32_e64 v2, null, s25, 0, s8
	flat_load_b64 v[19:20], v[1:2] offset:3072
.LBB409_113:
	s_or_b32 exec_lo, exec_lo, s7
	v_or_b32_e32 v1, 0x1c0, v0
                                        ; implicit-def: $vgpr17_vgpr18
	s_delay_alu instid0(VALU_DEP_1) | instskip(NEXT) | instid1(VALU_DEP_1)
	v_cmp_gt_u32_e64 s7, s15, v1
	s_and_saveexec_b32 s8, s7
	s_cbranch_execz .LBB409_115
; %bb.114:
	v_lshlrev_b32_e32 v1, 3, v0
	s_delay_alu instid0(VALU_DEP_1) | instskip(NEXT) | instid1(VALU_DEP_1)
	v_add_co_u32 v1, s9, s16, v1
	v_add_co_ci_u32_e64 v2, null, s25, 0, s9
	flat_load_b64 v[17:18], v[1:2] offset:3584
.LBB409_115:
	s_or_b32 exec_lo, exec_lo, s8
	v_or_b32_e32 v1, 0x200, v0
                                        ; implicit-def: $vgpr15_vgpr16
	s_delay_alu instid0(VALU_DEP_1) | instskip(NEXT) | instid1(VALU_DEP_1)
	v_cmp_gt_u32_e64 s8, s15, v1
	s_and_saveexec_b32 s9, s8
	s_cbranch_execz .LBB409_117
; %bb.116:
	v_lshlrev_b32_e32 v1, 3, v1
	s_delay_alu instid0(VALU_DEP_1) | instskip(NEXT) | instid1(VALU_DEP_1)
	v_add_co_u32 v1, s10, s16, v1
	v_add_co_ci_u32_e64 v2, null, s25, 0, s10
	flat_load_b64 v[15:16], v[1:2]
.LBB409_117:
	s_or_b32 exec_lo, exec_lo, s9
	v_or_b32_e32 v1, 0x240, v0
                                        ; implicit-def: $vgpr13_vgpr14
	s_delay_alu instid0(VALU_DEP_1) | instskip(NEXT) | instid1(VALU_DEP_1)
	v_cmp_gt_u32_e64 s9, s15, v1
	s_and_saveexec_b32 s10, s9
	s_cbranch_execz .LBB409_119
; %bb.118:
	v_lshlrev_b32_e32 v1, 3, v1
	s_delay_alu instid0(VALU_DEP_1) | instskip(NEXT) | instid1(VALU_DEP_1)
	v_add_co_u32 v1, s11, s16, v1
	v_add_co_ci_u32_e64 v2, null, s25, 0, s11
	flat_load_b64 v[13:14], v[1:2]
.LBB409_119:
	s_or_b32 exec_lo, exec_lo, s10
	v_or_b32_e32 v1, 0x280, v0
                                        ; implicit-def: $vgpr11_vgpr12
	s_delay_alu instid0(VALU_DEP_1) | instskip(NEXT) | instid1(VALU_DEP_1)
	v_cmp_gt_u32_e64 s10, s15, v1
	s_and_saveexec_b32 s11, s10
	s_cbranch_execz .LBB409_121
; %bb.120:
	v_lshlrev_b32_e32 v1, 3, v1
	s_delay_alu instid0(VALU_DEP_1) | instskip(NEXT) | instid1(VALU_DEP_1)
	v_add_co_u32 v1, s12, s16, v1
	v_add_co_ci_u32_e64 v2, null, s25, 0, s12
	flat_load_b64 v[11:12], v[1:2]
.LBB409_121:
	s_or_b32 exec_lo, exec_lo, s11
	v_or_b32_e32 v1, 0x2c0, v0
                                        ; implicit-def: $vgpr9_vgpr10
	s_delay_alu instid0(VALU_DEP_1) | instskip(NEXT) | instid1(VALU_DEP_1)
	v_cmp_gt_u32_e64 s11, s15, v1
	s_and_saveexec_b32 s12, s11
	s_cbranch_execz .LBB409_123
; %bb.122:
	v_lshlrev_b32_e32 v1, 3, v1
	s_delay_alu instid0(VALU_DEP_1) | instskip(NEXT) | instid1(VALU_DEP_1)
	v_add_co_u32 v1, s13, s16, v1
	v_add_co_ci_u32_e64 v2, null, s25, 0, s13
	flat_load_b64 v[9:10], v[1:2]
.LBB409_123:
	s_or_b32 exec_lo, exec_lo, s12
	v_or_b32_e32 v1, 0x300, v0
                                        ; implicit-def: $vgpr7_vgpr8
	s_delay_alu instid0(VALU_DEP_1) | instskip(NEXT) | instid1(VALU_DEP_1)
	v_cmp_gt_u32_e64 s12, s15, v1
	s_and_saveexec_b32 s13, s12
	s_cbranch_execz .LBB409_125
; %bb.124:
	v_lshlrev_b32_e32 v1, 3, v1
	s_delay_alu instid0(VALU_DEP_1) | instskip(NEXT) | instid1(VALU_DEP_1)
	v_add_co_u32 v1, s14, s16, v1
	v_add_co_ci_u32_e64 v2, null, s25, 0, s14
	flat_load_b64 v[7:8], v[1:2]
.LBB409_125:
	s_or_b32 exec_lo, exec_lo, s13
	v_or_b32_e32 v1, 0x340, v0
                                        ; implicit-def: $vgpr5_vgpr6
	s_delay_alu instid0(VALU_DEP_1) | instskip(NEXT) | instid1(VALU_DEP_1)
	v_cmp_gt_u32_e64 s13, s15, v1
	s_and_saveexec_b32 s14, s13
	s_cbranch_execz .LBB409_127
; %bb.126:
	v_lshlrev_b32_e32 v1, 3, v1
	s_delay_alu instid0(VALU_DEP_1) | instskip(NEXT) | instid1(VALU_DEP_1)
	v_add_co_u32 v1, s26, s16, v1
	v_add_co_ci_u32_e64 v2, null, s25, 0, s26
	flat_load_b64 v[5:6], v[1:2]
.LBB409_127:
	s_or_b32 exec_lo, exec_lo, s14
	v_or_b32_e32 v1, 0x380, v0
                                        ; implicit-def: $vgpr3_vgpr4
	s_delay_alu instid0(VALU_DEP_1) | instskip(NEXT) | instid1(VALU_DEP_1)
	v_cmp_gt_u32_e64 s14, s15, v1
	s_and_saveexec_b32 s26, s14
	s_cbranch_execz .LBB409_129
; %bb.128:
	v_lshlrev_b32_e32 v1, 3, v1
	s_delay_alu instid0(VALU_DEP_1) | instskip(NEXT) | instid1(VALU_DEP_1)
	v_add_co_u32 v1, s27, s16, v1
	v_add_co_ci_u32_e64 v2, null, s25, 0, s27
	flat_load_b64 v[3:4], v[1:2]
.LBB409_129:
	s_or_b32 exec_lo, exec_lo, s26
	v_or_b32_e32 v33, 0x3c0, v0
                                        ; implicit-def: $vgpr1_vgpr2
	s_delay_alu instid0(VALU_DEP_1) | instskip(NEXT) | instid1(VALU_DEP_1)
	v_cmp_gt_u32_e64 s15, s15, v33
	s_and_saveexec_b32 s26, s15
	s_cbranch_execz .LBB409_131
; %bb.130:
	v_lshlrev_b32_e32 v1, 3, v33
	s_delay_alu instid0(VALU_DEP_1) | instskip(NEXT) | instid1(VALU_DEP_1)
	v_add_co_u32 v1, s16, s16, v1
	v_add_co_ci_u32_e64 v2, null, s25, 0, s16
	flat_load_b64 v[1:2], v[1:2]
.LBB409_131:
	s_or_b32 exec_lo, exec_lo, s26
	s_cmp_lg_u64 s[22:23], 0
                                        ; implicit-def: $vgpr35
	s_cselect_b32 s25, -1, 0
	s_and_saveexec_b32 s26, s0
	s_cbranch_execnz .LBB409_147
; %bb.132:
	s_or_b32 exec_lo, exec_lo, s26
                                        ; implicit-def: $vgpr33
	s_and_saveexec_b32 s26, s1
	s_cbranch_execnz .LBB409_154
.LBB409_133:
	s_or_b32 exec_lo, exec_lo, s26
                                        ; implicit-def: $vgpr31
	s_and_saveexec_b32 s26, s2
	s_cbranch_execnz .LBB409_161
.LBB409_134:
	s_or_b32 exec_lo, exec_lo, s26
                                        ; implicit-def: $vgpr29
	s_and_saveexec_b32 s26, s3
	s_cbranch_execnz .LBB409_168
.LBB409_135:
	s_or_b32 exec_lo, exec_lo, s26
                                        ; implicit-def: $vgpr27
	s_and_saveexec_b32 s26, s4
	s_cbranch_execnz .LBB409_175
.LBB409_136:
	s_or_b32 exec_lo, exec_lo, s26
                                        ; implicit-def: $vgpr25
	s_and_saveexec_b32 s26, s5
	s_cbranch_execnz .LBB409_182
.LBB409_137:
	s_or_b32 exec_lo, exec_lo, s26
                                        ; implicit-def: $vgpr23
	s_and_saveexec_b32 s26, s6
	s_cbranch_execnz .LBB409_189
.LBB409_138:
	s_or_b32 exec_lo, exec_lo, s26
                                        ; implicit-def: $vgpr21
	s_and_saveexec_b32 s26, s7
	s_cbranch_execnz .LBB409_196
.LBB409_139:
	s_or_b32 exec_lo, exec_lo, s26
                                        ; implicit-def: $vgpr19
	s_and_saveexec_b32 s26, s8
	s_cbranch_execnz .LBB409_203
.LBB409_140:
	s_or_b32 exec_lo, exec_lo, s26
                                        ; implicit-def: $vgpr17
	s_and_saveexec_b32 s26, s9
	s_cbranch_execnz .LBB409_210
.LBB409_141:
	s_or_b32 exec_lo, exec_lo, s26
                                        ; implicit-def: $vgpr15
	s_and_saveexec_b32 s26, s10
	s_cbranch_execnz .LBB409_217
.LBB409_142:
	s_or_b32 exec_lo, exec_lo, s26
                                        ; implicit-def: $vgpr13
	s_and_saveexec_b32 s26, s11
	s_cbranch_execnz .LBB409_224
.LBB409_143:
	s_or_b32 exec_lo, exec_lo, s26
                                        ; implicit-def: $vgpr11
	s_and_saveexec_b32 s26, s12
	s_cbranch_execnz .LBB409_231
.LBB409_144:
	s_or_b32 exec_lo, exec_lo, s26
                                        ; implicit-def: $vgpr9
	s_and_saveexec_b32 s26, s13
	s_cbranch_execnz .LBB409_238
.LBB409_145:
	s_or_b32 exec_lo, exec_lo, s26
                                        ; implicit-def: $vgpr7
	s_and_saveexec_b32 s26, s14
	s_cbranch_execnz .LBB409_245
.LBB409_146:
	s_or_b32 exec_lo, exec_lo, s26
                                        ; implicit-def: $vgpr3
	s_and_saveexec_b32 s26, s15
	s_cbranch_execnz .LBB409_252
	s_branch .LBB409_259
.LBB409_147:
	v_mov_b32_e32 v33, 0
	v_mov_b32_e32 v34, 0
	s_and_not1_b32 vcc_lo, exec_lo, s25
	s_cbranch_vccnz .LBB409_151
; %bb.148:
	v_dual_mov_b32 v36, s23 :: v_dual_mov_b32 v35, s22
	s_mov_b32 s27, 0
	s_set_inst_prefetch_distance 0x1
	.p2align	6
.LBB409_149:                            ; =>This Inner Loop Header: Depth=1
	s_delay_alu instid0(VALU_DEP_1) | instskip(NEXT) | instid1(VALU_DEP_2)
	v_sub_co_u32 v37, vcc_lo, v35, v33
	v_sub_co_ci_u32_e32 v38, vcc_lo, v36, v34, vcc_lo
	s_delay_alu instid0(VALU_DEP_1) | instskip(SKIP_1) | instid1(VALU_DEP_2)
	v_lshrrev_b64 v[39:40], 1, v[37:38]
	v_lshrrev_b64 v[37:38], 6, v[37:38]
	v_add_co_u32 v39, vcc_lo, v39, v33
	s_delay_alu instid0(VALU_DEP_3) | instskip(NEXT) | instid1(VALU_DEP_2)
	v_add_co_ci_u32_e32 v40, vcc_lo, v40, v34, vcc_lo
	v_add_co_u32 v37, vcc_lo, v39, v37
	s_delay_alu instid0(VALU_DEP_2) | instskip(NEXT) | instid1(VALU_DEP_1)
	v_add_co_ci_u32_e32 v38, vcc_lo, v40, v38, vcc_lo
	v_lshlrev_b64 v[39:40], 3, v[37:38]
	s_delay_alu instid0(VALU_DEP_1) | instskip(NEXT) | instid1(VALU_DEP_2)
	v_add_co_u32 v39, vcc_lo, s20, v39
	v_add_co_ci_u32_e32 v40, vcc_lo, s21, v40, vcc_lo
	global_load_b64 v[39:40], v[39:40], off
	s_waitcnt vmcnt(0) lgkmcnt(0)
	v_cmp_lt_f64_e32 vcc_lo, v[39:40], v[31:32]
	v_add_co_u32 v39, s16, v37, 1
	s_delay_alu instid0(VALU_DEP_1) | instskip(SKIP_1) | instid1(VALU_DEP_2)
	v_add_co_ci_u32_e64 v40, s16, 0, v38, s16
	v_dual_cndmask_b32 v36, v38, v36 :: v_dual_cndmask_b32 v35, v37, v35
	v_dual_cndmask_b32 v34, v34, v40 :: v_dual_cndmask_b32 v33, v33, v39
	s_delay_alu instid0(VALU_DEP_1) | instskip(SKIP_1) | instid1(SALU_CYCLE_1)
	v_cmp_ge_u64_e32 vcc_lo, v[33:34], v[35:36]
	s_or_b32 s27, vcc_lo, s27
	s_and_not1_b32 exec_lo, exec_lo, s27
	s_cbranch_execnz .LBB409_149
; %bb.150:
	s_set_inst_prefetch_distance 0x2
	s_or_b32 exec_lo, exec_lo, s27
.LBB409_151:
	s_mov_b32 s27, 0
	s_mov_b32 s16, exec_lo
	v_cmpx_ne_u64_e64 s[22:23], v[33:34]
	s_cbranch_execz .LBB409_153
; %bb.152:
	v_lshlrev_b64 v[33:34], 3, v[33:34]
	s_delay_alu instid0(VALU_DEP_1) | instskip(NEXT) | instid1(VALU_DEP_2)
	v_add_co_u32 v33, vcc_lo, s20, v33
	v_add_co_ci_u32_e32 v34, vcc_lo, s21, v34, vcc_lo
	global_load_b64 v[33:34], v[33:34], off
	s_waitcnt vmcnt(0) lgkmcnt(0)
	v_cmp_ngt_f64_e32 vcc_lo, v[33:34], v[31:32]
	s_and_b32 s27, vcc_lo, exec_lo
.LBB409_153:
	s_or_b32 exec_lo, exec_lo, s16
	v_cndmask_b32_e64 v35, 0, 1, s27
	s_or_b32 exec_lo, exec_lo, s26
                                        ; implicit-def: $vgpr33
	s_and_saveexec_b32 s26, s1
	s_cbranch_execz .LBB409_133
.LBB409_154:
	s_waitcnt vmcnt(0) lgkmcnt(0)
	v_mov_b32_e32 v31, 0
	v_mov_b32_e32 v32, 0
	s_and_not1_b32 vcc_lo, exec_lo, s25
	s_cbranch_vccnz .LBB409_158
; %bb.155:
	v_dual_mov_b32 v34, s23 :: v_dual_mov_b32 v33, s22
	s_mov_b32 s27, 0
	s_set_inst_prefetch_distance 0x1
	.p2align	6
.LBB409_156:                            ; =>This Inner Loop Header: Depth=1
	s_delay_alu instid0(VALU_DEP_1) | instskip(NEXT) | instid1(VALU_DEP_2)
	v_sub_co_u32 v36, vcc_lo, v33, v31
	v_sub_co_ci_u32_e32 v37, vcc_lo, v34, v32, vcc_lo
	s_delay_alu instid0(VALU_DEP_1) | instskip(SKIP_1) | instid1(VALU_DEP_2)
	v_lshrrev_b64 v[38:39], 1, v[36:37]
	v_lshrrev_b64 v[36:37], 6, v[36:37]
	v_add_co_u32 v38, vcc_lo, v38, v31
	s_delay_alu instid0(VALU_DEP_3) | instskip(NEXT) | instid1(VALU_DEP_2)
	v_add_co_ci_u32_e32 v39, vcc_lo, v39, v32, vcc_lo
	v_add_co_u32 v36, vcc_lo, v38, v36
	s_delay_alu instid0(VALU_DEP_2) | instskip(NEXT) | instid1(VALU_DEP_1)
	v_add_co_ci_u32_e32 v37, vcc_lo, v39, v37, vcc_lo
	v_lshlrev_b64 v[38:39], 3, v[36:37]
	s_delay_alu instid0(VALU_DEP_1) | instskip(NEXT) | instid1(VALU_DEP_2)
	v_add_co_u32 v38, vcc_lo, s20, v38
	v_add_co_ci_u32_e32 v39, vcc_lo, s21, v39, vcc_lo
	global_load_b64 v[38:39], v[38:39], off
	s_waitcnt vmcnt(0)
	v_cmp_lt_f64_e32 vcc_lo, v[38:39], v[29:30]
	v_add_co_u32 v38, s16, v36, 1
	s_delay_alu instid0(VALU_DEP_1) | instskip(SKIP_1) | instid1(VALU_DEP_2)
	v_add_co_ci_u32_e64 v39, s16, 0, v37, s16
	v_dual_cndmask_b32 v34, v37, v34 :: v_dual_cndmask_b32 v33, v36, v33
	v_dual_cndmask_b32 v32, v32, v39 :: v_dual_cndmask_b32 v31, v31, v38
	s_delay_alu instid0(VALU_DEP_1) | instskip(SKIP_1) | instid1(SALU_CYCLE_1)
	v_cmp_ge_u64_e32 vcc_lo, v[31:32], v[33:34]
	s_or_b32 s27, vcc_lo, s27
	s_and_not1_b32 exec_lo, exec_lo, s27
	s_cbranch_execnz .LBB409_156
; %bb.157:
	s_set_inst_prefetch_distance 0x2
	s_or_b32 exec_lo, exec_lo, s27
.LBB409_158:
	s_mov_b32 s27, 0
	s_mov_b32 s16, exec_lo
	v_cmpx_ne_u64_e64 s[22:23], v[31:32]
	s_cbranch_execz .LBB409_160
; %bb.159:
	v_lshlrev_b64 v[31:32], 3, v[31:32]
	s_delay_alu instid0(VALU_DEP_1) | instskip(NEXT) | instid1(VALU_DEP_2)
	v_add_co_u32 v31, vcc_lo, s20, v31
	v_add_co_ci_u32_e32 v32, vcc_lo, s21, v32, vcc_lo
	global_load_b64 v[31:32], v[31:32], off
	s_waitcnt vmcnt(0)
	v_cmp_ngt_f64_e32 vcc_lo, v[31:32], v[29:30]
	s_and_b32 s27, vcc_lo, exec_lo
.LBB409_160:
	s_or_b32 exec_lo, exec_lo, s16
	v_cndmask_b32_e64 v33, 0, 1, s27
	s_or_b32 exec_lo, exec_lo, s26
                                        ; implicit-def: $vgpr31
	s_and_saveexec_b32 s26, s2
	s_cbranch_execz .LBB409_134
.LBB409_161:
	s_waitcnt vmcnt(0) lgkmcnt(0)
	v_mov_b32_e32 v29, 0
	v_mov_b32_e32 v30, 0
	s_and_not1_b32 vcc_lo, exec_lo, s25
	s_cbranch_vccnz .LBB409_165
; %bb.162:
	v_dual_mov_b32 v32, s23 :: v_dual_mov_b32 v31, s22
	s_mov_b32 s27, 0
	s_set_inst_prefetch_distance 0x1
	.p2align	6
.LBB409_163:                            ; =>This Inner Loop Header: Depth=1
	s_delay_alu instid0(VALU_DEP_1) | instskip(NEXT) | instid1(VALU_DEP_2)
	v_sub_co_u32 v36, vcc_lo, v31, v29
	v_sub_co_ci_u32_e32 v37, vcc_lo, v32, v30, vcc_lo
	s_delay_alu instid0(VALU_DEP_1) | instskip(SKIP_1) | instid1(VALU_DEP_2)
	v_lshrrev_b64 v[38:39], 1, v[36:37]
	v_lshrrev_b64 v[36:37], 6, v[36:37]
	v_add_co_u32 v34, vcc_lo, v38, v29
	s_delay_alu instid0(VALU_DEP_3) | instskip(NEXT) | instid1(VALU_DEP_2)
	v_add_co_ci_u32_e32 v38, vcc_lo, v39, v30, vcc_lo
	v_add_co_u32 v36, vcc_lo, v34, v36
	s_delay_alu instid0(VALU_DEP_2) | instskip(NEXT) | instid1(VALU_DEP_2)
	v_add_co_ci_u32_e32 v37, vcc_lo, v38, v37, vcc_lo
	v_add_co_u32 v34, s16, v36, 1
	s_delay_alu instid0(VALU_DEP_2) | instskip(NEXT) | instid1(VALU_DEP_1)
	v_lshlrev_b64 v[38:39], 3, v[36:37]
	v_add_co_u32 v38, vcc_lo, s20, v38
	s_delay_alu instid0(VALU_DEP_2)
	v_add_co_ci_u32_e32 v39, vcc_lo, s21, v39, vcc_lo
	global_load_b64 v[38:39], v[38:39], off
	s_waitcnt vmcnt(0)
	v_cmp_lt_f64_e32 vcc_lo, v[38:39], v[27:28]
	v_add_co_ci_u32_e64 v38, s16, 0, v37, s16
	v_dual_cndmask_b32 v32, v37, v32 :: v_dual_cndmask_b32 v31, v36, v31
	s_delay_alu instid0(VALU_DEP_2) | instskip(SKIP_1) | instid1(VALU_DEP_1)
	v_cndmask_b32_e32 v30, v30, v38, vcc_lo
	v_cndmask_b32_e32 v29, v29, v34, vcc_lo
	v_cmp_ge_u64_e32 vcc_lo, v[29:30], v[31:32]
	s_or_b32 s27, vcc_lo, s27
	s_delay_alu instid0(SALU_CYCLE_1)
	s_and_not1_b32 exec_lo, exec_lo, s27
	s_cbranch_execnz .LBB409_163
; %bb.164:
	s_set_inst_prefetch_distance 0x2
	s_or_b32 exec_lo, exec_lo, s27
.LBB409_165:
	s_mov_b32 s27, 0
	s_mov_b32 s16, exec_lo
	v_cmpx_ne_u64_e64 s[22:23], v[29:30]
	s_cbranch_execz .LBB409_167
; %bb.166:
	v_lshlrev_b64 v[29:30], 3, v[29:30]
	s_delay_alu instid0(VALU_DEP_1) | instskip(NEXT) | instid1(VALU_DEP_2)
	v_add_co_u32 v29, vcc_lo, s20, v29
	v_add_co_ci_u32_e32 v30, vcc_lo, s21, v30, vcc_lo
	global_load_b64 v[29:30], v[29:30], off
	s_waitcnt vmcnt(0)
	v_cmp_ngt_f64_e32 vcc_lo, v[29:30], v[27:28]
	s_and_b32 s27, vcc_lo, exec_lo
.LBB409_167:
	s_or_b32 exec_lo, exec_lo, s16
	v_cndmask_b32_e64 v31, 0, 1, s27
	s_or_b32 exec_lo, exec_lo, s26
                                        ; implicit-def: $vgpr29
	s_and_saveexec_b32 s26, s3
	s_cbranch_execz .LBB409_135
.LBB409_168:
	s_waitcnt vmcnt(0) lgkmcnt(0)
	v_mov_b32_e32 v27, 0
	v_mov_b32_e32 v28, 0
	s_and_not1_b32 vcc_lo, exec_lo, s25
	s_cbranch_vccnz .LBB409_172
; %bb.169:
	v_dual_mov_b32 v30, s23 :: v_dual_mov_b32 v29, s22
	s_mov_b32 s27, 0
	s_set_inst_prefetch_distance 0x1
	.p2align	6
.LBB409_170:                            ; =>This Inner Loop Header: Depth=1
	s_delay_alu instid0(VALU_DEP_1) | instskip(NEXT) | instid1(VALU_DEP_2)
	v_sub_co_u32 v36, vcc_lo, v29, v27
	v_sub_co_ci_u32_e32 v37, vcc_lo, v30, v28, vcc_lo
	s_delay_alu instid0(VALU_DEP_1) | instskip(SKIP_1) | instid1(VALU_DEP_2)
	v_lshrrev_b64 v[38:39], 1, v[36:37]
	v_lshrrev_b64 v[36:37], 6, v[36:37]
	v_add_co_u32 v32, vcc_lo, v38, v27
	s_delay_alu instid0(VALU_DEP_3) | instskip(NEXT) | instid1(VALU_DEP_2)
	v_add_co_ci_u32_e32 v34, vcc_lo, v39, v28, vcc_lo
	v_add_co_u32 v36, vcc_lo, v32, v36
	s_delay_alu instid0(VALU_DEP_2) | instskip(NEXT) | instid1(VALU_DEP_2)
	v_add_co_ci_u32_e32 v37, vcc_lo, v34, v37, vcc_lo
	v_add_co_u32 v32, s16, v36, 1
	s_delay_alu instid0(VALU_DEP_2) | instskip(SKIP_1) | instid1(VALU_DEP_2)
	v_lshlrev_b64 v[38:39], 3, v[36:37]
	v_add_co_ci_u32_e64 v34, s16, 0, v37, s16
	v_add_co_u32 v38, vcc_lo, s20, v38
	s_delay_alu instid0(VALU_DEP_3)
	v_add_co_ci_u32_e32 v39, vcc_lo, s21, v39, vcc_lo
	global_load_b64 v[38:39], v[38:39], off
	s_waitcnt vmcnt(0)
	v_cmp_lt_f64_e32 vcc_lo, v[38:39], v[25:26]
	v_dual_cndmask_b32 v30, v37, v30 :: v_dual_cndmask_b32 v29, v36, v29
	v_dual_cndmask_b32 v28, v28, v34 :: v_dual_cndmask_b32 v27, v27, v32
	s_delay_alu instid0(VALU_DEP_1) | instskip(SKIP_1) | instid1(SALU_CYCLE_1)
	v_cmp_ge_u64_e32 vcc_lo, v[27:28], v[29:30]
	s_or_b32 s27, vcc_lo, s27
	s_and_not1_b32 exec_lo, exec_lo, s27
	s_cbranch_execnz .LBB409_170
; %bb.171:
	s_set_inst_prefetch_distance 0x2
	s_or_b32 exec_lo, exec_lo, s27
.LBB409_172:
	s_mov_b32 s27, 0
	s_mov_b32 s16, exec_lo
	v_cmpx_ne_u64_e64 s[22:23], v[27:28]
	s_cbranch_execz .LBB409_174
; %bb.173:
	v_lshlrev_b64 v[27:28], 3, v[27:28]
	s_delay_alu instid0(VALU_DEP_1) | instskip(NEXT) | instid1(VALU_DEP_2)
	v_add_co_u32 v27, vcc_lo, s20, v27
	v_add_co_ci_u32_e32 v28, vcc_lo, s21, v28, vcc_lo
	global_load_b64 v[27:28], v[27:28], off
	s_waitcnt vmcnt(0)
	v_cmp_ngt_f64_e32 vcc_lo, v[27:28], v[25:26]
	s_and_b32 s27, vcc_lo, exec_lo
.LBB409_174:
	s_or_b32 exec_lo, exec_lo, s16
	v_cndmask_b32_e64 v29, 0, 1, s27
	s_or_b32 exec_lo, exec_lo, s26
                                        ; implicit-def: $vgpr27
	s_and_saveexec_b32 s26, s4
	s_cbranch_execz .LBB409_136
.LBB409_175:
	s_waitcnt vmcnt(0) lgkmcnt(0)
	v_mov_b32_e32 v25, 0
	v_mov_b32_e32 v26, 0
	s_and_not1_b32 vcc_lo, exec_lo, s25
	s_cbranch_vccnz .LBB409_179
; %bb.176:
	v_dual_mov_b32 v28, s23 :: v_dual_mov_b32 v27, s22
	s_mov_b32 s27, 0
	s_set_inst_prefetch_distance 0x1
	.p2align	6
.LBB409_177:                            ; =>This Inner Loop Header: Depth=1
	s_delay_alu instid0(VALU_DEP_1) | instskip(NEXT) | instid1(VALU_DEP_2)
	v_sub_co_u32 v36, vcc_lo, v27, v25
	v_sub_co_ci_u32_e32 v37, vcc_lo, v28, v26, vcc_lo
	s_delay_alu instid0(VALU_DEP_1) | instskip(SKIP_1) | instid1(VALU_DEP_2)
	v_lshrrev_b64 v[38:39], 1, v[36:37]
	v_lshrrev_b64 v[36:37], 6, v[36:37]
	v_add_co_u32 v30, vcc_lo, v38, v25
	s_delay_alu instid0(VALU_DEP_3) | instskip(NEXT) | instid1(VALU_DEP_2)
	v_add_co_ci_u32_e32 v32, vcc_lo, v39, v26, vcc_lo
	v_add_co_u32 v36, vcc_lo, v30, v36
	s_delay_alu instid0(VALU_DEP_2) | instskip(NEXT) | instid1(VALU_DEP_2)
	v_add_co_ci_u32_e32 v37, vcc_lo, v32, v37, vcc_lo
	v_add_co_u32 v30, s16, v36, 1
	s_delay_alu instid0(VALU_DEP_2) | instskip(SKIP_1) | instid1(VALU_DEP_2)
	v_lshlrev_b64 v[38:39], 3, v[36:37]
	v_add_co_ci_u32_e64 v32, s16, 0, v37, s16
	v_add_co_u32 v38, vcc_lo, s20, v38
	s_delay_alu instid0(VALU_DEP_3)
	v_add_co_ci_u32_e32 v39, vcc_lo, s21, v39, vcc_lo
	global_load_b64 v[38:39], v[38:39], off
	s_waitcnt vmcnt(0)
	v_cmp_lt_f64_e32 vcc_lo, v[38:39], v[23:24]
	v_dual_cndmask_b32 v28, v37, v28 :: v_dual_cndmask_b32 v27, v36, v27
	v_dual_cndmask_b32 v26, v26, v32 :: v_dual_cndmask_b32 v25, v25, v30
	s_delay_alu instid0(VALU_DEP_1) | instskip(SKIP_1) | instid1(SALU_CYCLE_1)
	v_cmp_ge_u64_e32 vcc_lo, v[25:26], v[27:28]
	s_or_b32 s27, vcc_lo, s27
	s_and_not1_b32 exec_lo, exec_lo, s27
	s_cbranch_execnz .LBB409_177
; %bb.178:
	s_set_inst_prefetch_distance 0x2
	s_or_b32 exec_lo, exec_lo, s27
.LBB409_179:
	s_mov_b32 s27, 0
	s_mov_b32 s16, exec_lo
	v_cmpx_ne_u64_e64 s[22:23], v[25:26]
	s_cbranch_execz .LBB409_181
; %bb.180:
	v_lshlrev_b64 v[25:26], 3, v[25:26]
	s_delay_alu instid0(VALU_DEP_1) | instskip(NEXT) | instid1(VALU_DEP_2)
	v_add_co_u32 v25, vcc_lo, s20, v25
	v_add_co_ci_u32_e32 v26, vcc_lo, s21, v26, vcc_lo
	global_load_b64 v[25:26], v[25:26], off
	s_waitcnt vmcnt(0)
	v_cmp_ngt_f64_e32 vcc_lo, v[25:26], v[23:24]
	s_and_b32 s27, vcc_lo, exec_lo
.LBB409_181:
	s_or_b32 exec_lo, exec_lo, s16
	v_cndmask_b32_e64 v27, 0, 1, s27
	s_or_b32 exec_lo, exec_lo, s26
                                        ; implicit-def: $vgpr25
	s_and_saveexec_b32 s26, s5
	s_cbranch_execz .LBB409_137
.LBB409_182:
	s_waitcnt vmcnt(0) lgkmcnt(0)
	v_mov_b32_e32 v23, 0
	v_mov_b32_e32 v24, 0
	s_and_not1_b32 vcc_lo, exec_lo, s25
	s_cbranch_vccnz .LBB409_186
; %bb.183:
	v_dual_mov_b32 v26, s23 :: v_dual_mov_b32 v25, s22
	s_mov_b32 s27, 0
	s_set_inst_prefetch_distance 0x1
	.p2align	6
.LBB409_184:                            ; =>This Inner Loop Header: Depth=1
	s_delay_alu instid0(VALU_DEP_1) | instskip(NEXT) | instid1(VALU_DEP_2)
	v_sub_co_u32 v36, vcc_lo, v25, v23
	v_sub_co_ci_u32_e32 v37, vcc_lo, v26, v24, vcc_lo
	s_delay_alu instid0(VALU_DEP_1) | instskip(SKIP_1) | instid1(VALU_DEP_2)
	v_lshrrev_b64 v[38:39], 1, v[36:37]
	v_lshrrev_b64 v[36:37], 6, v[36:37]
	v_add_co_u32 v28, vcc_lo, v38, v23
	s_delay_alu instid0(VALU_DEP_3) | instskip(NEXT) | instid1(VALU_DEP_2)
	v_add_co_ci_u32_e32 v30, vcc_lo, v39, v24, vcc_lo
	v_add_co_u32 v36, vcc_lo, v28, v36
	s_delay_alu instid0(VALU_DEP_2) | instskip(NEXT) | instid1(VALU_DEP_2)
	v_add_co_ci_u32_e32 v37, vcc_lo, v30, v37, vcc_lo
	v_add_co_u32 v28, s16, v36, 1
	s_delay_alu instid0(VALU_DEP_2) | instskip(SKIP_1) | instid1(VALU_DEP_2)
	v_lshlrev_b64 v[38:39], 3, v[36:37]
	v_add_co_ci_u32_e64 v30, s16, 0, v37, s16
	v_add_co_u32 v38, vcc_lo, s20, v38
	s_delay_alu instid0(VALU_DEP_3)
	v_add_co_ci_u32_e32 v39, vcc_lo, s21, v39, vcc_lo
	global_load_b64 v[38:39], v[38:39], off
	s_waitcnt vmcnt(0)
	v_cmp_lt_f64_e32 vcc_lo, v[38:39], v[21:22]
	v_dual_cndmask_b32 v26, v37, v26 :: v_dual_cndmask_b32 v25, v36, v25
	v_dual_cndmask_b32 v24, v24, v30 :: v_dual_cndmask_b32 v23, v23, v28
	s_delay_alu instid0(VALU_DEP_1) | instskip(SKIP_1) | instid1(SALU_CYCLE_1)
	v_cmp_ge_u64_e32 vcc_lo, v[23:24], v[25:26]
	s_or_b32 s27, vcc_lo, s27
	s_and_not1_b32 exec_lo, exec_lo, s27
	s_cbranch_execnz .LBB409_184
; %bb.185:
	s_set_inst_prefetch_distance 0x2
	s_or_b32 exec_lo, exec_lo, s27
.LBB409_186:
	s_mov_b32 s27, 0
	s_mov_b32 s16, exec_lo
	v_cmpx_ne_u64_e64 s[22:23], v[23:24]
	s_cbranch_execz .LBB409_188
; %bb.187:
	v_lshlrev_b64 v[23:24], 3, v[23:24]
	s_delay_alu instid0(VALU_DEP_1) | instskip(NEXT) | instid1(VALU_DEP_2)
	v_add_co_u32 v23, vcc_lo, s20, v23
	v_add_co_ci_u32_e32 v24, vcc_lo, s21, v24, vcc_lo
	global_load_b64 v[23:24], v[23:24], off
	s_waitcnt vmcnt(0)
	v_cmp_ngt_f64_e32 vcc_lo, v[23:24], v[21:22]
	s_and_b32 s27, vcc_lo, exec_lo
.LBB409_188:
	s_or_b32 exec_lo, exec_lo, s16
	v_cndmask_b32_e64 v25, 0, 1, s27
	s_or_b32 exec_lo, exec_lo, s26
                                        ; implicit-def: $vgpr23
	s_and_saveexec_b32 s26, s6
	s_cbranch_execz .LBB409_138
.LBB409_189:
	s_waitcnt vmcnt(0) lgkmcnt(0)
	v_mov_b32_e32 v21, 0
	v_mov_b32_e32 v22, 0
	s_and_not1_b32 vcc_lo, exec_lo, s25
	s_cbranch_vccnz .LBB409_193
; %bb.190:
	v_dual_mov_b32 v24, s23 :: v_dual_mov_b32 v23, s22
	s_mov_b32 s27, 0
	s_set_inst_prefetch_distance 0x1
	.p2align	6
.LBB409_191:                            ; =>This Inner Loop Header: Depth=1
	s_delay_alu instid0(VALU_DEP_1) | instskip(NEXT) | instid1(VALU_DEP_2)
	v_sub_co_u32 v36, vcc_lo, v23, v21
	v_sub_co_ci_u32_e32 v37, vcc_lo, v24, v22, vcc_lo
	s_delay_alu instid0(VALU_DEP_1) | instskip(SKIP_1) | instid1(VALU_DEP_2)
	v_lshrrev_b64 v[38:39], 1, v[36:37]
	v_lshrrev_b64 v[36:37], 6, v[36:37]
	v_add_co_u32 v26, vcc_lo, v38, v21
	s_delay_alu instid0(VALU_DEP_3) | instskip(NEXT) | instid1(VALU_DEP_2)
	v_add_co_ci_u32_e32 v28, vcc_lo, v39, v22, vcc_lo
	v_add_co_u32 v36, vcc_lo, v26, v36
	s_delay_alu instid0(VALU_DEP_2) | instskip(NEXT) | instid1(VALU_DEP_2)
	v_add_co_ci_u32_e32 v37, vcc_lo, v28, v37, vcc_lo
	v_add_co_u32 v26, s16, v36, 1
	s_delay_alu instid0(VALU_DEP_2) | instskip(SKIP_1) | instid1(VALU_DEP_2)
	v_lshlrev_b64 v[38:39], 3, v[36:37]
	v_add_co_ci_u32_e64 v28, s16, 0, v37, s16
	v_add_co_u32 v38, vcc_lo, s20, v38
	s_delay_alu instid0(VALU_DEP_3)
	v_add_co_ci_u32_e32 v39, vcc_lo, s21, v39, vcc_lo
	global_load_b64 v[38:39], v[38:39], off
	s_waitcnt vmcnt(0)
	v_cmp_lt_f64_e32 vcc_lo, v[38:39], v[19:20]
	v_dual_cndmask_b32 v24, v37, v24 :: v_dual_cndmask_b32 v23, v36, v23
	v_dual_cndmask_b32 v22, v22, v28 :: v_dual_cndmask_b32 v21, v21, v26
	s_delay_alu instid0(VALU_DEP_1) | instskip(SKIP_1) | instid1(SALU_CYCLE_1)
	v_cmp_ge_u64_e32 vcc_lo, v[21:22], v[23:24]
	s_or_b32 s27, vcc_lo, s27
	s_and_not1_b32 exec_lo, exec_lo, s27
	s_cbranch_execnz .LBB409_191
; %bb.192:
	s_set_inst_prefetch_distance 0x2
	s_or_b32 exec_lo, exec_lo, s27
.LBB409_193:
	s_mov_b32 s27, 0
	s_mov_b32 s16, exec_lo
	v_cmpx_ne_u64_e64 s[22:23], v[21:22]
	s_cbranch_execz .LBB409_195
; %bb.194:
	v_lshlrev_b64 v[21:22], 3, v[21:22]
	s_delay_alu instid0(VALU_DEP_1) | instskip(NEXT) | instid1(VALU_DEP_2)
	v_add_co_u32 v21, vcc_lo, s20, v21
	v_add_co_ci_u32_e32 v22, vcc_lo, s21, v22, vcc_lo
	global_load_b64 v[21:22], v[21:22], off
	s_waitcnt vmcnt(0)
	v_cmp_ngt_f64_e32 vcc_lo, v[21:22], v[19:20]
	s_and_b32 s27, vcc_lo, exec_lo
.LBB409_195:
	s_or_b32 exec_lo, exec_lo, s16
	v_cndmask_b32_e64 v23, 0, 1, s27
	s_or_b32 exec_lo, exec_lo, s26
                                        ; implicit-def: $vgpr21
	s_and_saveexec_b32 s26, s7
	s_cbranch_execz .LBB409_139
.LBB409_196:
	s_waitcnt vmcnt(0) lgkmcnt(0)
	v_mov_b32_e32 v19, 0
	v_mov_b32_e32 v20, 0
	s_and_not1_b32 vcc_lo, exec_lo, s25
	s_cbranch_vccnz .LBB409_200
; %bb.197:
	v_dual_mov_b32 v21, s22 :: v_dual_mov_b32 v22, s23
	s_mov_b32 s27, 0
	s_set_inst_prefetch_distance 0x1
	.p2align	6
.LBB409_198:                            ; =>This Inner Loop Header: Depth=1
	s_delay_alu instid0(VALU_DEP_1) | instskip(NEXT) | instid1(VALU_DEP_2)
	v_sub_co_u32 v36, vcc_lo, v21, v19
	v_sub_co_ci_u32_e32 v37, vcc_lo, v22, v20, vcc_lo
	s_delay_alu instid0(VALU_DEP_1) | instskip(SKIP_1) | instid1(VALU_DEP_2)
	v_lshrrev_b64 v[38:39], 1, v[36:37]
	v_lshrrev_b64 v[36:37], 6, v[36:37]
	v_add_co_u32 v24, vcc_lo, v38, v19
	s_delay_alu instid0(VALU_DEP_3) | instskip(NEXT) | instid1(VALU_DEP_2)
	v_add_co_ci_u32_e32 v26, vcc_lo, v39, v20, vcc_lo
	v_add_co_u32 v36, vcc_lo, v24, v36
	s_delay_alu instid0(VALU_DEP_2) | instskip(NEXT) | instid1(VALU_DEP_2)
	v_add_co_ci_u32_e32 v37, vcc_lo, v26, v37, vcc_lo
	v_add_co_u32 v24, s16, v36, 1
	s_delay_alu instid0(VALU_DEP_2) | instskip(SKIP_1) | instid1(VALU_DEP_2)
	v_lshlrev_b64 v[38:39], 3, v[36:37]
	v_add_co_ci_u32_e64 v26, s16, 0, v37, s16
	v_add_co_u32 v38, vcc_lo, s20, v38
	s_delay_alu instid0(VALU_DEP_3)
	v_add_co_ci_u32_e32 v39, vcc_lo, s21, v39, vcc_lo
	global_load_b64 v[38:39], v[38:39], off
	s_waitcnt vmcnt(0)
	v_cmp_lt_f64_e32 vcc_lo, v[38:39], v[17:18]
	v_dual_cndmask_b32 v22, v37, v22 :: v_dual_cndmask_b32 v21, v36, v21
	v_dual_cndmask_b32 v20, v20, v26 :: v_dual_cndmask_b32 v19, v19, v24
	s_delay_alu instid0(VALU_DEP_1) | instskip(SKIP_1) | instid1(SALU_CYCLE_1)
	v_cmp_ge_u64_e32 vcc_lo, v[19:20], v[21:22]
	s_or_b32 s27, vcc_lo, s27
	s_and_not1_b32 exec_lo, exec_lo, s27
	s_cbranch_execnz .LBB409_198
; %bb.199:
	s_set_inst_prefetch_distance 0x2
	s_or_b32 exec_lo, exec_lo, s27
.LBB409_200:
	s_mov_b32 s27, 0
	s_mov_b32 s16, exec_lo
	v_cmpx_ne_u64_e64 s[22:23], v[19:20]
	s_cbranch_execz .LBB409_202
; %bb.201:
	v_lshlrev_b64 v[19:20], 3, v[19:20]
	s_delay_alu instid0(VALU_DEP_1) | instskip(NEXT) | instid1(VALU_DEP_2)
	v_add_co_u32 v19, vcc_lo, s20, v19
	v_add_co_ci_u32_e32 v20, vcc_lo, s21, v20, vcc_lo
	global_load_b64 v[19:20], v[19:20], off
	s_waitcnt vmcnt(0)
	v_cmp_ngt_f64_e32 vcc_lo, v[19:20], v[17:18]
	s_and_b32 s27, vcc_lo, exec_lo
.LBB409_202:
	s_or_b32 exec_lo, exec_lo, s16
	v_cndmask_b32_e64 v21, 0, 1, s27
	s_or_b32 exec_lo, exec_lo, s26
                                        ; implicit-def: $vgpr19
	s_and_saveexec_b32 s26, s8
	s_cbranch_execz .LBB409_140
.LBB409_203:
	s_waitcnt vmcnt(0) lgkmcnt(0)
	v_mov_b32_e32 v17, 0
	v_mov_b32_e32 v18, 0
	s_and_not1_b32 vcc_lo, exec_lo, s25
	s_cbranch_vccnz .LBB409_207
; %bb.204:
	v_dual_mov_b32 v19, s22 :: v_dual_mov_b32 v20, s23
	s_mov_b32 s27, 0
	s_set_inst_prefetch_distance 0x1
	.p2align	6
.LBB409_205:                            ; =>This Inner Loop Header: Depth=1
	s_delay_alu instid0(VALU_DEP_1) | instskip(NEXT) | instid1(VALU_DEP_2)
	v_sub_co_u32 v36, vcc_lo, v19, v17
	v_sub_co_ci_u32_e32 v37, vcc_lo, v20, v18, vcc_lo
	s_delay_alu instid0(VALU_DEP_1) | instskip(SKIP_1) | instid1(VALU_DEP_2)
	v_lshrrev_b64 v[38:39], 1, v[36:37]
	v_lshrrev_b64 v[36:37], 6, v[36:37]
	v_add_co_u32 v22, vcc_lo, v38, v17
	s_delay_alu instid0(VALU_DEP_3) | instskip(NEXT) | instid1(VALU_DEP_2)
	v_add_co_ci_u32_e32 v24, vcc_lo, v39, v18, vcc_lo
	v_add_co_u32 v36, vcc_lo, v22, v36
	s_delay_alu instid0(VALU_DEP_2) | instskip(NEXT) | instid1(VALU_DEP_2)
	v_add_co_ci_u32_e32 v37, vcc_lo, v24, v37, vcc_lo
	v_add_co_u32 v22, s16, v36, 1
	s_delay_alu instid0(VALU_DEP_2) | instskip(SKIP_1) | instid1(VALU_DEP_2)
	v_lshlrev_b64 v[38:39], 3, v[36:37]
	v_add_co_ci_u32_e64 v24, s16, 0, v37, s16
	v_add_co_u32 v38, vcc_lo, s20, v38
	s_delay_alu instid0(VALU_DEP_3)
	v_add_co_ci_u32_e32 v39, vcc_lo, s21, v39, vcc_lo
	global_load_b64 v[38:39], v[38:39], off
	s_waitcnt vmcnt(0)
	v_cmp_lt_f64_e32 vcc_lo, v[38:39], v[15:16]
	v_dual_cndmask_b32 v20, v37, v20 :: v_dual_cndmask_b32 v19, v36, v19
	v_dual_cndmask_b32 v18, v18, v24 :: v_dual_cndmask_b32 v17, v17, v22
	s_delay_alu instid0(VALU_DEP_1) | instskip(SKIP_1) | instid1(SALU_CYCLE_1)
	v_cmp_ge_u64_e32 vcc_lo, v[17:18], v[19:20]
	s_or_b32 s27, vcc_lo, s27
	s_and_not1_b32 exec_lo, exec_lo, s27
	s_cbranch_execnz .LBB409_205
; %bb.206:
	s_set_inst_prefetch_distance 0x2
	s_or_b32 exec_lo, exec_lo, s27
.LBB409_207:
	s_mov_b32 s27, 0
	s_mov_b32 s16, exec_lo
	v_cmpx_ne_u64_e64 s[22:23], v[17:18]
	s_cbranch_execz .LBB409_209
; %bb.208:
	v_lshlrev_b64 v[17:18], 3, v[17:18]
	s_delay_alu instid0(VALU_DEP_1) | instskip(NEXT) | instid1(VALU_DEP_2)
	v_add_co_u32 v17, vcc_lo, s20, v17
	v_add_co_ci_u32_e32 v18, vcc_lo, s21, v18, vcc_lo
	global_load_b64 v[17:18], v[17:18], off
	s_waitcnt vmcnt(0)
	v_cmp_ngt_f64_e32 vcc_lo, v[17:18], v[15:16]
	s_and_b32 s27, vcc_lo, exec_lo
.LBB409_209:
	s_or_b32 exec_lo, exec_lo, s16
	v_cndmask_b32_e64 v19, 0, 1, s27
	s_or_b32 exec_lo, exec_lo, s26
                                        ; implicit-def: $vgpr17
	s_and_saveexec_b32 s26, s9
	s_cbranch_execz .LBB409_141
.LBB409_210:
	s_waitcnt vmcnt(0) lgkmcnt(0)
	v_mov_b32_e32 v15, 0
	v_mov_b32_e32 v16, 0
	s_and_not1_b32 vcc_lo, exec_lo, s25
	s_cbranch_vccnz .LBB409_214
; %bb.211:
	v_dual_mov_b32 v17, s22 :: v_dual_mov_b32 v18, s23
	s_mov_b32 s27, 0
	s_set_inst_prefetch_distance 0x1
	.p2align	6
.LBB409_212:                            ; =>This Inner Loop Header: Depth=1
	s_delay_alu instid0(VALU_DEP_1) | instskip(NEXT) | instid1(VALU_DEP_2)
	v_sub_co_u32 v36, vcc_lo, v17, v15
	v_sub_co_ci_u32_e32 v37, vcc_lo, v18, v16, vcc_lo
	s_delay_alu instid0(VALU_DEP_1) | instskip(SKIP_1) | instid1(VALU_DEP_2)
	v_lshrrev_b64 v[38:39], 1, v[36:37]
	v_lshrrev_b64 v[36:37], 6, v[36:37]
	v_add_co_u32 v20, vcc_lo, v38, v15
	s_delay_alu instid0(VALU_DEP_3) | instskip(NEXT) | instid1(VALU_DEP_2)
	v_add_co_ci_u32_e32 v22, vcc_lo, v39, v16, vcc_lo
	v_add_co_u32 v36, vcc_lo, v20, v36
	s_delay_alu instid0(VALU_DEP_2) | instskip(NEXT) | instid1(VALU_DEP_2)
	v_add_co_ci_u32_e32 v37, vcc_lo, v22, v37, vcc_lo
	v_add_co_u32 v20, s16, v36, 1
	s_delay_alu instid0(VALU_DEP_2) | instskip(SKIP_1) | instid1(VALU_DEP_2)
	v_lshlrev_b64 v[38:39], 3, v[36:37]
	v_add_co_ci_u32_e64 v22, s16, 0, v37, s16
	v_add_co_u32 v38, vcc_lo, s20, v38
	s_delay_alu instid0(VALU_DEP_3)
	v_add_co_ci_u32_e32 v39, vcc_lo, s21, v39, vcc_lo
	global_load_b64 v[38:39], v[38:39], off
	s_waitcnt vmcnt(0)
	v_cmp_lt_f64_e32 vcc_lo, v[38:39], v[13:14]
	v_dual_cndmask_b32 v18, v37, v18 :: v_dual_cndmask_b32 v17, v36, v17
	v_dual_cndmask_b32 v16, v16, v22 :: v_dual_cndmask_b32 v15, v15, v20
	s_delay_alu instid0(VALU_DEP_1) | instskip(SKIP_1) | instid1(SALU_CYCLE_1)
	v_cmp_ge_u64_e32 vcc_lo, v[15:16], v[17:18]
	s_or_b32 s27, vcc_lo, s27
	s_and_not1_b32 exec_lo, exec_lo, s27
	s_cbranch_execnz .LBB409_212
; %bb.213:
	s_set_inst_prefetch_distance 0x2
	s_or_b32 exec_lo, exec_lo, s27
.LBB409_214:
	s_mov_b32 s27, 0
	s_mov_b32 s16, exec_lo
	v_cmpx_ne_u64_e64 s[22:23], v[15:16]
	s_cbranch_execz .LBB409_216
; %bb.215:
	v_lshlrev_b64 v[15:16], 3, v[15:16]
	s_delay_alu instid0(VALU_DEP_1) | instskip(NEXT) | instid1(VALU_DEP_2)
	v_add_co_u32 v15, vcc_lo, s20, v15
	v_add_co_ci_u32_e32 v16, vcc_lo, s21, v16, vcc_lo
	global_load_b64 v[15:16], v[15:16], off
	s_waitcnt vmcnt(0)
	v_cmp_ngt_f64_e32 vcc_lo, v[15:16], v[13:14]
	s_and_b32 s27, vcc_lo, exec_lo
.LBB409_216:
	s_or_b32 exec_lo, exec_lo, s16
	v_cndmask_b32_e64 v17, 0, 1, s27
	s_or_b32 exec_lo, exec_lo, s26
                                        ; implicit-def: $vgpr15
	s_and_saveexec_b32 s26, s10
	s_cbranch_execz .LBB409_142
.LBB409_217:
	s_waitcnt vmcnt(0) lgkmcnt(0)
	v_mov_b32_e32 v13, 0
	v_mov_b32_e32 v14, 0
	s_and_not1_b32 vcc_lo, exec_lo, s25
	s_cbranch_vccnz .LBB409_221
; %bb.218:
	v_dual_mov_b32 v15, s22 :: v_dual_mov_b32 v16, s23
	s_mov_b32 s27, 0
	s_set_inst_prefetch_distance 0x1
	.p2align	6
.LBB409_219:                            ; =>This Inner Loop Header: Depth=1
	s_delay_alu instid0(VALU_DEP_1) | instskip(NEXT) | instid1(VALU_DEP_2)
	v_sub_co_u32 v36, vcc_lo, v15, v13
	v_sub_co_ci_u32_e32 v37, vcc_lo, v16, v14, vcc_lo
	s_delay_alu instid0(VALU_DEP_1) | instskip(SKIP_1) | instid1(VALU_DEP_2)
	v_lshrrev_b64 v[38:39], 1, v[36:37]
	v_lshrrev_b64 v[36:37], 6, v[36:37]
	v_add_co_u32 v18, vcc_lo, v38, v13
	s_delay_alu instid0(VALU_DEP_3) | instskip(NEXT) | instid1(VALU_DEP_2)
	v_add_co_ci_u32_e32 v20, vcc_lo, v39, v14, vcc_lo
	v_add_co_u32 v36, vcc_lo, v18, v36
	s_delay_alu instid0(VALU_DEP_2) | instskip(NEXT) | instid1(VALU_DEP_2)
	v_add_co_ci_u32_e32 v37, vcc_lo, v20, v37, vcc_lo
	v_add_co_u32 v18, s16, v36, 1
	s_delay_alu instid0(VALU_DEP_2) | instskip(SKIP_1) | instid1(VALU_DEP_2)
	v_lshlrev_b64 v[38:39], 3, v[36:37]
	v_add_co_ci_u32_e64 v20, s16, 0, v37, s16
	v_add_co_u32 v38, vcc_lo, s20, v38
	s_delay_alu instid0(VALU_DEP_3)
	v_add_co_ci_u32_e32 v39, vcc_lo, s21, v39, vcc_lo
	global_load_b64 v[38:39], v[38:39], off
	s_waitcnt vmcnt(0)
	v_cmp_lt_f64_e32 vcc_lo, v[38:39], v[11:12]
	v_dual_cndmask_b32 v16, v37, v16 :: v_dual_cndmask_b32 v15, v36, v15
	v_dual_cndmask_b32 v14, v14, v20 :: v_dual_cndmask_b32 v13, v13, v18
	s_delay_alu instid0(VALU_DEP_1) | instskip(SKIP_1) | instid1(SALU_CYCLE_1)
	v_cmp_ge_u64_e32 vcc_lo, v[13:14], v[15:16]
	s_or_b32 s27, vcc_lo, s27
	s_and_not1_b32 exec_lo, exec_lo, s27
	s_cbranch_execnz .LBB409_219
; %bb.220:
	s_set_inst_prefetch_distance 0x2
	s_or_b32 exec_lo, exec_lo, s27
.LBB409_221:
	s_mov_b32 s27, 0
	s_mov_b32 s16, exec_lo
	v_cmpx_ne_u64_e64 s[22:23], v[13:14]
	s_cbranch_execz .LBB409_223
; %bb.222:
	v_lshlrev_b64 v[13:14], 3, v[13:14]
	s_delay_alu instid0(VALU_DEP_1) | instskip(NEXT) | instid1(VALU_DEP_2)
	v_add_co_u32 v13, vcc_lo, s20, v13
	v_add_co_ci_u32_e32 v14, vcc_lo, s21, v14, vcc_lo
	global_load_b64 v[13:14], v[13:14], off
	s_waitcnt vmcnt(0)
	v_cmp_ngt_f64_e32 vcc_lo, v[13:14], v[11:12]
	s_and_b32 s27, vcc_lo, exec_lo
.LBB409_223:
	s_or_b32 exec_lo, exec_lo, s16
	v_cndmask_b32_e64 v15, 0, 1, s27
	s_or_b32 exec_lo, exec_lo, s26
                                        ; implicit-def: $vgpr13
	s_and_saveexec_b32 s26, s11
	s_cbranch_execz .LBB409_143
.LBB409_224:
	s_waitcnt vmcnt(0) lgkmcnt(0)
	v_mov_b32_e32 v11, 0
	v_mov_b32_e32 v12, 0
	s_and_not1_b32 vcc_lo, exec_lo, s25
	s_cbranch_vccnz .LBB409_228
; %bb.225:
	v_dual_mov_b32 v13, s22 :: v_dual_mov_b32 v14, s23
	s_mov_b32 s27, 0
	s_set_inst_prefetch_distance 0x1
	.p2align	6
.LBB409_226:                            ; =>This Inner Loop Header: Depth=1
	s_delay_alu instid0(VALU_DEP_1) | instskip(NEXT) | instid1(VALU_DEP_2)
	v_sub_co_u32 v36, vcc_lo, v13, v11
	v_sub_co_ci_u32_e32 v37, vcc_lo, v14, v12, vcc_lo
	s_delay_alu instid0(VALU_DEP_1) | instskip(SKIP_1) | instid1(VALU_DEP_2)
	v_lshrrev_b64 v[38:39], 1, v[36:37]
	v_lshrrev_b64 v[36:37], 6, v[36:37]
	v_add_co_u32 v16, vcc_lo, v38, v11
	s_delay_alu instid0(VALU_DEP_3) | instskip(NEXT) | instid1(VALU_DEP_2)
	v_add_co_ci_u32_e32 v18, vcc_lo, v39, v12, vcc_lo
	v_add_co_u32 v36, vcc_lo, v16, v36
	s_delay_alu instid0(VALU_DEP_2) | instskip(NEXT) | instid1(VALU_DEP_2)
	v_add_co_ci_u32_e32 v37, vcc_lo, v18, v37, vcc_lo
	v_add_co_u32 v16, s16, v36, 1
	s_delay_alu instid0(VALU_DEP_2) | instskip(SKIP_1) | instid1(VALU_DEP_2)
	v_lshlrev_b64 v[38:39], 3, v[36:37]
	v_add_co_ci_u32_e64 v18, s16, 0, v37, s16
	v_add_co_u32 v38, vcc_lo, s20, v38
	s_delay_alu instid0(VALU_DEP_3)
	v_add_co_ci_u32_e32 v39, vcc_lo, s21, v39, vcc_lo
	global_load_b64 v[38:39], v[38:39], off
	s_waitcnt vmcnt(0)
	v_cmp_lt_f64_e32 vcc_lo, v[38:39], v[9:10]
	v_dual_cndmask_b32 v14, v37, v14 :: v_dual_cndmask_b32 v13, v36, v13
	v_dual_cndmask_b32 v12, v12, v18 :: v_dual_cndmask_b32 v11, v11, v16
	s_delay_alu instid0(VALU_DEP_1) | instskip(SKIP_1) | instid1(SALU_CYCLE_1)
	v_cmp_ge_u64_e32 vcc_lo, v[11:12], v[13:14]
	s_or_b32 s27, vcc_lo, s27
	s_and_not1_b32 exec_lo, exec_lo, s27
	s_cbranch_execnz .LBB409_226
; %bb.227:
	s_set_inst_prefetch_distance 0x2
	s_or_b32 exec_lo, exec_lo, s27
.LBB409_228:
	s_mov_b32 s27, 0
	s_mov_b32 s16, exec_lo
	v_cmpx_ne_u64_e64 s[22:23], v[11:12]
	s_cbranch_execz .LBB409_230
; %bb.229:
	v_lshlrev_b64 v[11:12], 3, v[11:12]
	s_delay_alu instid0(VALU_DEP_1) | instskip(NEXT) | instid1(VALU_DEP_2)
	v_add_co_u32 v11, vcc_lo, s20, v11
	v_add_co_ci_u32_e32 v12, vcc_lo, s21, v12, vcc_lo
	global_load_b64 v[11:12], v[11:12], off
	s_waitcnt vmcnt(0)
	v_cmp_ngt_f64_e32 vcc_lo, v[11:12], v[9:10]
	s_and_b32 s27, vcc_lo, exec_lo
.LBB409_230:
	s_or_b32 exec_lo, exec_lo, s16
	v_cndmask_b32_e64 v13, 0, 1, s27
	s_or_b32 exec_lo, exec_lo, s26
                                        ; implicit-def: $vgpr11
	s_and_saveexec_b32 s26, s12
	s_cbranch_execz .LBB409_144
.LBB409_231:
	s_waitcnt vmcnt(0) lgkmcnt(0)
	v_mov_b32_e32 v9, 0
	v_mov_b32_e32 v10, 0
	s_and_not1_b32 vcc_lo, exec_lo, s25
	s_cbranch_vccnz .LBB409_235
; %bb.232:
	v_dual_mov_b32 v11, s22 :: v_dual_mov_b32 v12, s23
	s_mov_b32 s27, 0
	s_set_inst_prefetch_distance 0x1
	.p2align	6
.LBB409_233:                            ; =>This Inner Loop Header: Depth=1
	s_delay_alu instid0(VALU_DEP_1) | instskip(NEXT) | instid1(VALU_DEP_2)
	v_sub_co_u32 v36, vcc_lo, v11, v9
	v_sub_co_ci_u32_e32 v37, vcc_lo, v12, v10, vcc_lo
	s_delay_alu instid0(VALU_DEP_1) | instskip(SKIP_1) | instid1(VALU_DEP_2)
	v_lshrrev_b64 v[38:39], 1, v[36:37]
	v_lshrrev_b64 v[36:37], 6, v[36:37]
	v_add_co_u32 v14, vcc_lo, v38, v9
	s_delay_alu instid0(VALU_DEP_3) | instskip(NEXT) | instid1(VALU_DEP_2)
	v_add_co_ci_u32_e32 v16, vcc_lo, v39, v10, vcc_lo
	v_add_co_u32 v36, vcc_lo, v14, v36
	s_delay_alu instid0(VALU_DEP_2) | instskip(NEXT) | instid1(VALU_DEP_2)
	v_add_co_ci_u32_e32 v37, vcc_lo, v16, v37, vcc_lo
	v_add_co_u32 v14, s16, v36, 1
	s_delay_alu instid0(VALU_DEP_2) | instskip(SKIP_1) | instid1(VALU_DEP_2)
	v_lshlrev_b64 v[38:39], 3, v[36:37]
	v_add_co_ci_u32_e64 v16, s16, 0, v37, s16
	v_add_co_u32 v38, vcc_lo, s20, v38
	s_delay_alu instid0(VALU_DEP_3)
	v_add_co_ci_u32_e32 v39, vcc_lo, s21, v39, vcc_lo
	global_load_b64 v[38:39], v[38:39], off
	s_waitcnt vmcnt(0)
	v_cmp_lt_f64_e32 vcc_lo, v[38:39], v[7:8]
	v_dual_cndmask_b32 v12, v37, v12 :: v_dual_cndmask_b32 v11, v36, v11
	v_dual_cndmask_b32 v10, v10, v16 :: v_dual_cndmask_b32 v9, v9, v14
	s_delay_alu instid0(VALU_DEP_1) | instskip(SKIP_1) | instid1(SALU_CYCLE_1)
	v_cmp_ge_u64_e32 vcc_lo, v[9:10], v[11:12]
	s_or_b32 s27, vcc_lo, s27
	s_and_not1_b32 exec_lo, exec_lo, s27
	s_cbranch_execnz .LBB409_233
; %bb.234:
	s_set_inst_prefetch_distance 0x2
	s_or_b32 exec_lo, exec_lo, s27
.LBB409_235:
	s_mov_b32 s27, 0
	s_mov_b32 s16, exec_lo
	v_cmpx_ne_u64_e64 s[22:23], v[9:10]
	s_cbranch_execz .LBB409_237
; %bb.236:
	v_lshlrev_b64 v[9:10], 3, v[9:10]
	s_delay_alu instid0(VALU_DEP_1) | instskip(NEXT) | instid1(VALU_DEP_2)
	v_add_co_u32 v9, vcc_lo, s20, v9
	v_add_co_ci_u32_e32 v10, vcc_lo, s21, v10, vcc_lo
	global_load_b64 v[9:10], v[9:10], off
	s_waitcnt vmcnt(0)
	v_cmp_ngt_f64_e32 vcc_lo, v[9:10], v[7:8]
	s_and_b32 s27, vcc_lo, exec_lo
.LBB409_237:
	s_or_b32 exec_lo, exec_lo, s16
	v_cndmask_b32_e64 v11, 0, 1, s27
	s_or_b32 exec_lo, exec_lo, s26
                                        ; implicit-def: $vgpr9
	s_and_saveexec_b32 s26, s13
	s_cbranch_execz .LBB409_145
.LBB409_238:
	s_waitcnt vmcnt(0) lgkmcnt(0)
	v_mov_b32_e32 v7, 0
	v_mov_b32_e32 v8, 0
	s_and_not1_b32 vcc_lo, exec_lo, s25
	s_cbranch_vccnz .LBB409_242
; %bb.239:
	v_dual_mov_b32 v9, s22 :: v_dual_mov_b32 v10, s23
	s_mov_b32 s27, 0
	s_set_inst_prefetch_distance 0x1
	.p2align	6
.LBB409_240:                            ; =>This Inner Loop Header: Depth=1
	s_delay_alu instid0(VALU_DEP_1) | instskip(NEXT) | instid1(VALU_DEP_2)
	v_sub_co_u32 v36, vcc_lo, v9, v7
	v_sub_co_ci_u32_e32 v37, vcc_lo, v10, v8, vcc_lo
	s_delay_alu instid0(VALU_DEP_1) | instskip(SKIP_1) | instid1(VALU_DEP_2)
	v_lshrrev_b64 v[38:39], 1, v[36:37]
	v_lshrrev_b64 v[36:37], 6, v[36:37]
	v_add_co_u32 v12, vcc_lo, v38, v7
	s_delay_alu instid0(VALU_DEP_3) | instskip(NEXT) | instid1(VALU_DEP_2)
	v_add_co_ci_u32_e32 v14, vcc_lo, v39, v8, vcc_lo
	v_add_co_u32 v36, vcc_lo, v12, v36
	s_delay_alu instid0(VALU_DEP_2) | instskip(NEXT) | instid1(VALU_DEP_2)
	v_add_co_ci_u32_e32 v37, vcc_lo, v14, v37, vcc_lo
	v_add_co_u32 v12, s16, v36, 1
	s_delay_alu instid0(VALU_DEP_2) | instskip(SKIP_1) | instid1(VALU_DEP_2)
	v_lshlrev_b64 v[38:39], 3, v[36:37]
	v_add_co_ci_u32_e64 v14, s16, 0, v37, s16
	v_add_co_u32 v38, vcc_lo, s20, v38
	s_delay_alu instid0(VALU_DEP_3)
	v_add_co_ci_u32_e32 v39, vcc_lo, s21, v39, vcc_lo
	global_load_b64 v[38:39], v[38:39], off
	s_waitcnt vmcnt(0)
	v_cmp_lt_f64_e32 vcc_lo, v[38:39], v[5:6]
	v_dual_cndmask_b32 v10, v37, v10 :: v_dual_cndmask_b32 v9, v36, v9
	v_dual_cndmask_b32 v8, v8, v14 :: v_dual_cndmask_b32 v7, v7, v12
	s_delay_alu instid0(VALU_DEP_1) | instskip(SKIP_1) | instid1(SALU_CYCLE_1)
	v_cmp_ge_u64_e32 vcc_lo, v[7:8], v[9:10]
	s_or_b32 s27, vcc_lo, s27
	s_and_not1_b32 exec_lo, exec_lo, s27
	s_cbranch_execnz .LBB409_240
; %bb.241:
	s_set_inst_prefetch_distance 0x2
	s_or_b32 exec_lo, exec_lo, s27
.LBB409_242:
	s_mov_b32 s27, 0
	s_mov_b32 s16, exec_lo
	v_cmpx_ne_u64_e64 s[22:23], v[7:8]
	s_cbranch_execz .LBB409_244
; %bb.243:
	v_lshlrev_b64 v[7:8], 3, v[7:8]
	s_delay_alu instid0(VALU_DEP_1) | instskip(NEXT) | instid1(VALU_DEP_2)
	v_add_co_u32 v7, vcc_lo, s20, v7
	v_add_co_ci_u32_e32 v8, vcc_lo, s21, v8, vcc_lo
	global_load_b64 v[7:8], v[7:8], off
	s_waitcnt vmcnt(0)
	v_cmp_ngt_f64_e32 vcc_lo, v[7:8], v[5:6]
	s_and_b32 s27, vcc_lo, exec_lo
.LBB409_244:
	s_or_b32 exec_lo, exec_lo, s16
	v_cndmask_b32_e64 v9, 0, 1, s27
	s_or_b32 exec_lo, exec_lo, s26
                                        ; implicit-def: $vgpr7
	s_and_saveexec_b32 s26, s14
	s_cbranch_execz .LBB409_146
.LBB409_245:
	s_waitcnt vmcnt(0) lgkmcnt(0)
	v_mov_b32_e32 v5, 0
	v_mov_b32_e32 v6, 0
	s_and_not1_b32 vcc_lo, exec_lo, s25
	s_cbranch_vccnz .LBB409_249
; %bb.246:
	v_dual_mov_b32 v7, s22 :: v_dual_mov_b32 v8, s23
	s_mov_b32 s27, 0
	s_set_inst_prefetch_distance 0x1
	.p2align	6
.LBB409_247:                            ; =>This Inner Loop Header: Depth=1
	s_delay_alu instid0(VALU_DEP_1) | instskip(NEXT) | instid1(VALU_DEP_2)
	v_sub_co_u32 v36, vcc_lo, v7, v5
	v_sub_co_ci_u32_e32 v37, vcc_lo, v8, v6, vcc_lo
	s_delay_alu instid0(VALU_DEP_1) | instskip(SKIP_1) | instid1(VALU_DEP_2)
	v_lshrrev_b64 v[38:39], 1, v[36:37]
	v_lshrrev_b64 v[36:37], 6, v[36:37]
	v_add_co_u32 v10, vcc_lo, v38, v5
	s_delay_alu instid0(VALU_DEP_3) | instskip(NEXT) | instid1(VALU_DEP_2)
	v_add_co_ci_u32_e32 v12, vcc_lo, v39, v6, vcc_lo
	v_add_co_u32 v36, vcc_lo, v10, v36
	s_delay_alu instid0(VALU_DEP_2) | instskip(NEXT) | instid1(VALU_DEP_2)
	v_add_co_ci_u32_e32 v37, vcc_lo, v12, v37, vcc_lo
	v_add_co_u32 v10, s16, v36, 1
	s_delay_alu instid0(VALU_DEP_2) | instskip(SKIP_1) | instid1(VALU_DEP_2)
	v_lshlrev_b64 v[38:39], 3, v[36:37]
	v_add_co_ci_u32_e64 v12, s16, 0, v37, s16
	v_add_co_u32 v38, vcc_lo, s20, v38
	s_delay_alu instid0(VALU_DEP_3)
	v_add_co_ci_u32_e32 v39, vcc_lo, s21, v39, vcc_lo
	global_load_b64 v[38:39], v[38:39], off
	s_waitcnt vmcnt(0)
	v_cmp_lt_f64_e32 vcc_lo, v[38:39], v[3:4]
	v_dual_cndmask_b32 v8, v37, v8 :: v_dual_cndmask_b32 v7, v36, v7
	v_dual_cndmask_b32 v6, v6, v12 :: v_dual_cndmask_b32 v5, v5, v10
	s_delay_alu instid0(VALU_DEP_1) | instskip(SKIP_1) | instid1(SALU_CYCLE_1)
	v_cmp_ge_u64_e32 vcc_lo, v[5:6], v[7:8]
	s_or_b32 s27, vcc_lo, s27
	s_and_not1_b32 exec_lo, exec_lo, s27
	s_cbranch_execnz .LBB409_247
; %bb.248:
	s_set_inst_prefetch_distance 0x2
	s_or_b32 exec_lo, exec_lo, s27
.LBB409_249:
	s_mov_b32 s27, 0
	s_mov_b32 s16, exec_lo
	v_cmpx_ne_u64_e64 s[22:23], v[5:6]
	s_cbranch_execz .LBB409_251
; %bb.250:
	v_lshlrev_b64 v[5:6], 3, v[5:6]
	s_delay_alu instid0(VALU_DEP_1) | instskip(NEXT) | instid1(VALU_DEP_2)
	v_add_co_u32 v5, vcc_lo, s20, v5
	v_add_co_ci_u32_e32 v6, vcc_lo, s21, v6, vcc_lo
	global_load_b64 v[5:6], v[5:6], off
	s_waitcnt vmcnt(0)
	v_cmp_ngt_f64_e32 vcc_lo, v[5:6], v[3:4]
	s_and_b32 s27, vcc_lo, exec_lo
.LBB409_251:
	s_or_b32 exec_lo, exec_lo, s16
	v_cndmask_b32_e64 v7, 0, 1, s27
	s_or_b32 exec_lo, exec_lo, s26
                                        ; implicit-def: $vgpr3
	s_and_saveexec_b32 s26, s15
	s_cbranch_execz .LBB409_259
.LBB409_252:
	s_waitcnt vmcnt(0) lgkmcnt(0)
	v_mov_b32_e32 v3, 0
	v_mov_b32_e32 v4, 0
	s_and_not1_b32 vcc_lo, exec_lo, s25
	s_cbranch_vccnz .LBB409_256
; %bb.253:
	v_dual_mov_b32 v5, s22 :: v_dual_mov_b32 v6, s23
	s_mov_b32 s25, 0
	s_set_inst_prefetch_distance 0x1
	.p2align	6
.LBB409_254:                            ; =>This Inner Loop Header: Depth=1
	s_delay_alu instid0(VALU_DEP_1) | instskip(NEXT) | instid1(VALU_DEP_2)
	v_sub_co_u32 v36, vcc_lo, v5, v3
	v_sub_co_ci_u32_e32 v37, vcc_lo, v6, v4, vcc_lo
	s_delay_alu instid0(VALU_DEP_1) | instskip(SKIP_1) | instid1(VALU_DEP_2)
	v_lshrrev_b64 v[38:39], 1, v[36:37]
	v_lshrrev_b64 v[36:37], 6, v[36:37]
	v_add_co_u32 v8, vcc_lo, v38, v3
	s_delay_alu instid0(VALU_DEP_3) | instskip(NEXT) | instid1(VALU_DEP_2)
	v_add_co_ci_u32_e32 v10, vcc_lo, v39, v4, vcc_lo
	v_add_co_u32 v36, vcc_lo, v8, v36
	s_delay_alu instid0(VALU_DEP_2) | instskip(NEXT) | instid1(VALU_DEP_2)
	v_add_co_ci_u32_e32 v37, vcc_lo, v10, v37, vcc_lo
	v_add_co_u32 v8, s16, v36, 1
	s_delay_alu instid0(VALU_DEP_2) | instskip(SKIP_1) | instid1(VALU_DEP_2)
	v_lshlrev_b64 v[38:39], 3, v[36:37]
	v_add_co_ci_u32_e64 v10, s16, 0, v37, s16
	v_add_co_u32 v38, vcc_lo, s20, v38
	s_delay_alu instid0(VALU_DEP_3)
	v_add_co_ci_u32_e32 v39, vcc_lo, s21, v39, vcc_lo
	global_load_b64 v[38:39], v[38:39], off
	s_waitcnt vmcnt(0)
	v_cmp_lt_f64_e32 vcc_lo, v[38:39], v[1:2]
	v_dual_cndmask_b32 v6, v37, v6 :: v_dual_cndmask_b32 v5, v36, v5
	v_dual_cndmask_b32 v4, v4, v10 :: v_dual_cndmask_b32 v3, v3, v8
	s_delay_alu instid0(VALU_DEP_1) | instskip(SKIP_1) | instid1(SALU_CYCLE_1)
	v_cmp_ge_u64_e32 vcc_lo, v[3:4], v[5:6]
	s_or_b32 s25, vcc_lo, s25
	s_and_not1_b32 exec_lo, exec_lo, s25
	s_cbranch_execnz .LBB409_254
; %bb.255:
	s_set_inst_prefetch_distance 0x2
	s_or_b32 exec_lo, exec_lo, s25
.LBB409_256:
	s_delay_alu instid0(VALU_DEP_1)
	v_cmp_ne_u64_e32 vcc_lo, s[22:23], v[3:4]
	s_mov_b32 s22, 0
	s_and_saveexec_b32 s16, vcc_lo
	s_cbranch_execz .LBB409_258
; %bb.257:
	v_lshlrev_b64 v[3:4], 3, v[3:4]
	s_delay_alu instid0(VALU_DEP_1) | instskip(NEXT) | instid1(VALU_DEP_2)
	v_add_co_u32 v3, vcc_lo, s20, v3
	v_add_co_ci_u32_e32 v4, vcc_lo, s21, v4, vcc_lo
	global_load_b64 v[3:4], v[3:4], off
	s_waitcnt vmcnt(0)
	v_cmp_ngt_f64_e32 vcc_lo, v[3:4], v[1:2]
	s_and_b32 s22, vcc_lo, exec_lo
.LBB409_258:
	s_or_b32 exec_lo, exec_lo, s16
	v_cndmask_b32_e64 v3, 0, 1, s22
.LBB409_259:
	s_or_b32 exec_lo, exec_lo, s26
	s_add_u32 s16, s17, s18
	s_addc_u32 s17, s24, 0
	s_waitcnt vmcnt(0) lgkmcnt(0)
	v_add_co_u32 v1, s16, s16, v0
	s_delay_alu instid0(VALU_DEP_1) | instskip(SKIP_1) | instid1(SALU_CYCLE_1)
	v_add_co_ci_u32_e64 v2, null, s17, 0, s16
	s_and_saveexec_b32 s16, s0
	s_xor_b32 s0, exec_lo, s16
	s_cbranch_execnz .LBB409_280
; %bb.260:
	s_or_b32 exec_lo, exec_lo, s0
	s_and_saveexec_b32 s0, s1
	s_cbranch_execnz .LBB409_281
.LBB409_261:
	s_or_b32 exec_lo, exec_lo, s0
	s_and_saveexec_b32 s0, s2
	s_cbranch_execnz .LBB409_282
.LBB409_262:
	s_or_b32 exec_lo, exec_lo, s0
	s_and_saveexec_b32 s0, s3
	s_cbranch_execnz .LBB409_283
.LBB409_263:
	s_or_b32 exec_lo, exec_lo, s0
	s_and_saveexec_b32 s0, s4
	s_cbranch_execnz .LBB409_284
.LBB409_264:
	s_or_b32 exec_lo, exec_lo, s0
	s_and_saveexec_b32 s0, s5
	s_cbranch_execnz .LBB409_285
.LBB409_265:
	s_or_b32 exec_lo, exec_lo, s0
	s_and_saveexec_b32 s0, s6
	s_cbranch_execnz .LBB409_286
.LBB409_266:
	s_or_b32 exec_lo, exec_lo, s0
	s_and_saveexec_b32 s0, s7
	s_cbranch_execnz .LBB409_287
.LBB409_267:
	s_or_b32 exec_lo, exec_lo, s0
	s_and_saveexec_b32 s0, s8
	s_cbranch_execnz .LBB409_288
.LBB409_268:
	s_or_b32 exec_lo, exec_lo, s0
	s_and_saveexec_b32 s0, s9
	s_cbranch_execnz .LBB409_289
.LBB409_269:
	s_or_b32 exec_lo, exec_lo, s0
	s_and_saveexec_b32 s0, s10
	s_cbranch_execnz .LBB409_290
.LBB409_270:
	s_or_b32 exec_lo, exec_lo, s0
	s_and_saveexec_b32 s0, s11
	s_cbranch_execnz .LBB409_291
.LBB409_271:
	s_or_b32 exec_lo, exec_lo, s0
	s_and_saveexec_b32 s0, s12
	s_cbranch_execnz .LBB409_292
.LBB409_272:
	s_or_b32 exec_lo, exec_lo, s0
	s_and_saveexec_b32 s0, s13
	s_cbranch_execnz .LBB409_293
.LBB409_273:
	s_or_b32 exec_lo, exec_lo, s0
	s_and_saveexec_b32 s0, s14
	s_cbranch_execnz .LBB409_294
.LBB409_274:
	s_or_b32 exec_lo, exec_lo, s0
	s_and_saveexec_b32 s0, s15
.LBB409_275:
	s_or_b32 s19, s19, exec_lo
.LBB409_276:
	s_or_b32 exec_lo, exec_lo, s0
.LBB409_277:
	s_and_saveexec_b32 s0, s19
	s_cbranch_execnz .LBB409_279
; %bb.278:
	s_endpgm
.LBB409_279:
	flat_store_b8 v[1:2], v3 offset:960
	s_endpgm
.LBB409_280:
	flat_store_b8 v[1:2], v35
	s_or_b32 exec_lo, exec_lo, s0
	s_and_saveexec_b32 s0, s1
	s_cbranch_execz .LBB409_261
.LBB409_281:
	flat_store_b8 v[1:2], v33 offset:64
	s_or_b32 exec_lo, exec_lo, s0
	s_and_saveexec_b32 s0, s2
	s_cbranch_execz .LBB409_262
.LBB409_282:
	flat_store_b8 v[1:2], v31 offset:128
	s_or_b32 exec_lo, exec_lo, s0
	s_and_saveexec_b32 s0, s3
	s_cbranch_execz .LBB409_263
.LBB409_283:
	flat_store_b8 v[1:2], v29 offset:192
	s_or_b32 exec_lo, exec_lo, s0
	s_and_saveexec_b32 s0, s4
	s_cbranch_execz .LBB409_264
.LBB409_284:
	flat_store_b8 v[1:2], v27 offset:256
	s_or_b32 exec_lo, exec_lo, s0
	s_and_saveexec_b32 s0, s5
	s_cbranch_execz .LBB409_265
.LBB409_285:
	flat_store_b8 v[1:2], v25 offset:320
	s_or_b32 exec_lo, exec_lo, s0
	s_and_saveexec_b32 s0, s6
	s_cbranch_execz .LBB409_266
.LBB409_286:
	flat_store_b8 v[1:2], v23 offset:384
	s_or_b32 exec_lo, exec_lo, s0
	s_and_saveexec_b32 s0, s7
	s_cbranch_execz .LBB409_267
.LBB409_287:
	flat_store_b8 v[1:2], v21 offset:448
	s_or_b32 exec_lo, exec_lo, s0
	s_and_saveexec_b32 s0, s8
	s_cbranch_execz .LBB409_268
.LBB409_288:
	flat_store_b8 v[1:2], v19 offset:512
	s_or_b32 exec_lo, exec_lo, s0
	s_and_saveexec_b32 s0, s9
	s_cbranch_execz .LBB409_269
.LBB409_289:
	flat_store_b8 v[1:2], v17 offset:576
	s_or_b32 exec_lo, exec_lo, s0
	s_and_saveexec_b32 s0, s10
	s_cbranch_execz .LBB409_270
.LBB409_290:
	flat_store_b8 v[1:2], v15 offset:640
	s_or_b32 exec_lo, exec_lo, s0
	s_and_saveexec_b32 s0, s11
	s_cbranch_execz .LBB409_271
.LBB409_291:
	flat_store_b8 v[1:2], v13 offset:704
	s_or_b32 exec_lo, exec_lo, s0
	s_and_saveexec_b32 s0, s12
	s_cbranch_execz .LBB409_272
.LBB409_292:
	flat_store_b8 v[1:2], v11 offset:768
	s_or_b32 exec_lo, exec_lo, s0
	s_and_saveexec_b32 s0, s13
	s_cbranch_execz .LBB409_273
.LBB409_293:
	flat_store_b8 v[1:2], v9 offset:832
	s_or_b32 exec_lo, exec_lo, s0
	s_and_saveexec_b32 s0, s14
	s_cbranch_execz .LBB409_274
.LBB409_294:
	flat_store_b8 v[1:2], v7 offset:896
	s_or_b32 exec_lo, exec_lo, s0
	s_and_saveexec_b32 s0, s15
	s_cbranch_execnz .LBB409_275
	s_branch .LBB409_276
	.section	.rodata,"a",@progbits
	.p2align	6, 0x0
	.amdhsa_kernel _ZN7rocprim17ROCPRIM_400000_NS6detail17trampoline_kernelINS0_14default_configENS1_29binary_search_config_selectorIdbEEZNS1_14transform_implILb0ES3_S5_N6thrust23THRUST_200600_302600_NS6detail15normal_iteratorINS8_10device_ptrIdEEEENSA_INSB_IbEEEEZNS1_13binary_searchIS3_S5_SD_SD_SF_NS1_16binary_search_opENS9_16wrapped_functionINS0_4lessIvEEbEEEE10hipError_tPvRmT1_T2_T3_mmT4_T5_P12ihipStream_tbEUlRKdE_EESM_SQ_SR_mSS_SV_bEUlT_E_NS1_11comp_targetILNS1_3genE9ELNS1_11target_archE1100ELNS1_3gpuE3ELNS1_3repE0EEENS1_30default_config_static_selectorELNS0_4arch9wavefront6targetE0EEEvSP_
		.amdhsa_group_segment_fixed_size 0
		.amdhsa_private_segment_fixed_size 0
		.amdhsa_kernarg_size 312
		.amdhsa_user_sgpr_count 15
		.amdhsa_user_sgpr_dispatch_ptr 0
		.amdhsa_user_sgpr_queue_ptr 0
		.amdhsa_user_sgpr_kernarg_segment_ptr 1
		.amdhsa_user_sgpr_dispatch_id 0
		.amdhsa_user_sgpr_private_segment_size 0
		.amdhsa_wavefront_size32 1
		.amdhsa_uses_dynamic_stack 0
		.amdhsa_enable_private_segment 0
		.amdhsa_system_sgpr_workgroup_id_x 1
		.amdhsa_system_sgpr_workgroup_id_y 0
		.amdhsa_system_sgpr_workgroup_id_z 0
		.amdhsa_system_sgpr_workgroup_info 0
		.amdhsa_system_vgpr_workitem_id 0
		.amdhsa_next_free_vgpr 41
		.amdhsa_next_free_sgpr 28
		.amdhsa_reserve_vcc 1
		.amdhsa_float_round_mode_32 0
		.amdhsa_float_round_mode_16_64 0
		.amdhsa_float_denorm_mode_32 3
		.amdhsa_float_denorm_mode_16_64 3
		.amdhsa_dx10_clamp 1
		.amdhsa_ieee_mode 1
		.amdhsa_fp16_overflow 0
		.amdhsa_workgroup_processor_mode 1
		.amdhsa_memory_ordered 1
		.amdhsa_forward_progress 0
		.amdhsa_shared_vgpr_count 0
		.amdhsa_exception_fp_ieee_invalid_op 0
		.amdhsa_exception_fp_denorm_src 0
		.amdhsa_exception_fp_ieee_div_zero 0
		.amdhsa_exception_fp_ieee_overflow 0
		.amdhsa_exception_fp_ieee_underflow 0
		.amdhsa_exception_fp_ieee_inexact 0
		.amdhsa_exception_int_div_zero 0
	.end_amdhsa_kernel
	.section	.text._ZN7rocprim17ROCPRIM_400000_NS6detail17trampoline_kernelINS0_14default_configENS1_29binary_search_config_selectorIdbEEZNS1_14transform_implILb0ES3_S5_N6thrust23THRUST_200600_302600_NS6detail15normal_iteratorINS8_10device_ptrIdEEEENSA_INSB_IbEEEEZNS1_13binary_searchIS3_S5_SD_SD_SF_NS1_16binary_search_opENS9_16wrapped_functionINS0_4lessIvEEbEEEE10hipError_tPvRmT1_T2_T3_mmT4_T5_P12ihipStream_tbEUlRKdE_EESM_SQ_SR_mSS_SV_bEUlT_E_NS1_11comp_targetILNS1_3genE9ELNS1_11target_archE1100ELNS1_3gpuE3ELNS1_3repE0EEENS1_30default_config_static_selectorELNS0_4arch9wavefront6targetE0EEEvSP_,"axG",@progbits,_ZN7rocprim17ROCPRIM_400000_NS6detail17trampoline_kernelINS0_14default_configENS1_29binary_search_config_selectorIdbEEZNS1_14transform_implILb0ES3_S5_N6thrust23THRUST_200600_302600_NS6detail15normal_iteratorINS8_10device_ptrIdEEEENSA_INSB_IbEEEEZNS1_13binary_searchIS3_S5_SD_SD_SF_NS1_16binary_search_opENS9_16wrapped_functionINS0_4lessIvEEbEEEE10hipError_tPvRmT1_T2_T3_mmT4_T5_P12ihipStream_tbEUlRKdE_EESM_SQ_SR_mSS_SV_bEUlT_E_NS1_11comp_targetILNS1_3genE9ELNS1_11target_archE1100ELNS1_3gpuE3ELNS1_3repE0EEENS1_30default_config_static_selectorELNS0_4arch9wavefront6targetE0EEEvSP_,comdat
.Lfunc_end409:
	.size	_ZN7rocprim17ROCPRIM_400000_NS6detail17trampoline_kernelINS0_14default_configENS1_29binary_search_config_selectorIdbEEZNS1_14transform_implILb0ES3_S5_N6thrust23THRUST_200600_302600_NS6detail15normal_iteratorINS8_10device_ptrIdEEEENSA_INSB_IbEEEEZNS1_13binary_searchIS3_S5_SD_SD_SF_NS1_16binary_search_opENS9_16wrapped_functionINS0_4lessIvEEbEEEE10hipError_tPvRmT1_T2_T3_mmT4_T5_P12ihipStream_tbEUlRKdE_EESM_SQ_SR_mSS_SV_bEUlT_E_NS1_11comp_targetILNS1_3genE9ELNS1_11target_archE1100ELNS1_3gpuE3ELNS1_3repE0EEENS1_30default_config_static_selectorELNS0_4arch9wavefront6targetE0EEEvSP_, .Lfunc_end409-_ZN7rocprim17ROCPRIM_400000_NS6detail17trampoline_kernelINS0_14default_configENS1_29binary_search_config_selectorIdbEEZNS1_14transform_implILb0ES3_S5_N6thrust23THRUST_200600_302600_NS6detail15normal_iteratorINS8_10device_ptrIdEEEENSA_INSB_IbEEEEZNS1_13binary_searchIS3_S5_SD_SD_SF_NS1_16binary_search_opENS9_16wrapped_functionINS0_4lessIvEEbEEEE10hipError_tPvRmT1_T2_T3_mmT4_T5_P12ihipStream_tbEUlRKdE_EESM_SQ_SR_mSS_SV_bEUlT_E_NS1_11comp_targetILNS1_3genE9ELNS1_11target_archE1100ELNS1_3gpuE3ELNS1_3repE0EEENS1_30default_config_static_selectorELNS0_4arch9wavefront6targetE0EEEvSP_
                                        ; -- End function
	.section	.AMDGPU.csdata,"",@progbits
; Kernel info:
; codeLenInByte = 11576
; NumSgprs: 30
; NumVgprs: 41
; ScratchSize: 0
; MemoryBound: 0
; FloatMode: 240
; IeeeMode: 1
; LDSByteSize: 0 bytes/workgroup (compile time only)
; SGPRBlocks: 3
; VGPRBlocks: 5
; NumSGPRsForWavesPerEU: 30
; NumVGPRsForWavesPerEU: 41
; Occupancy: 16
; WaveLimiterHint : 1
; COMPUTE_PGM_RSRC2:SCRATCH_EN: 0
; COMPUTE_PGM_RSRC2:USER_SGPR: 15
; COMPUTE_PGM_RSRC2:TRAP_HANDLER: 0
; COMPUTE_PGM_RSRC2:TGID_X_EN: 1
; COMPUTE_PGM_RSRC2:TGID_Y_EN: 0
; COMPUTE_PGM_RSRC2:TGID_Z_EN: 0
; COMPUTE_PGM_RSRC2:TIDIG_COMP_CNT: 0
	.section	.text._ZN7rocprim17ROCPRIM_400000_NS6detail17trampoline_kernelINS0_14default_configENS1_29binary_search_config_selectorIdbEEZNS1_14transform_implILb0ES3_S5_N6thrust23THRUST_200600_302600_NS6detail15normal_iteratorINS8_10device_ptrIdEEEENSA_INSB_IbEEEEZNS1_13binary_searchIS3_S5_SD_SD_SF_NS1_16binary_search_opENS9_16wrapped_functionINS0_4lessIvEEbEEEE10hipError_tPvRmT1_T2_T3_mmT4_T5_P12ihipStream_tbEUlRKdE_EESM_SQ_SR_mSS_SV_bEUlT_E_NS1_11comp_targetILNS1_3genE8ELNS1_11target_archE1030ELNS1_3gpuE2ELNS1_3repE0EEENS1_30default_config_static_selectorELNS0_4arch9wavefront6targetE0EEEvSP_,"axG",@progbits,_ZN7rocprim17ROCPRIM_400000_NS6detail17trampoline_kernelINS0_14default_configENS1_29binary_search_config_selectorIdbEEZNS1_14transform_implILb0ES3_S5_N6thrust23THRUST_200600_302600_NS6detail15normal_iteratorINS8_10device_ptrIdEEEENSA_INSB_IbEEEEZNS1_13binary_searchIS3_S5_SD_SD_SF_NS1_16binary_search_opENS9_16wrapped_functionINS0_4lessIvEEbEEEE10hipError_tPvRmT1_T2_T3_mmT4_T5_P12ihipStream_tbEUlRKdE_EESM_SQ_SR_mSS_SV_bEUlT_E_NS1_11comp_targetILNS1_3genE8ELNS1_11target_archE1030ELNS1_3gpuE2ELNS1_3repE0EEENS1_30default_config_static_selectorELNS0_4arch9wavefront6targetE0EEEvSP_,comdat
	.protected	_ZN7rocprim17ROCPRIM_400000_NS6detail17trampoline_kernelINS0_14default_configENS1_29binary_search_config_selectorIdbEEZNS1_14transform_implILb0ES3_S5_N6thrust23THRUST_200600_302600_NS6detail15normal_iteratorINS8_10device_ptrIdEEEENSA_INSB_IbEEEEZNS1_13binary_searchIS3_S5_SD_SD_SF_NS1_16binary_search_opENS9_16wrapped_functionINS0_4lessIvEEbEEEE10hipError_tPvRmT1_T2_T3_mmT4_T5_P12ihipStream_tbEUlRKdE_EESM_SQ_SR_mSS_SV_bEUlT_E_NS1_11comp_targetILNS1_3genE8ELNS1_11target_archE1030ELNS1_3gpuE2ELNS1_3repE0EEENS1_30default_config_static_selectorELNS0_4arch9wavefront6targetE0EEEvSP_ ; -- Begin function _ZN7rocprim17ROCPRIM_400000_NS6detail17trampoline_kernelINS0_14default_configENS1_29binary_search_config_selectorIdbEEZNS1_14transform_implILb0ES3_S5_N6thrust23THRUST_200600_302600_NS6detail15normal_iteratorINS8_10device_ptrIdEEEENSA_INSB_IbEEEEZNS1_13binary_searchIS3_S5_SD_SD_SF_NS1_16binary_search_opENS9_16wrapped_functionINS0_4lessIvEEbEEEE10hipError_tPvRmT1_T2_T3_mmT4_T5_P12ihipStream_tbEUlRKdE_EESM_SQ_SR_mSS_SV_bEUlT_E_NS1_11comp_targetILNS1_3genE8ELNS1_11target_archE1030ELNS1_3gpuE2ELNS1_3repE0EEENS1_30default_config_static_selectorELNS0_4arch9wavefront6targetE0EEEvSP_
	.globl	_ZN7rocprim17ROCPRIM_400000_NS6detail17trampoline_kernelINS0_14default_configENS1_29binary_search_config_selectorIdbEEZNS1_14transform_implILb0ES3_S5_N6thrust23THRUST_200600_302600_NS6detail15normal_iteratorINS8_10device_ptrIdEEEENSA_INSB_IbEEEEZNS1_13binary_searchIS3_S5_SD_SD_SF_NS1_16binary_search_opENS9_16wrapped_functionINS0_4lessIvEEbEEEE10hipError_tPvRmT1_T2_T3_mmT4_T5_P12ihipStream_tbEUlRKdE_EESM_SQ_SR_mSS_SV_bEUlT_E_NS1_11comp_targetILNS1_3genE8ELNS1_11target_archE1030ELNS1_3gpuE2ELNS1_3repE0EEENS1_30default_config_static_selectorELNS0_4arch9wavefront6targetE0EEEvSP_
	.p2align	8
	.type	_ZN7rocprim17ROCPRIM_400000_NS6detail17trampoline_kernelINS0_14default_configENS1_29binary_search_config_selectorIdbEEZNS1_14transform_implILb0ES3_S5_N6thrust23THRUST_200600_302600_NS6detail15normal_iteratorINS8_10device_ptrIdEEEENSA_INSB_IbEEEEZNS1_13binary_searchIS3_S5_SD_SD_SF_NS1_16binary_search_opENS9_16wrapped_functionINS0_4lessIvEEbEEEE10hipError_tPvRmT1_T2_T3_mmT4_T5_P12ihipStream_tbEUlRKdE_EESM_SQ_SR_mSS_SV_bEUlT_E_NS1_11comp_targetILNS1_3genE8ELNS1_11target_archE1030ELNS1_3gpuE2ELNS1_3repE0EEENS1_30default_config_static_selectorELNS0_4arch9wavefront6targetE0EEEvSP_,@function
_ZN7rocprim17ROCPRIM_400000_NS6detail17trampoline_kernelINS0_14default_configENS1_29binary_search_config_selectorIdbEEZNS1_14transform_implILb0ES3_S5_N6thrust23THRUST_200600_302600_NS6detail15normal_iteratorINS8_10device_ptrIdEEEENSA_INSB_IbEEEEZNS1_13binary_searchIS3_S5_SD_SD_SF_NS1_16binary_search_opENS9_16wrapped_functionINS0_4lessIvEEbEEEE10hipError_tPvRmT1_T2_T3_mmT4_T5_P12ihipStream_tbEUlRKdE_EESM_SQ_SR_mSS_SV_bEUlT_E_NS1_11comp_targetILNS1_3genE8ELNS1_11target_archE1030ELNS1_3gpuE2ELNS1_3repE0EEENS1_30default_config_static_selectorELNS0_4arch9wavefront6targetE0EEEvSP_: ; @_ZN7rocprim17ROCPRIM_400000_NS6detail17trampoline_kernelINS0_14default_configENS1_29binary_search_config_selectorIdbEEZNS1_14transform_implILb0ES3_S5_N6thrust23THRUST_200600_302600_NS6detail15normal_iteratorINS8_10device_ptrIdEEEENSA_INSB_IbEEEEZNS1_13binary_searchIS3_S5_SD_SD_SF_NS1_16binary_search_opENS9_16wrapped_functionINS0_4lessIvEEbEEEE10hipError_tPvRmT1_T2_T3_mmT4_T5_P12ihipStream_tbEUlRKdE_EESM_SQ_SR_mSS_SV_bEUlT_E_NS1_11comp_targetILNS1_3genE8ELNS1_11target_archE1030ELNS1_3gpuE2ELNS1_3repE0EEENS1_30default_config_static_selectorELNS0_4arch9wavefront6targetE0EEEvSP_
; %bb.0:
	.section	.rodata,"a",@progbits
	.p2align	6, 0x0
	.amdhsa_kernel _ZN7rocprim17ROCPRIM_400000_NS6detail17trampoline_kernelINS0_14default_configENS1_29binary_search_config_selectorIdbEEZNS1_14transform_implILb0ES3_S5_N6thrust23THRUST_200600_302600_NS6detail15normal_iteratorINS8_10device_ptrIdEEEENSA_INSB_IbEEEEZNS1_13binary_searchIS3_S5_SD_SD_SF_NS1_16binary_search_opENS9_16wrapped_functionINS0_4lessIvEEbEEEE10hipError_tPvRmT1_T2_T3_mmT4_T5_P12ihipStream_tbEUlRKdE_EESM_SQ_SR_mSS_SV_bEUlT_E_NS1_11comp_targetILNS1_3genE8ELNS1_11target_archE1030ELNS1_3gpuE2ELNS1_3repE0EEENS1_30default_config_static_selectorELNS0_4arch9wavefront6targetE0EEEvSP_
		.amdhsa_group_segment_fixed_size 0
		.amdhsa_private_segment_fixed_size 0
		.amdhsa_kernarg_size 56
		.amdhsa_user_sgpr_count 15
		.amdhsa_user_sgpr_dispatch_ptr 0
		.amdhsa_user_sgpr_queue_ptr 0
		.amdhsa_user_sgpr_kernarg_segment_ptr 1
		.amdhsa_user_sgpr_dispatch_id 0
		.amdhsa_user_sgpr_private_segment_size 0
		.amdhsa_wavefront_size32 1
		.amdhsa_uses_dynamic_stack 0
		.amdhsa_enable_private_segment 0
		.amdhsa_system_sgpr_workgroup_id_x 1
		.amdhsa_system_sgpr_workgroup_id_y 0
		.amdhsa_system_sgpr_workgroup_id_z 0
		.amdhsa_system_sgpr_workgroup_info 0
		.amdhsa_system_vgpr_workitem_id 0
		.amdhsa_next_free_vgpr 1
		.amdhsa_next_free_sgpr 1
		.amdhsa_reserve_vcc 0
		.amdhsa_float_round_mode_32 0
		.amdhsa_float_round_mode_16_64 0
		.amdhsa_float_denorm_mode_32 3
		.amdhsa_float_denorm_mode_16_64 3
		.amdhsa_dx10_clamp 1
		.amdhsa_ieee_mode 1
		.amdhsa_fp16_overflow 0
		.amdhsa_workgroup_processor_mode 1
		.amdhsa_memory_ordered 1
		.amdhsa_forward_progress 0
		.amdhsa_shared_vgpr_count 0
		.amdhsa_exception_fp_ieee_invalid_op 0
		.amdhsa_exception_fp_denorm_src 0
		.amdhsa_exception_fp_ieee_div_zero 0
		.amdhsa_exception_fp_ieee_overflow 0
		.amdhsa_exception_fp_ieee_underflow 0
		.amdhsa_exception_fp_ieee_inexact 0
		.amdhsa_exception_int_div_zero 0
	.end_amdhsa_kernel
	.section	.text._ZN7rocprim17ROCPRIM_400000_NS6detail17trampoline_kernelINS0_14default_configENS1_29binary_search_config_selectorIdbEEZNS1_14transform_implILb0ES3_S5_N6thrust23THRUST_200600_302600_NS6detail15normal_iteratorINS8_10device_ptrIdEEEENSA_INSB_IbEEEEZNS1_13binary_searchIS3_S5_SD_SD_SF_NS1_16binary_search_opENS9_16wrapped_functionINS0_4lessIvEEbEEEE10hipError_tPvRmT1_T2_T3_mmT4_T5_P12ihipStream_tbEUlRKdE_EESM_SQ_SR_mSS_SV_bEUlT_E_NS1_11comp_targetILNS1_3genE8ELNS1_11target_archE1030ELNS1_3gpuE2ELNS1_3repE0EEENS1_30default_config_static_selectorELNS0_4arch9wavefront6targetE0EEEvSP_,"axG",@progbits,_ZN7rocprim17ROCPRIM_400000_NS6detail17trampoline_kernelINS0_14default_configENS1_29binary_search_config_selectorIdbEEZNS1_14transform_implILb0ES3_S5_N6thrust23THRUST_200600_302600_NS6detail15normal_iteratorINS8_10device_ptrIdEEEENSA_INSB_IbEEEEZNS1_13binary_searchIS3_S5_SD_SD_SF_NS1_16binary_search_opENS9_16wrapped_functionINS0_4lessIvEEbEEEE10hipError_tPvRmT1_T2_T3_mmT4_T5_P12ihipStream_tbEUlRKdE_EESM_SQ_SR_mSS_SV_bEUlT_E_NS1_11comp_targetILNS1_3genE8ELNS1_11target_archE1030ELNS1_3gpuE2ELNS1_3repE0EEENS1_30default_config_static_selectorELNS0_4arch9wavefront6targetE0EEEvSP_,comdat
.Lfunc_end410:
	.size	_ZN7rocprim17ROCPRIM_400000_NS6detail17trampoline_kernelINS0_14default_configENS1_29binary_search_config_selectorIdbEEZNS1_14transform_implILb0ES3_S5_N6thrust23THRUST_200600_302600_NS6detail15normal_iteratorINS8_10device_ptrIdEEEENSA_INSB_IbEEEEZNS1_13binary_searchIS3_S5_SD_SD_SF_NS1_16binary_search_opENS9_16wrapped_functionINS0_4lessIvEEbEEEE10hipError_tPvRmT1_T2_T3_mmT4_T5_P12ihipStream_tbEUlRKdE_EESM_SQ_SR_mSS_SV_bEUlT_E_NS1_11comp_targetILNS1_3genE8ELNS1_11target_archE1030ELNS1_3gpuE2ELNS1_3repE0EEENS1_30default_config_static_selectorELNS0_4arch9wavefront6targetE0EEEvSP_, .Lfunc_end410-_ZN7rocprim17ROCPRIM_400000_NS6detail17trampoline_kernelINS0_14default_configENS1_29binary_search_config_selectorIdbEEZNS1_14transform_implILb0ES3_S5_N6thrust23THRUST_200600_302600_NS6detail15normal_iteratorINS8_10device_ptrIdEEEENSA_INSB_IbEEEEZNS1_13binary_searchIS3_S5_SD_SD_SF_NS1_16binary_search_opENS9_16wrapped_functionINS0_4lessIvEEbEEEE10hipError_tPvRmT1_T2_T3_mmT4_T5_P12ihipStream_tbEUlRKdE_EESM_SQ_SR_mSS_SV_bEUlT_E_NS1_11comp_targetILNS1_3genE8ELNS1_11target_archE1030ELNS1_3gpuE2ELNS1_3repE0EEENS1_30default_config_static_selectorELNS0_4arch9wavefront6targetE0EEEvSP_
                                        ; -- End function
	.section	.AMDGPU.csdata,"",@progbits
; Kernel info:
; codeLenInByte = 0
; NumSgprs: 0
; NumVgprs: 0
; ScratchSize: 0
; MemoryBound: 0
; FloatMode: 240
; IeeeMode: 1
; LDSByteSize: 0 bytes/workgroup (compile time only)
; SGPRBlocks: 0
; VGPRBlocks: 0
; NumSGPRsForWavesPerEU: 1
; NumVGPRsForWavesPerEU: 1
; Occupancy: 16
; WaveLimiterHint : 0
; COMPUTE_PGM_RSRC2:SCRATCH_EN: 0
; COMPUTE_PGM_RSRC2:USER_SGPR: 15
; COMPUTE_PGM_RSRC2:TRAP_HANDLER: 0
; COMPUTE_PGM_RSRC2:TGID_X_EN: 1
; COMPUTE_PGM_RSRC2:TGID_Y_EN: 0
; COMPUTE_PGM_RSRC2:TGID_Z_EN: 0
; COMPUTE_PGM_RSRC2:TIDIG_COMP_CNT: 0
	.section	.text._ZN7rocprim17ROCPRIM_400000_NS6detail17trampoline_kernelINS0_14default_configENS1_29binary_search_config_selectorIdiEEZNS1_14transform_implILb0ES3_S5_N6thrust23THRUST_200600_302600_NS6detail15normal_iteratorINS8_10device_ptrIdEEEENSA_INSB_IiEEEEZNS1_13binary_searchIS3_S5_SD_SD_SF_NS1_16binary_search_opENS9_16wrapped_functionINS0_4lessIvEEbEEEE10hipError_tPvRmT1_T2_T3_mmT4_T5_P12ihipStream_tbEUlRKdE_EESM_SQ_SR_mSS_SV_bEUlT_E_NS1_11comp_targetILNS1_3genE0ELNS1_11target_archE4294967295ELNS1_3gpuE0ELNS1_3repE0EEENS1_30default_config_static_selectorELNS0_4arch9wavefront6targetE0EEEvSP_,"axG",@progbits,_ZN7rocprim17ROCPRIM_400000_NS6detail17trampoline_kernelINS0_14default_configENS1_29binary_search_config_selectorIdiEEZNS1_14transform_implILb0ES3_S5_N6thrust23THRUST_200600_302600_NS6detail15normal_iteratorINS8_10device_ptrIdEEEENSA_INSB_IiEEEEZNS1_13binary_searchIS3_S5_SD_SD_SF_NS1_16binary_search_opENS9_16wrapped_functionINS0_4lessIvEEbEEEE10hipError_tPvRmT1_T2_T3_mmT4_T5_P12ihipStream_tbEUlRKdE_EESM_SQ_SR_mSS_SV_bEUlT_E_NS1_11comp_targetILNS1_3genE0ELNS1_11target_archE4294967295ELNS1_3gpuE0ELNS1_3repE0EEENS1_30default_config_static_selectorELNS0_4arch9wavefront6targetE0EEEvSP_,comdat
	.protected	_ZN7rocprim17ROCPRIM_400000_NS6detail17trampoline_kernelINS0_14default_configENS1_29binary_search_config_selectorIdiEEZNS1_14transform_implILb0ES3_S5_N6thrust23THRUST_200600_302600_NS6detail15normal_iteratorINS8_10device_ptrIdEEEENSA_INSB_IiEEEEZNS1_13binary_searchIS3_S5_SD_SD_SF_NS1_16binary_search_opENS9_16wrapped_functionINS0_4lessIvEEbEEEE10hipError_tPvRmT1_T2_T3_mmT4_T5_P12ihipStream_tbEUlRKdE_EESM_SQ_SR_mSS_SV_bEUlT_E_NS1_11comp_targetILNS1_3genE0ELNS1_11target_archE4294967295ELNS1_3gpuE0ELNS1_3repE0EEENS1_30default_config_static_selectorELNS0_4arch9wavefront6targetE0EEEvSP_ ; -- Begin function _ZN7rocprim17ROCPRIM_400000_NS6detail17trampoline_kernelINS0_14default_configENS1_29binary_search_config_selectorIdiEEZNS1_14transform_implILb0ES3_S5_N6thrust23THRUST_200600_302600_NS6detail15normal_iteratorINS8_10device_ptrIdEEEENSA_INSB_IiEEEEZNS1_13binary_searchIS3_S5_SD_SD_SF_NS1_16binary_search_opENS9_16wrapped_functionINS0_4lessIvEEbEEEE10hipError_tPvRmT1_T2_T3_mmT4_T5_P12ihipStream_tbEUlRKdE_EESM_SQ_SR_mSS_SV_bEUlT_E_NS1_11comp_targetILNS1_3genE0ELNS1_11target_archE4294967295ELNS1_3gpuE0ELNS1_3repE0EEENS1_30default_config_static_selectorELNS0_4arch9wavefront6targetE0EEEvSP_
	.globl	_ZN7rocprim17ROCPRIM_400000_NS6detail17trampoline_kernelINS0_14default_configENS1_29binary_search_config_selectorIdiEEZNS1_14transform_implILb0ES3_S5_N6thrust23THRUST_200600_302600_NS6detail15normal_iteratorINS8_10device_ptrIdEEEENSA_INSB_IiEEEEZNS1_13binary_searchIS3_S5_SD_SD_SF_NS1_16binary_search_opENS9_16wrapped_functionINS0_4lessIvEEbEEEE10hipError_tPvRmT1_T2_T3_mmT4_T5_P12ihipStream_tbEUlRKdE_EESM_SQ_SR_mSS_SV_bEUlT_E_NS1_11comp_targetILNS1_3genE0ELNS1_11target_archE4294967295ELNS1_3gpuE0ELNS1_3repE0EEENS1_30default_config_static_selectorELNS0_4arch9wavefront6targetE0EEEvSP_
	.p2align	8
	.type	_ZN7rocprim17ROCPRIM_400000_NS6detail17trampoline_kernelINS0_14default_configENS1_29binary_search_config_selectorIdiEEZNS1_14transform_implILb0ES3_S5_N6thrust23THRUST_200600_302600_NS6detail15normal_iteratorINS8_10device_ptrIdEEEENSA_INSB_IiEEEEZNS1_13binary_searchIS3_S5_SD_SD_SF_NS1_16binary_search_opENS9_16wrapped_functionINS0_4lessIvEEbEEEE10hipError_tPvRmT1_T2_T3_mmT4_T5_P12ihipStream_tbEUlRKdE_EESM_SQ_SR_mSS_SV_bEUlT_E_NS1_11comp_targetILNS1_3genE0ELNS1_11target_archE4294967295ELNS1_3gpuE0ELNS1_3repE0EEENS1_30default_config_static_selectorELNS0_4arch9wavefront6targetE0EEEvSP_,@function
_ZN7rocprim17ROCPRIM_400000_NS6detail17trampoline_kernelINS0_14default_configENS1_29binary_search_config_selectorIdiEEZNS1_14transform_implILb0ES3_S5_N6thrust23THRUST_200600_302600_NS6detail15normal_iteratorINS8_10device_ptrIdEEEENSA_INSB_IiEEEEZNS1_13binary_searchIS3_S5_SD_SD_SF_NS1_16binary_search_opENS9_16wrapped_functionINS0_4lessIvEEbEEEE10hipError_tPvRmT1_T2_T3_mmT4_T5_P12ihipStream_tbEUlRKdE_EESM_SQ_SR_mSS_SV_bEUlT_E_NS1_11comp_targetILNS1_3genE0ELNS1_11target_archE4294967295ELNS1_3gpuE0ELNS1_3repE0EEENS1_30default_config_static_selectorELNS0_4arch9wavefront6targetE0EEEvSP_: ; @_ZN7rocprim17ROCPRIM_400000_NS6detail17trampoline_kernelINS0_14default_configENS1_29binary_search_config_selectorIdiEEZNS1_14transform_implILb0ES3_S5_N6thrust23THRUST_200600_302600_NS6detail15normal_iteratorINS8_10device_ptrIdEEEENSA_INSB_IiEEEEZNS1_13binary_searchIS3_S5_SD_SD_SF_NS1_16binary_search_opENS9_16wrapped_functionINS0_4lessIvEEbEEEE10hipError_tPvRmT1_T2_T3_mmT4_T5_P12ihipStream_tbEUlRKdE_EESM_SQ_SR_mSS_SV_bEUlT_E_NS1_11comp_targetILNS1_3genE0ELNS1_11target_archE4294967295ELNS1_3gpuE0ELNS1_3repE0EEENS1_30default_config_static_selectorELNS0_4arch9wavefront6targetE0EEEvSP_
; %bb.0:
	.section	.rodata,"a",@progbits
	.p2align	6, 0x0
	.amdhsa_kernel _ZN7rocprim17ROCPRIM_400000_NS6detail17trampoline_kernelINS0_14default_configENS1_29binary_search_config_selectorIdiEEZNS1_14transform_implILb0ES3_S5_N6thrust23THRUST_200600_302600_NS6detail15normal_iteratorINS8_10device_ptrIdEEEENSA_INSB_IiEEEEZNS1_13binary_searchIS3_S5_SD_SD_SF_NS1_16binary_search_opENS9_16wrapped_functionINS0_4lessIvEEbEEEE10hipError_tPvRmT1_T2_T3_mmT4_T5_P12ihipStream_tbEUlRKdE_EESM_SQ_SR_mSS_SV_bEUlT_E_NS1_11comp_targetILNS1_3genE0ELNS1_11target_archE4294967295ELNS1_3gpuE0ELNS1_3repE0EEENS1_30default_config_static_selectorELNS0_4arch9wavefront6targetE0EEEvSP_
		.amdhsa_group_segment_fixed_size 0
		.amdhsa_private_segment_fixed_size 0
		.amdhsa_kernarg_size 56
		.amdhsa_user_sgpr_count 15
		.amdhsa_user_sgpr_dispatch_ptr 0
		.amdhsa_user_sgpr_queue_ptr 0
		.amdhsa_user_sgpr_kernarg_segment_ptr 1
		.amdhsa_user_sgpr_dispatch_id 0
		.amdhsa_user_sgpr_private_segment_size 0
		.amdhsa_wavefront_size32 1
		.amdhsa_uses_dynamic_stack 0
		.amdhsa_enable_private_segment 0
		.amdhsa_system_sgpr_workgroup_id_x 1
		.amdhsa_system_sgpr_workgroup_id_y 0
		.amdhsa_system_sgpr_workgroup_id_z 0
		.amdhsa_system_sgpr_workgroup_info 0
		.amdhsa_system_vgpr_workitem_id 0
		.amdhsa_next_free_vgpr 1
		.amdhsa_next_free_sgpr 1
		.amdhsa_reserve_vcc 0
		.amdhsa_float_round_mode_32 0
		.amdhsa_float_round_mode_16_64 0
		.amdhsa_float_denorm_mode_32 3
		.amdhsa_float_denorm_mode_16_64 3
		.amdhsa_dx10_clamp 1
		.amdhsa_ieee_mode 1
		.amdhsa_fp16_overflow 0
		.amdhsa_workgroup_processor_mode 1
		.amdhsa_memory_ordered 1
		.amdhsa_forward_progress 0
		.amdhsa_shared_vgpr_count 0
		.amdhsa_exception_fp_ieee_invalid_op 0
		.amdhsa_exception_fp_denorm_src 0
		.amdhsa_exception_fp_ieee_div_zero 0
		.amdhsa_exception_fp_ieee_overflow 0
		.amdhsa_exception_fp_ieee_underflow 0
		.amdhsa_exception_fp_ieee_inexact 0
		.amdhsa_exception_int_div_zero 0
	.end_amdhsa_kernel
	.section	.text._ZN7rocprim17ROCPRIM_400000_NS6detail17trampoline_kernelINS0_14default_configENS1_29binary_search_config_selectorIdiEEZNS1_14transform_implILb0ES3_S5_N6thrust23THRUST_200600_302600_NS6detail15normal_iteratorINS8_10device_ptrIdEEEENSA_INSB_IiEEEEZNS1_13binary_searchIS3_S5_SD_SD_SF_NS1_16binary_search_opENS9_16wrapped_functionINS0_4lessIvEEbEEEE10hipError_tPvRmT1_T2_T3_mmT4_T5_P12ihipStream_tbEUlRKdE_EESM_SQ_SR_mSS_SV_bEUlT_E_NS1_11comp_targetILNS1_3genE0ELNS1_11target_archE4294967295ELNS1_3gpuE0ELNS1_3repE0EEENS1_30default_config_static_selectorELNS0_4arch9wavefront6targetE0EEEvSP_,"axG",@progbits,_ZN7rocprim17ROCPRIM_400000_NS6detail17trampoline_kernelINS0_14default_configENS1_29binary_search_config_selectorIdiEEZNS1_14transform_implILb0ES3_S5_N6thrust23THRUST_200600_302600_NS6detail15normal_iteratorINS8_10device_ptrIdEEEENSA_INSB_IiEEEEZNS1_13binary_searchIS3_S5_SD_SD_SF_NS1_16binary_search_opENS9_16wrapped_functionINS0_4lessIvEEbEEEE10hipError_tPvRmT1_T2_T3_mmT4_T5_P12ihipStream_tbEUlRKdE_EESM_SQ_SR_mSS_SV_bEUlT_E_NS1_11comp_targetILNS1_3genE0ELNS1_11target_archE4294967295ELNS1_3gpuE0ELNS1_3repE0EEENS1_30default_config_static_selectorELNS0_4arch9wavefront6targetE0EEEvSP_,comdat
.Lfunc_end411:
	.size	_ZN7rocprim17ROCPRIM_400000_NS6detail17trampoline_kernelINS0_14default_configENS1_29binary_search_config_selectorIdiEEZNS1_14transform_implILb0ES3_S5_N6thrust23THRUST_200600_302600_NS6detail15normal_iteratorINS8_10device_ptrIdEEEENSA_INSB_IiEEEEZNS1_13binary_searchIS3_S5_SD_SD_SF_NS1_16binary_search_opENS9_16wrapped_functionINS0_4lessIvEEbEEEE10hipError_tPvRmT1_T2_T3_mmT4_T5_P12ihipStream_tbEUlRKdE_EESM_SQ_SR_mSS_SV_bEUlT_E_NS1_11comp_targetILNS1_3genE0ELNS1_11target_archE4294967295ELNS1_3gpuE0ELNS1_3repE0EEENS1_30default_config_static_selectorELNS0_4arch9wavefront6targetE0EEEvSP_, .Lfunc_end411-_ZN7rocprim17ROCPRIM_400000_NS6detail17trampoline_kernelINS0_14default_configENS1_29binary_search_config_selectorIdiEEZNS1_14transform_implILb0ES3_S5_N6thrust23THRUST_200600_302600_NS6detail15normal_iteratorINS8_10device_ptrIdEEEENSA_INSB_IiEEEEZNS1_13binary_searchIS3_S5_SD_SD_SF_NS1_16binary_search_opENS9_16wrapped_functionINS0_4lessIvEEbEEEE10hipError_tPvRmT1_T2_T3_mmT4_T5_P12ihipStream_tbEUlRKdE_EESM_SQ_SR_mSS_SV_bEUlT_E_NS1_11comp_targetILNS1_3genE0ELNS1_11target_archE4294967295ELNS1_3gpuE0ELNS1_3repE0EEENS1_30default_config_static_selectorELNS0_4arch9wavefront6targetE0EEEvSP_
                                        ; -- End function
	.section	.AMDGPU.csdata,"",@progbits
; Kernel info:
; codeLenInByte = 0
; NumSgprs: 0
; NumVgprs: 0
; ScratchSize: 0
; MemoryBound: 0
; FloatMode: 240
; IeeeMode: 1
; LDSByteSize: 0 bytes/workgroup (compile time only)
; SGPRBlocks: 0
; VGPRBlocks: 0
; NumSGPRsForWavesPerEU: 1
; NumVGPRsForWavesPerEU: 1
; Occupancy: 16
; WaveLimiterHint : 0
; COMPUTE_PGM_RSRC2:SCRATCH_EN: 0
; COMPUTE_PGM_RSRC2:USER_SGPR: 15
; COMPUTE_PGM_RSRC2:TRAP_HANDLER: 0
; COMPUTE_PGM_RSRC2:TGID_X_EN: 1
; COMPUTE_PGM_RSRC2:TGID_Y_EN: 0
; COMPUTE_PGM_RSRC2:TGID_Z_EN: 0
; COMPUTE_PGM_RSRC2:TIDIG_COMP_CNT: 0
	.section	.text._ZN7rocprim17ROCPRIM_400000_NS6detail17trampoline_kernelINS0_14default_configENS1_29binary_search_config_selectorIdiEEZNS1_14transform_implILb0ES3_S5_N6thrust23THRUST_200600_302600_NS6detail15normal_iteratorINS8_10device_ptrIdEEEENSA_INSB_IiEEEEZNS1_13binary_searchIS3_S5_SD_SD_SF_NS1_16binary_search_opENS9_16wrapped_functionINS0_4lessIvEEbEEEE10hipError_tPvRmT1_T2_T3_mmT4_T5_P12ihipStream_tbEUlRKdE_EESM_SQ_SR_mSS_SV_bEUlT_E_NS1_11comp_targetILNS1_3genE5ELNS1_11target_archE942ELNS1_3gpuE9ELNS1_3repE0EEENS1_30default_config_static_selectorELNS0_4arch9wavefront6targetE0EEEvSP_,"axG",@progbits,_ZN7rocprim17ROCPRIM_400000_NS6detail17trampoline_kernelINS0_14default_configENS1_29binary_search_config_selectorIdiEEZNS1_14transform_implILb0ES3_S5_N6thrust23THRUST_200600_302600_NS6detail15normal_iteratorINS8_10device_ptrIdEEEENSA_INSB_IiEEEEZNS1_13binary_searchIS3_S5_SD_SD_SF_NS1_16binary_search_opENS9_16wrapped_functionINS0_4lessIvEEbEEEE10hipError_tPvRmT1_T2_T3_mmT4_T5_P12ihipStream_tbEUlRKdE_EESM_SQ_SR_mSS_SV_bEUlT_E_NS1_11comp_targetILNS1_3genE5ELNS1_11target_archE942ELNS1_3gpuE9ELNS1_3repE0EEENS1_30default_config_static_selectorELNS0_4arch9wavefront6targetE0EEEvSP_,comdat
	.protected	_ZN7rocprim17ROCPRIM_400000_NS6detail17trampoline_kernelINS0_14default_configENS1_29binary_search_config_selectorIdiEEZNS1_14transform_implILb0ES3_S5_N6thrust23THRUST_200600_302600_NS6detail15normal_iteratorINS8_10device_ptrIdEEEENSA_INSB_IiEEEEZNS1_13binary_searchIS3_S5_SD_SD_SF_NS1_16binary_search_opENS9_16wrapped_functionINS0_4lessIvEEbEEEE10hipError_tPvRmT1_T2_T3_mmT4_T5_P12ihipStream_tbEUlRKdE_EESM_SQ_SR_mSS_SV_bEUlT_E_NS1_11comp_targetILNS1_3genE5ELNS1_11target_archE942ELNS1_3gpuE9ELNS1_3repE0EEENS1_30default_config_static_selectorELNS0_4arch9wavefront6targetE0EEEvSP_ ; -- Begin function _ZN7rocprim17ROCPRIM_400000_NS6detail17trampoline_kernelINS0_14default_configENS1_29binary_search_config_selectorIdiEEZNS1_14transform_implILb0ES3_S5_N6thrust23THRUST_200600_302600_NS6detail15normal_iteratorINS8_10device_ptrIdEEEENSA_INSB_IiEEEEZNS1_13binary_searchIS3_S5_SD_SD_SF_NS1_16binary_search_opENS9_16wrapped_functionINS0_4lessIvEEbEEEE10hipError_tPvRmT1_T2_T3_mmT4_T5_P12ihipStream_tbEUlRKdE_EESM_SQ_SR_mSS_SV_bEUlT_E_NS1_11comp_targetILNS1_3genE5ELNS1_11target_archE942ELNS1_3gpuE9ELNS1_3repE0EEENS1_30default_config_static_selectorELNS0_4arch9wavefront6targetE0EEEvSP_
	.globl	_ZN7rocprim17ROCPRIM_400000_NS6detail17trampoline_kernelINS0_14default_configENS1_29binary_search_config_selectorIdiEEZNS1_14transform_implILb0ES3_S5_N6thrust23THRUST_200600_302600_NS6detail15normal_iteratorINS8_10device_ptrIdEEEENSA_INSB_IiEEEEZNS1_13binary_searchIS3_S5_SD_SD_SF_NS1_16binary_search_opENS9_16wrapped_functionINS0_4lessIvEEbEEEE10hipError_tPvRmT1_T2_T3_mmT4_T5_P12ihipStream_tbEUlRKdE_EESM_SQ_SR_mSS_SV_bEUlT_E_NS1_11comp_targetILNS1_3genE5ELNS1_11target_archE942ELNS1_3gpuE9ELNS1_3repE0EEENS1_30default_config_static_selectorELNS0_4arch9wavefront6targetE0EEEvSP_
	.p2align	8
	.type	_ZN7rocprim17ROCPRIM_400000_NS6detail17trampoline_kernelINS0_14default_configENS1_29binary_search_config_selectorIdiEEZNS1_14transform_implILb0ES3_S5_N6thrust23THRUST_200600_302600_NS6detail15normal_iteratorINS8_10device_ptrIdEEEENSA_INSB_IiEEEEZNS1_13binary_searchIS3_S5_SD_SD_SF_NS1_16binary_search_opENS9_16wrapped_functionINS0_4lessIvEEbEEEE10hipError_tPvRmT1_T2_T3_mmT4_T5_P12ihipStream_tbEUlRKdE_EESM_SQ_SR_mSS_SV_bEUlT_E_NS1_11comp_targetILNS1_3genE5ELNS1_11target_archE942ELNS1_3gpuE9ELNS1_3repE0EEENS1_30default_config_static_selectorELNS0_4arch9wavefront6targetE0EEEvSP_,@function
_ZN7rocprim17ROCPRIM_400000_NS6detail17trampoline_kernelINS0_14default_configENS1_29binary_search_config_selectorIdiEEZNS1_14transform_implILb0ES3_S5_N6thrust23THRUST_200600_302600_NS6detail15normal_iteratorINS8_10device_ptrIdEEEENSA_INSB_IiEEEEZNS1_13binary_searchIS3_S5_SD_SD_SF_NS1_16binary_search_opENS9_16wrapped_functionINS0_4lessIvEEbEEEE10hipError_tPvRmT1_T2_T3_mmT4_T5_P12ihipStream_tbEUlRKdE_EESM_SQ_SR_mSS_SV_bEUlT_E_NS1_11comp_targetILNS1_3genE5ELNS1_11target_archE942ELNS1_3gpuE9ELNS1_3repE0EEENS1_30default_config_static_selectorELNS0_4arch9wavefront6targetE0EEEvSP_: ; @_ZN7rocprim17ROCPRIM_400000_NS6detail17trampoline_kernelINS0_14default_configENS1_29binary_search_config_selectorIdiEEZNS1_14transform_implILb0ES3_S5_N6thrust23THRUST_200600_302600_NS6detail15normal_iteratorINS8_10device_ptrIdEEEENSA_INSB_IiEEEEZNS1_13binary_searchIS3_S5_SD_SD_SF_NS1_16binary_search_opENS9_16wrapped_functionINS0_4lessIvEEbEEEE10hipError_tPvRmT1_T2_T3_mmT4_T5_P12ihipStream_tbEUlRKdE_EESM_SQ_SR_mSS_SV_bEUlT_E_NS1_11comp_targetILNS1_3genE5ELNS1_11target_archE942ELNS1_3gpuE9ELNS1_3repE0EEENS1_30default_config_static_selectorELNS0_4arch9wavefront6targetE0EEEvSP_
; %bb.0:
	.section	.rodata,"a",@progbits
	.p2align	6, 0x0
	.amdhsa_kernel _ZN7rocprim17ROCPRIM_400000_NS6detail17trampoline_kernelINS0_14default_configENS1_29binary_search_config_selectorIdiEEZNS1_14transform_implILb0ES3_S5_N6thrust23THRUST_200600_302600_NS6detail15normal_iteratorINS8_10device_ptrIdEEEENSA_INSB_IiEEEEZNS1_13binary_searchIS3_S5_SD_SD_SF_NS1_16binary_search_opENS9_16wrapped_functionINS0_4lessIvEEbEEEE10hipError_tPvRmT1_T2_T3_mmT4_T5_P12ihipStream_tbEUlRKdE_EESM_SQ_SR_mSS_SV_bEUlT_E_NS1_11comp_targetILNS1_3genE5ELNS1_11target_archE942ELNS1_3gpuE9ELNS1_3repE0EEENS1_30default_config_static_selectorELNS0_4arch9wavefront6targetE0EEEvSP_
		.amdhsa_group_segment_fixed_size 0
		.amdhsa_private_segment_fixed_size 0
		.amdhsa_kernarg_size 56
		.amdhsa_user_sgpr_count 15
		.amdhsa_user_sgpr_dispatch_ptr 0
		.amdhsa_user_sgpr_queue_ptr 0
		.amdhsa_user_sgpr_kernarg_segment_ptr 1
		.amdhsa_user_sgpr_dispatch_id 0
		.amdhsa_user_sgpr_private_segment_size 0
		.amdhsa_wavefront_size32 1
		.amdhsa_uses_dynamic_stack 0
		.amdhsa_enable_private_segment 0
		.amdhsa_system_sgpr_workgroup_id_x 1
		.amdhsa_system_sgpr_workgroup_id_y 0
		.amdhsa_system_sgpr_workgroup_id_z 0
		.amdhsa_system_sgpr_workgroup_info 0
		.amdhsa_system_vgpr_workitem_id 0
		.amdhsa_next_free_vgpr 1
		.amdhsa_next_free_sgpr 1
		.amdhsa_reserve_vcc 0
		.amdhsa_float_round_mode_32 0
		.amdhsa_float_round_mode_16_64 0
		.amdhsa_float_denorm_mode_32 3
		.amdhsa_float_denorm_mode_16_64 3
		.amdhsa_dx10_clamp 1
		.amdhsa_ieee_mode 1
		.amdhsa_fp16_overflow 0
		.amdhsa_workgroup_processor_mode 1
		.amdhsa_memory_ordered 1
		.amdhsa_forward_progress 0
		.amdhsa_shared_vgpr_count 0
		.amdhsa_exception_fp_ieee_invalid_op 0
		.amdhsa_exception_fp_denorm_src 0
		.amdhsa_exception_fp_ieee_div_zero 0
		.amdhsa_exception_fp_ieee_overflow 0
		.amdhsa_exception_fp_ieee_underflow 0
		.amdhsa_exception_fp_ieee_inexact 0
		.amdhsa_exception_int_div_zero 0
	.end_amdhsa_kernel
	.section	.text._ZN7rocprim17ROCPRIM_400000_NS6detail17trampoline_kernelINS0_14default_configENS1_29binary_search_config_selectorIdiEEZNS1_14transform_implILb0ES3_S5_N6thrust23THRUST_200600_302600_NS6detail15normal_iteratorINS8_10device_ptrIdEEEENSA_INSB_IiEEEEZNS1_13binary_searchIS3_S5_SD_SD_SF_NS1_16binary_search_opENS9_16wrapped_functionINS0_4lessIvEEbEEEE10hipError_tPvRmT1_T2_T3_mmT4_T5_P12ihipStream_tbEUlRKdE_EESM_SQ_SR_mSS_SV_bEUlT_E_NS1_11comp_targetILNS1_3genE5ELNS1_11target_archE942ELNS1_3gpuE9ELNS1_3repE0EEENS1_30default_config_static_selectorELNS0_4arch9wavefront6targetE0EEEvSP_,"axG",@progbits,_ZN7rocprim17ROCPRIM_400000_NS6detail17trampoline_kernelINS0_14default_configENS1_29binary_search_config_selectorIdiEEZNS1_14transform_implILb0ES3_S5_N6thrust23THRUST_200600_302600_NS6detail15normal_iteratorINS8_10device_ptrIdEEEENSA_INSB_IiEEEEZNS1_13binary_searchIS3_S5_SD_SD_SF_NS1_16binary_search_opENS9_16wrapped_functionINS0_4lessIvEEbEEEE10hipError_tPvRmT1_T2_T3_mmT4_T5_P12ihipStream_tbEUlRKdE_EESM_SQ_SR_mSS_SV_bEUlT_E_NS1_11comp_targetILNS1_3genE5ELNS1_11target_archE942ELNS1_3gpuE9ELNS1_3repE0EEENS1_30default_config_static_selectorELNS0_4arch9wavefront6targetE0EEEvSP_,comdat
.Lfunc_end412:
	.size	_ZN7rocprim17ROCPRIM_400000_NS6detail17trampoline_kernelINS0_14default_configENS1_29binary_search_config_selectorIdiEEZNS1_14transform_implILb0ES3_S5_N6thrust23THRUST_200600_302600_NS6detail15normal_iteratorINS8_10device_ptrIdEEEENSA_INSB_IiEEEEZNS1_13binary_searchIS3_S5_SD_SD_SF_NS1_16binary_search_opENS9_16wrapped_functionINS0_4lessIvEEbEEEE10hipError_tPvRmT1_T2_T3_mmT4_T5_P12ihipStream_tbEUlRKdE_EESM_SQ_SR_mSS_SV_bEUlT_E_NS1_11comp_targetILNS1_3genE5ELNS1_11target_archE942ELNS1_3gpuE9ELNS1_3repE0EEENS1_30default_config_static_selectorELNS0_4arch9wavefront6targetE0EEEvSP_, .Lfunc_end412-_ZN7rocprim17ROCPRIM_400000_NS6detail17trampoline_kernelINS0_14default_configENS1_29binary_search_config_selectorIdiEEZNS1_14transform_implILb0ES3_S5_N6thrust23THRUST_200600_302600_NS6detail15normal_iteratorINS8_10device_ptrIdEEEENSA_INSB_IiEEEEZNS1_13binary_searchIS3_S5_SD_SD_SF_NS1_16binary_search_opENS9_16wrapped_functionINS0_4lessIvEEbEEEE10hipError_tPvRmT1_T2_T3_mmT4_T5_P12ihipStream_tbEUlRKdE_EESM_SQ_SR_mSS_SV_bEUlT_E_NS1_11comp_targetILNS1_3genE5ELNS1_11target_archE942ELNS1_3gpuE9ELNS1_3repE0EEENS1_30default_config_static_selectorELNS0_4arch9wavefront6targetE0EEEvSP_
                                        ; -- End function
	.section	.AMDGPU.csdata,"",@progbits
; Kernel info:
; codeLenInByte = 0
; NumSgprs: 0
; NumVgprs: 0
; ScratchSize: 0
; MemoryBound: 0
; FloatMode: 240
; IeeeMode: 1
; LDSByteSize: 0 bytes/workgroup (compile time only)
; SGPRBlocks: 0
; VGPRBlocks: 0
; NumSGPRsForWavesPerEU: 1
; NumVGPRsForWavesPerEU: 1
; Occupancy: 16
; WaveLimiterHint : 0
; COMPUTE_PGM_RSRC2:SCRATCH_EN: 0
; COMPUTE_PGM_RSRC2:USER_SGPR: 15
; COMPUTE_PGM_RSRC2:TRAP_HANDLER: 0
; COMPUTE_PGM_RSRC2:TGID_X_EN: 1
; COMPUTE_PGM_RSRC2:TGID_Y_EN: 0
; COMPUTE_PGM_RSRC2:TGID_Z_EN: 0
; COMPUTE_PGM_RSRC2:TIDIG_COMP_CNT: 0
	.section	.text._ZN7rocprim17ROCPRIM_400000_NS6detail17trampoline_kernelINS0_14default_configENS1_29binary_search_config_selectorIdiEEZNS1_14transform_implILb0ES3_S5_N6thrust23THRUST_200600_302600_NS6detail15normal_iteratorINS8_10device_ptrIdEEEENSA_INSB_IiEEEEZNS1_13binary_searchIS3_S5_SD_SD_SF_NS1_16binary_search_opENS9_16wrapped_functionINS0_4lessIvEEbEEEE10hipError_tPvRmT1_T2_T3_mmT4_T5_P12ihipStream_tbEUlRKdE_EESM_SQ_SR_mSS_SV_bEUlT_E_NS1_11comp_targetILNS1_3genE4ELNS1_11target_archE910ELNS1_3gpuE8ELNS1_3repE0EEENS1_30default_config_static_selectorELNS0_4arch9wavefront6targetE0EEEvSP_,"axG",@progbits,_ZN7rocprim17ROCPRIM_400000_NS6detail17trampoline_kernelINS0_14default_configENS1_29binary_search_config_selectorIdiEEZNS1_14transform_implILb0ES3_S5_N6thrust23THRUST_200600_302600_NS6detail15normal_iteratorINS8_10device_ptrIdEEEENSA_INSB_IiEEEEZNS1_13binary_searchIS3_S5_SD_SD_SF_NS1_16binary_search_opENS9_16wrapped_functionINS0_4lessIvEEbEEEE10hipError_tPvRmT1_T2_T3_mmT4_T5_P12ihipStream_tbEUlRKdE_EESM_SQ_SR_mSS_SV_bEUlT_E_NS1_11comp_targetILNS1_3genE4ELNS1_11target_archE910ELNS1_3gpuE8ELNS1_3repE0EEENS1_30default_config_static_selectorELNS0_4arch9wavefront6targetE0EEEvSP_,comdat
	.protected	_ZN7rocprim17ROCPRIM_400000_NS6detail17trampoline_kernelINS0_14default_configENS1_29binary_search_config_selectorIdiEEZNS1_14transform_implILb0ES3_S5_N6thrust23THRUST_200600_302600_NS6detail15normal_iteratorINS8_10device_ptrIdEEEENSA_INSB_IiEEEEZNS1_13binary_searchIS3_S5_SD_SD_SF_NS1_16binary_search_opENS9_16wrapped_functionINS0_4lessIvEEbEEEE10hipError_tPvRmT1_T2_T3_mmT4_T5_P12ihipStream_tbEUlRKdE_EESM_SQ_SR_mSS_SV_bEUlT_E_NS1_11comp_targetILNS1_3genE4ELNS1_11target_archE910ELNS1_3gpuE8ELNS1_3repE0EEENS1_30default_config_static_selectorELNS0_4arch9wavefront6targetE0EEEvSP_ ; -- Begin function _ZN7rocprim17ROCPRIM_400000_NS6detail17trampoline_kernelINS0_14default_configENS1_29binary_search_config_selectorIdiEEZNS1_14transform_implILb0ES3_S5_N6thrust23THRUST_200600_302600_NS6detail15normal_iteratorINS8_10device_ptrIdEEEENSA_INSB_IiEEEEZNS1_13binary_searchIS3_S5_SD_SD_SF_NS1_16binary_search_opENS9_16wrapped_functionINS0_4lessIvEEbEEEE10hipError_tPvRmT1_T2_T3_mmT4_T5_P12ihipStream_tbEUlRKdE_EESM_SQ_SR_mSS_SV_bEUlT_E_NS1_11comp_targetILNS1_3genE4ELNS1_11target_archE910ELNS1_3gpuE8ELNS1_3repE0EEENS1_30default_config_static_selectorELNS0_4arch9wavefront6targetE0EEEvSP_
	.globl	_ZN7rocprim17ROCPRIM_400000_NS6detail17trampoline_kernelINS0_14default_configENS1_29binary_search_config_selectorIdiEEZNS1_14transform_implILb0ES3_S5_N6thrust23THRUST_200600_302600_NS6detail15normal_iteratorINS8_10device_ptrIdEEEENSA_INSB_IiEEEEZNS1_13binary_searchIS3_S5_SD_SD_SF_NS1_16binary_search_opENS9_16wrapped_functionINS0_4lessIvEEbEEEE10hipError_tPvRmT1_T2_T3_mmT4_T5_P12ihipStream_tbEUlRKdE_EESM_SQ_SR_mSS_SV_bEUlT_E_NS1_11comp_targetILNS1_3genE4ELNS1_11target_archE910ELNS1_3gpuE8ELNS1_3repE0EEENS1_30default_config_static_selectorELNS0_4arch9wavefront6targetE0EEEvSP_
	.p2align	8
	.type	_ZN7rocprim17ROCPRIM_400000_NS6detail17trampoline_kernelINS0_14default_configENS1_29binary_search_config_selectorIdiEEZNS1_14transform_implILb0ES3_S5_N6thrust23THRUST_200600_302600_NS6detail15normal_iteratorINS8_10device_ptrIdEEEENSA_INSB_IiEEEEZNS1_13binary_searchIS3_S5_SD_SD_SF_NS1_16binary_search_opENS9_16wrapped_functionINS0_4lessIvEEbEEEE10hipError_tPvRmT1_T2_T3_mmT4_T5_P12ihipStream_tbEUlRKdE_EESM_SQ_SR_mSS_SV_bEUlT_E_NS1_11comp_targetILNS1_3genE4ELNS1_11target_archE910ELNS1_3gpuE8ELNS1_3repE0EEENS1_30default_config_static_selectorELNS0_4arch9wavefront6targetE0EEEvSP_,@function
_ZN7rocprim17ROCPRIM_400000_NS6detail17trampoline_kernelINS0_14default_configENS1_29binary_search_config_selectorIdiEEZNS1_14transform_implILb0ES3_S5_N6thrust23THRUST_200600_302600_NS6detail15normal_iteratorINS8_10device_ptrIdEEEENSA_INSB_IiEEEEZNS1_13binary_searchIS3_S5_SD_SD_SF_NS1_16binary_search_opENS9_16wrapped_functionINS0_4lessIvEEbEEEE10hipError_tPvRmT1_T2_T3_mmT4_T5_P12ihipStream_tbEUlRKdE_EESM_SQ_SR_mSS_SV_bEUlT_E_NS1_11comp_targetILNS1_3genE4ELNS1_11target_archE910ELNS1_3gpuE8ELNS1_3repE0EEENS1_30default_config_static_selectorELNS0_4arch9wavefront6targetE0EEEvSP_: ; @_ZN7rocprim17ROCPRIM_400000_NS6detail17trampoline_kernelINS0_14default_configENS1_29binary_search_config_selectorIdiEEZNS1_14transform_implILb0ES3_S5_N6thrust23THRUST_200600_302600_NS6detail15normal_iteratorINS8_10device_ptrIdEEEENSA_INSB_IiEEEEZNS1_13binary_searchIS3_S5_SD_SD_SF_NS1_16binary_search_opENS9_16wrapped_functionINS0_4lessIvEEbEEEE10hipError_tPvRmT1_T2_T3_mmT4_T5_P12ihipStream_tbEUlRKdE_EESM_SQ_SR_mSS_SV_bEUlT_E_NS1_11comp_targetILNS1_3genE4ELNS1_11target_archE910ELNS1_3gpuE8ELNS1_3repE0EEENS1_30default_config_static_selectorELNS0_4arch9wavefront6targetE0EEEvSP_
; %bb.0:
	.section	.rodata,"a",@progbits
	.p2align	6, 0x0
	.amdhsa_kernel _ZN7rocprim17ROCPRIM_400000_NS6detail17trampoline_kernelINS0_14default_configENS1_29binary_search_config_selectorIdiEEZNS1_14transform_implILb0ES3_S5_N6thrust23THRUST_200600_302600_NS6detail15normal_iteratorINS8_10device_ptrIdEEEENSA_INSB_IiEEEEZNS1_13binary_searchIS3_S5_SD_SD_SF_NS1_16binary_search_opENS9_16wrapped_functionINS0_4lessIvEEbEEEE10hipError_tPvRmT1_T2_T3_mmT4_T5_P12ihipStream_tbEUlRKdE_EESM_SQ_SR_mSS_SV_bEUlT_E_NS1_11comp_targetILNS1_3genE4ELNS1_11target_archE910ELNS1_3gpuE8ELNS1_3repE0EEENS1_30default_config_static_selectorELNS0_4arch9wavefront6targetE0EEEvSP_
		.amdhsa_group_segment_fixed_size 0
		.amdhsa_private_segment_fixed_size 0
		.amdhsa_kernarg_size 56
		.amdhsa_user_sgpr_count 15
		.amdhsa_user_sgpr_dispatch_ptr 0
		.amdhsa_user_sgpr_queue_ptr 0
		.amdhsa_user_sgpr_kernarg_segment_ptr 1
		.amdhsa_user_sgpr_dispatch_id 0
		.amdhsa_user_sgpr_private_segment_size 0
		.amdhsa_wavefront_size32 1
		.amdhsa_uses_dynamic_stack 0
		.amdhsa_enable_private_segment 0
		.amdhsa_system_sgpr_workgroup_id_x 1
		.amdhsa_system_sgpr_workgroup_id_y 0
		.amdhsa_system_sgpr_workgroup_id_z 0
		.amdhsa_system_sgpr_workgroup_info 0
		.amdhsa_system_vgpr_workitem_id 0
		.amdhsa_next_free_vgpr 1
		.amdhsa_next_free_sgpr 1
		.amdhsa_reserve_vcc 0
		.amdhsa_float_round_mode_32 0
		.amdhsa_float_round_mode_16_64 0
		.amdhsa_float_denorm_mode_32 3
		.amdhsa_float_denorm_mode_16_64 3
		.amdhsa_dx10_clamp 1
		.amdhsa_ieee_mode 1
		.amdhsa_fp16_overflow 0
		.amdhsa_workgroup_processor_mode 1
		.amdhsa_memory_ordered 1
		.amdhsa_forward_progress 0
		.amdhsa_shared_vgpr_count 0
		.amdhsa_exception_fp_ieee_invalid_op 0
		.amdhsa_exception_fp_denorm_src 0
		.amdhsa_exception_fp_ieee_div_zero 0
		.amdhsa_exception_fp_ieee_overflow 0
		.amdhsa_exception_fp_ieee_underflow 0
		.amdhsa_exception_fp_ieee_inexact 0
		.amdhsa_exception_int_div_zero 0
	.end_amdhsa_kernel
	.section	.text._ZN7rocprim17ROCPRIM_400000_NS6detail17trampoline_kernelINS0_14default_configENS1_29binary_search_config_selectorIdiEEZNS1_14transform_implILb0ES3_S5_N6thrust23THRUST_200600_302600_NS6detail15normal_iteratorINS8_10device_ptrIdEEEENSA_INSB_IiEEEEZNS1_13binary_searchIS3_S5_SD_SD_SF_NS1_16binary_search_opENS9_16wrapped_functionINS0_4lessIvEEbEEEE10hipError_tPvRmT1_T2_T3_mmT4_T5_P12ihipStream_tbEUlRKdE_EESM_SQ_SR_mSS_SV_bEUlT_E_NS1_11comp_targetILNS1_3genE4ELNS1_11target_archE910ELNS1_3gpuE8ELNS1_3repE0EEENS1_30default_config_static_selectorELNS0_4arch9wavefront6targetE0EEEvSP_,"axG",@progbits,_ZN7rocprim17ROCPRIM_400000_NS6detail17trampoline_kernelINS0_14default_configENS1_29binary_search_config_selectorIdiEEZNS1_14transform_implILb0ES3_S5_N6thrust23THRUST_200600_302600_NS6detail15normal_iteratorINS8_10device_ptrIdEEEENSA_INSB_IiEEEEZNS1_13binary_searchIS3_S5_SD_SD_SF_NS1_16binary_search_opENS9_16wrapped_functionINS0_4lessIvEEbEEEE10hipError_tPvRmT1_T2_T3_mmT4_T5_P12ihipStream_tbEUlRKdE_EESM_SQ_SR_mSS_SV_bEUlT_E_NS1_11comp_targetILNS1_3genE4ELNS1_11target_archE910ELNS1_3gpuE8ELNS1_3repE0EEENS1_30default_config_static_selectorELNS0_4arch9wavefront6targetE0EEEvSP_,comdat
.Lfunc_end413:
	.size	_ZN7rocprim17ROCPRIM_400000_NS6detail17trampoline_kernelINS0_14default_configENS1_29binary_search_config_selectorIdiEEZNS1_14transform_implILb0ES3_S5_N6thrust23THRUST_200600_302600_NS6detail15normal_iteratorINS8_10device_ptrIdEEEENSA_INSB_IiEEEEZNS1_13binary_searchIS3_S5_SD_SD_SF_NS1_16binary_search_opENS9_16wrapped_functionINS0_4lessIvEEbEEEE10hipError_tPvRmT1_T2_T3_mmT4_T5_P12ihipStream_tbEUlRKdE_EESM_SQ_SR_mSS_SV_bEUlT_E_NS1_11comp_targetILNS1_3genE4ELNS1_11target_archE910ELNS1_3gpuE8ELNS1_3repE0EEENS1_30default_config_static_selectorELNS0_4arch9wavefront6targetE0EEEvSP_, .Lfunc_end413-_ZN7rocprim17ROCPRIM_400000_NS6detail17trampoline_kernelINS0_14default_configENS1_29binary_search_config_selectorIdiEEZNS1_14transform_implILb0ES3_S5_N6thrust23THRUST_200600_302600_NS6detail15normal_iteratorINS8_10device_ptrIdEEEENSA_INSB_IiEEEEZNS1_13binary_searchIS3_S5_SD_SD_SF_NS1_16binary_search_opENS9_16wrapped_functionINS0_4lessIvEEbEEEE10hipError_tPvRmT1_T2_T3_mmT4_T5_P12ihipStream_tbEUlRKdE_EESM_SQ_SR_mSS_SV_bEUlT_E_NS1_11comp_targetILNS1_3genE4ELNS1_11target_archE910ELNS1_3gpuE8ELNS1_3repE0EEENS1_30default_config_static_selectorELNS0_4arch9wavefront6targetE0EEEvSP_
                                        ; -- End function
	.section	.AMDGPU.csdata,"",@progbits
; Kernel info:
; codeLenInByte = 0
; NumSgprs: 0
; NumVgprs: 0
; ScratchSize: 0
; MemoryBound: 0
; FloatMode: 240
; IeeeMode: 1
; LDSByteSize: 0 bytes/workgroup (compile time only)
; SGPRBlocks: 0
; VGPRBlocks: 0
; NumSGPRsForWavesPerEU: 1
; NumVGPRsForWavesPerEU: 1
; Occupancy: 16
; WaveLimiterHint : 0
; COMPUTE_PGM_RSRC2:SCRATCH_EN: 0
; COMPUTE_PGM_RSRC2:USER_SGPR: 15
; COMPUTE_PGM_RSRC2:TRAP_HANDLER: 0
; COMPUTE_PGM_RSRC2:TGID_X_EN: 1
; COMPUTE_PGM_RSRC2:TGID_Y_EN: 0
; COMPUTE_PGM_RSRC2:TGID_Z_EN: 0
; COMPUTE_PGM_RSRC2:TIDIG_COMP_CNT: 0
	.section	.text._ZN7rocprim17ROCPRIM_400000_NS6detail17trampoline_kernelINS0_14default_configENS1_29binary_search_config_selectorIdiEEZNS1_14transform_implILb0ES3_S5_N6thrust23THRUST_200600_302600_NS6detail15normal_iteratorINS8_10device_ptrIdEEEENSA_INSB_IiEEEEZNS1_13binary_searchIS3_S5_SD_SD_SF_NS1_16binary_search_opENS9_16wrapped_functionINS0_4lessIvEEbEEEE10hipError_tPvRmT1_T2_T3_mmT4_T5_P12ihipStream_tbEUlRKdE_EESM_SQ_SR_mSS_SV_bEUlT_E_NS1_11comp_targetILNS1_3genE3ELNS1_11target_archE908ELNS1_3gpuE7ELNS1_3repE0EEENS1_30default_config_static_selectorELNS0_4arch9wavefront6targetE0EEEvSP_,"axG",@progbits,_ZN7rocprim17ROCPRIM_400000_NS6detail17trampoline_kernelINS0_14default_configENS1_29binary_search_config_selectorIdiEEZNS1_14transform_implILb0ES3_S5_N6thrust23THRUST_200600_302600_NS6detail15normal_iteratorINS8_10device_ptrIdEEEENSA_INSB_IiEEEEZNS1_13binary_searchIS3_S5_SD_SD_SF_NS1_16binary_search_opENS9_16wrapped_functionINS0_4lessIvEEbEEEE10hipError_tPvRmT1_T2_T3_mmT4_T5_P12ihipStream_tbEUlRKdE_EESM_SQ_SR_mSS_SV_bEUlT_E_NS1_11comp_targetILNS1_3genE3ELNS1_11target_archE908ELNS1_3gpuE7ELNS1_3repE0EEENS1_30default_config_static_selectorELNS0_4arch9wavefront6targetE0EEEvSP_,comdat
	.protected	_ZN7rocprim17ROCPRIM_400000_NS6detail17trampoline_kernelINS0_14default_configENS1_29binary_search_config_selectorIdiEEZNS1_14transform_implILb0ES3_S5_N6thrust23THRUST_200600_302600_NS6detail15normal_iteratorINS8_10device_ptrIdEEEENSA_INSB_IiEEEEZNS1_13binary_searchIS3_S5_SD_SD_SF_NS1_16binary_search_opENS9_16wrapped_functionINS0_4lessIvEEbEEEE10hipError_tPvRmT1_T2_T3_mmT4_T5_P12ihipStream_tbEUlRKdE_EESM_SQ_SR_mSS_SV_bEUlT_E_NS1_11comp_targetILNS1_3genE3ELNS1_11target_archE908ELNS1_3gpuE7ELNS1_3repE0EEENS1_30default_config_static_selectorELNS0_4arch9wavefront6targetE0EEEvSP_ ; -- Begin function _ZN7rocprim17ROCPRIM_400000_NS6detail17trampoline_kernelINS0_14default_configENS1_29binary_search_config_selectorIdiEEZNS1_14transform_implILb0ES3_S5_N6thrust23THRUST_200600_302600_NS6detail15normal_iteratorINS8_10device_ptrIdEEEENSA_INSB_IiEEEEZNS1_13binary_searchIS3_S5_SD_SD_SF_NS1_16binary_search_opENS9_16wrapped_functionINS0_4lessIvEEbEEEE10hipError_tPvRmT1_T2_T3_mmT4_T5_P12ihipStream_tbEUlRKdE_EESM_SQ_SR_mSS_SV_bEUlT_E_NS1_11comp_targetILNS1_3genE3ELNS1_11target_archE908ELNS1_3gpuE7ELNS1_3repE0EEENS1_30default_config_static_selectorELNS0_4arch9wavefront6targetE0EEEvSP_
	.globl	_ZN7rocprim17ROCPRIM_400000_NS6detail17trampoline_kernelINS0_14default_configENS1_29binary_search_config_selectorIdiEEZNS1_14transform_implILb0ES3_S5_N6thrust23THRUST_200600_302600_NS6detail15normal_iteratorINS8_10device_ptrIdEEEENSA_INSB_IiEEEEZNS1_13binary_searchIS3_S5_SD_SD_SF_NS1_16binary_search_opENS9_16wrapped_functionINS0_4lessIvEEbEEEE10hipError_tPvRmT1_T2_T3_mmT4_T5_P12ihipStream_tbEUlRKdE_EESM_SQ_SR_mSS_SV_bEUlT_E_NS1_11comp_targetILNS1_3genE3ELNS1_11target_archE908ELNS1_3gpuE7ELNS1_3repE0EEENS1_30default_config_static_selectorELNS0_4arch9wavefront6targetE0EEEvSP_
	.p2align	8
	.type	_ZN7rocprim17ROCPRIM_400000_NS6detail17trampoline_kernelINS0_14default_configENS1_29binary_search_config_selectorIdiEEZNS1_14transform_implILb0ES3_S5_N6thrust23THRUST_200600_302600_NS6detail15normal_iteratorINS8_10device_ptrIdEEEENSA_INSB_IiEEEEZNS1_13binary_searchIS3_S5_SD_SD_SF_NS1_16binary_search_opENS9_16wrapped_functionINS0_4lessIvEEbEEEE10hipError_tPvRmT1_T2_T3_mmT4_T5_P12ihipStream_tbEUlRKdE_EESM_SQ_SR_mSS_SV_bEUlT_E_NS1_11comp_targetILNS1_3genE3ELNS1_11target_archE908ELNS1_3gpuE7ELNS1_3repE0EEENS1_30default_config_static_selectorELNS0_4arch9wavefront6targetE0EEEvSP_,@function
_ZN7rocprim17ROCPRIM_400000_NS6detail17trampoline_kernelINS0_14default_configENS1_29binary_search_config_selectorIdiEEZNS1_14transform_implILb0ES3_S5_N6thrust23THRUST_200600_302600_NS6detail15normal_iteratorINS8_10device_ptrIdEEEENSA_INSB_IiEEEEZNS1_13binary_searchIS3_S5_SD_SD_SF_NS1_16binary_search_opENS9_16wrapped_functionINS0_4lessIvEEbEEEE10hipError_tPvRmT1_T2_T3_mmT4_T5_P12ihipStream_tbEUlRKdE_EESM_SQ_SR_mSS_SV_bEUlT_E_NS1_11comp_targetILNS1_3genE3ELNS1_11target_archE908ELNS1_3gpuE7ELNS1_3repE0EEENS1_30default_config_static_selectorELNS0_4arch9wavefront6targetE0EEEvSP_: ; @_ZN7rocprim17ROCPRIM_400000_NS6detail17trampoline_kernelINS0_14default_configENS1_29binary_search_config_selectorIdiEEZNS1_14transform_implILb0ES3_S5_N6thrust23THRUST_200600_302600_NS6detail15normal_iteratorINS8_10device_ptrIdEEEENSA_INSB_IiEEEEZNS1_13binary_searchIS3_S5_SD_SD_SF_NS1_16binary_search_opENS9_16wrapped_functionINS0_4lessIvEEbEEEE10hipError_tPvRmT1_T2_T3_mmT4_T5_P12ihipStream_tbEUlRKdE_EESM_SQ_SR_mSS_SV_bEUlT_E_NS1_11comp_targetILNS1_3genE3ELNS1_11target_archE908ELNS1_3gpuE7ELNS1_3repE0EEENS1_30default_config_static_selectorELNS0_4arch9wavefront6targetE0EEEvSP_
; %bb.0:
	.section	.rodata,"a",@progbits
	.p2align	6, 0x0
	.amdhsa_kernel _ZN7rocprim17ROCPRIM_400000_NS6detail17trampoline_kernelINS0_14default_configENS1_29binary_search_config_selectorIdiEEZNS1_14transform_implILb0ES3_S5_N6thrust23THRUST_200600_302600_NS6detail15normal_iteratorINS8_10device_ptrIdEEEENSA_INSB_IiEEEEZNS1_13binary_searchIS3_S5_SD_SD_SF_NS1_16binary_search_opENS9_16wrapped_functionINS0_4lessIvEEbEEEE10hipError_tPvRmT1_T2_T3_mmT4_T5_P12ihipStream_tbEUlRKdE_EESM_SQ_SR_mSS_SV_bEUlT_E_NS1_11comp_targetILNS1_3genE3ELNS1_11target_archE908ELNS1_3gpuE7ELNS1_3repE0EEENS1_30default_config_static_selectorELNS0_4arch9wavefront6targetE0EEEvSP_
		.amdhsa_group_segment_fixed_size 0
		.amdhsa_private_segment_fixed_size 0
		.amdhsa_kernarg_size 56
		.amdhsa_user_sgpr_count 15
		.amdhsa_user_sgpr_dispatch_ptr 0
		.amdhsa_user_sgpr_queue_ptr 0
		.amdhsa_user_sgpr_kernarg_segment_ptr 1
		.amdhsa_user_sgpr_dispatch_id 0
		.amdhsa_user_sgpr_private_segment_size 0
		.amdhsa_wavefront_size32 1
		.amdhsa_uses_dynamic_stack 0
		.amdhsa_enable_private_segment 0
		.amdhsa_system_sgpr_workgroup_id_x 1
		.amdhsa_system_sgpr_workgroup_id_y 0
		.amdhsa_system_sgpr_workgroup_id_z 0
		.amdhsa_system_sgpr_workgroup_info 0
		.amdhsa_system_vgpr_workitem_id 0
		.amdhsa_next_free_vgpr 1
		.amdhsa_next_free_sgpr 1
		.amdhsa_reserve_vcc 0
		.amdhsa_float_round_mode_32 0
		.amdhsa_float_round_mode_16_64 0
		.amdhsa_float_denorm_mode_32 3
		.amdhsa_float_denorm_mode_16_64 3
		.amdhsa_dx10_clamp 1
		.amdhsa_ieee_mode 1
		.amdhsa_fp16_overflow 0
		.amdhsa_workgroup_processor_mode 1
		.amdhsa_memory_ordered 1
		.amdhsa_forward_progress 0
		.amdhsa_shared_vgpr_count 0
		.amdhsa_exception_fp_ieee_invalid_op 0
		.amdhsa_exception_fp_denorm_src 0
		.amdhsa_exception_fp_ieee_div_zero 0
		.amdhsa_exception_fp_ieee_overflow 0
		.amdhsa_exception_fp_ieee_underflow 0
		.amdhsa_exception_fp_ieee_inexact 0
		.amdhsa_exception_int_div_zero 0
	.end_amdhsa_kernel
	.section	.text._ZN7rocprim17ROCPRIM_400000_NS6detail17trampoline_kernelINS0_14default_configENS1_29binary_search_config_selectorIdiEEZNS1_14transform_implILb0ES3_S5_N6thrust23THRUST_200600_302600_NS6detail15normal_iteratorINS8_10device_ptrIdEEEENSA_INSB_IiEEEEZNS1_13binary_searchIS3_S5_SD_SD_SF_NS1_16binary_search_opENS9_16wrapped_functionINS0_4lessIvEEbEEEE10hipError_tPvRmT1_T2_T3_mmT4_T5_P12ihipStream_tbEUlRKdE_EESM_SQ_SR_mSS_SV_bEUlT_E_NS1_11comp_targetILNS1_3genE3ELNS1_11target_archE908ELNS1_3gpuE7ELNS1_3repE0EEENS1_30default_config_static_selectorELNS0_4arch9wavefront6targetE0EEEvSP_,"axG",@progbits,_ZN7rocprim17ROCPRIM_400000_NS6detail17trampoline_kernelINS0_14default_configENS1_29binary_search_config_selectorIdiEEZNS1_14transform_implILb0ES3_S5_N6thrust23THRUST_200600_302600_NS6detail15normal_iteratorINS8_10device_ptrIdEEEENSA_INSB_IiEEEEZNS1_13binary_searchIS3_S5_SD_SD_SF_NS1_16binary_search_opENS9_16wrapped_functionINS0_4lessIvEEbEEEE10hipError_tPvRmT1_T2_T3_mmT4_T5_P12ihipStream_tbEUlRKdE_EESM_SQ_SR_mSS_SV_bEUlT_E_NS1_11comp_targetILNS1_3genE3ELNS1_11target_archE908ELNS1_3gpuE7ELNS1_3repE0EEENS1_30default_config_static_selectorELNS0_4arch9wavefront6targetE0EEEvSP_,comdat
.Lfunc_end414:
	.size	_ZN7rocprim17ROCPRIM_400000_NS6detail17trampoline_kernelINS0_14default_configENS1_29binary_search_config_selectorIdiEEZNS1_14transform_implILb0ES3_S5_N6thrust23THRUST_200600_302600_NS6detail15normal_iteratorINS8_10device_ptrIdEEEENSA_INSB_IiEEEEZNS1_13binary_searchIS3_S5_SD_SD_SF_NS1_16binary_search_opENS9_16wrapped_functionINS0_4lessIvEEbEEEE10hipError_tPvRmT1_T2_T3_mmT4_T5_P12ihipStream_tbEUlRKdE_EESM_SQ_SR_mSS_SV_bEUlT_E_NS1_11comp_targetILNS1_3genE3ELNS1_11target_archE908ELNS1_3gpuE7ELNS1_3repE0EEENS1_30default_config_static_selectorELNS0_4arch9wavefront6targetE0EEEvSP_, .Lfunc_end414-_ZN7rocprim17ROCPRIM_400000_NS6detail17trampoline_kernelINS0_14default_configENS1_29binary_search_config_selectorIdiEEZNS1_14transform_implILb0ES3_S5_N6thrust23THRUST_200600_302600_NS6detail15normal_iteratorINS8_10device_ptrIdEEEENSA_INSB_IiEEEEZNS1_13binary_searchIS3_S5_SD_SD_SF_NS1_16binary_search_opENS9_16wrapped_functionINS0_4lessIvEEbEEEE10hipError_tPvRmT1_T2_T3_mmT4_T5_P12ihipStream_tbEUlRKdE_EESM_SQ_SR_mSS_SV_bEUlT_E_NS1_11comp_targetILNS1_3genE3ELNS1_11target_archE908ELNS1_3gpuE7ELNS1_3repE0EEENS1_30default_config_static_selectorELNS0_4arch9wavefront6targetE0EEEvSP_
                                        ; -- End function
	.section	.AMDGPU.csdata,"",@progbits
; Kernel info:
; codeLenInByte = 0
; NumSgprs: 0
; NumVgprs: 0
; ScratchSize: 0
; MemoryBound: 0
; FloatMode: 240
; IeeeMode: 1
; LDSByteSize: 0 bytes/workgroup (compile time only)
; SGPRBlocks: 0
; VGPRBlocks: 0
; NumSGPRsForWavesPerEU: 1
; NumVGPRsForWavesPerEU: 1
; Occupancy: 16
; WaveLimiterHint : 0
; COMPUTE_PGM_RSRC2:SCRATCH_EN: 0
; COMPUTE_PGM_RSRC2:USER_SGPR: 15
; COMPUTE_PGM_RSRC2:TRAP_HANDLER: 0
; COMPUTE_PGM_RSRC2:TGID_X_EN: 1
; COMPUTE_PGM_RSRC2:TGID_Y_EN: 0
; COMPUTE_PGM_RSRC2:TGID_Z_EN: 0
; COMPUTE_PGM_RSRC2:TIDIG_COMP_CNT: 0
	.section	.text._ZN7rocprim17ROCPRIM_400000_NS6detail17trampoline_kernelINS0_14default_configENS1_29binary_search_config_selectorIdiEEZNS1_14transform_implILb0ES3_S5_N6thrust23THRUST_200600_302600_NS6detail15normal_iteratorINS8_10device_ptrIdEEEENSA_INSB_IiEEEEZNS1_13binary_searchIS3_S5_SD_SD_SF_NS1_16binary_search_opENS9_16wrapped_functionINS0_4lessIvEEbEEEE10hipError_tPvRmT1_T2_T3_mmT4_T5_P12ihipStream_tbEUlRKdE_EESM_SQ_SR_mSS_SV_bEUlT_E_NS1_11comp_targetILNS1_3genE2ELNS1_11target_archE906ELNS1_3gpuE6ELNS1_3repE0EEENS1_30default_config_static_selectorELNS0_4arch9wavefront6targetE0EEEvSP_,"axG",@progbits,_ZN7rocprim17ROCPRIM_400000_NS6detail17trampoline_kernelINS0_14default_configENS1_29binary_search_config_selectorIdiEEZNS1_14transform_implILb0ES3_S5_N6thrust23THRUST_200600_302600_NS6detail15normal_iteratorINS8_10device_ptrIdEEEENSA_INSB_IiEEEEZNS1_13binary_searchIS3_S5_SD_SD_SF_NS1_16binary_search_opENS9_16wrapped_functionINS0_4lessIvEEbEEEE10hipError_tPvRmT1_T2_T3_mmT4_T5_P12ihipStream_tbEUlRKdE_EESM_SQ_SR_mSS_SV_bEUlT_E_NS1_11comp_targetILNS1_3genE2ELNS1_11target_archE906ELNS1_3gpuE6ELNS1_3repE0EEENS1_30default_config_static_selectorELNS0_4arch9wavefront6targetE0EEEvSP_,comdat
	.protected	_ZN7rocprim17ROCPRIM_400000_NS6detail17trampoline_kernelINS0_14default_configENS1_29binary_search_config_selectorIdiEEZNS1_14transform_implILb0ES3_S5_N6thrust23THRUST_200600_302600_NS6detail15normal_iteratorINS8_10device_ptrIdEEEENSA_INSB_IiEEEEZNS1_13binary_searchIS3_S5_SD_SD_SF_NS1_16binary_search_opENS9_16wrapped_functionINS0_4lessIvEEbEEEE10hipError_tPvRmT1_T2_T3_mmT4_T5_P12ihipStream_tbEUlRKdE_EESM_SQ_SR_mSS_SV_bEUlT_E_NS1_11comp_targetILNS1_3genE2ELNS1_11target_archE906ELNS1_3gpuE6ELNS1_3repE0EEENS1_30default_config_static_selectorELNS0_4arch9wavefront6targetE0EEEvSP_ ; -- Begin function _ZN7rocprim17ROCPRIM_400000_NS6detail17trampoline_kernelINS0_14default_configENS1_29binary_search_config_selectorIdiEEZNS1_14transform_implILb0ES3_S5_N6thrust23THRUST_200600_302600_NS6detail15normal_iteratorINS8_10device_ptrIdEEEENSA_INSB_IiEEEEZNS1_13binary_searchIS3_S5_SD_SD_SF_NS1_16binary_search_opENS9_16wrapped_functionINS0_4lessIvEEbEEEE10hipError_tPvRmT1_T2_T3_mmT4_T5_P12ihipStream_tbEUlRKdE_EESM_SQ_SR_mSS_SV_bEUlT_E_NS1_11comp_targetILNS1_3genE2ELNS1_11target_archE906ELNS1_3gpuE6ELNS1_3repE0EEENS1_30default_config_static_selectorELNS0_4arch9wavefront6targetE0EEEvSP_
	.globl	_ZN7rocprim17ROCPRIM_400000_NS6detail17trampoline_kernelINS0_14default_configENS1_29binary_search_config_selectorIdiEEZNS1_14transform_implILb0ES3_S5_N6thrust23THRUST_200600_302600_NS6detail15normal_iteratorINS8_10device_ptrIdEEEENSA_INSB_IiEEEEZNS1_13binary_searchIS3_S5_SD_SD_SF_NS1_16binary_search_opENS9_16wrapped_functionINS0_4lessIvEEbEEEE10hipError_tPvRmT1_T2_T3_mmT4_T5_P12ihipStream_tbEUlRKdE_EESM_SQ_SR_mSS_SV_bEUlT_E_NS1_11comp_targetILNS1_3genE2ELNS1_11target_archE906ELNS1_3gpuE6ELNS1_3repE0EEENS1_30default_config_static_selectorELNS0_4arch9wavefront6targetE0EEEvSP_
	.p2align	8
	.type	_ZN7rocprim17ROCPRIM_400000_NS6detail17trampoline_kernelINS0_14default_configENS1_29binary_search_config_selectorIdiEEZNS1_14transform_implILb0ES3_S5_N6thrust23THRUST_200600_302600_NS6detail15normal_iteratorINS8_10device_ptrIdEEEENSA_INSB_IiEEEEZNS1_13binary_searchIS3_S5_SD_SD_SF_NS1_16binary_search_opENS9_16wrapped_functionINS0_4lessIvEEbEEEE10hipError_tPvRmT1_T2_T3_mmT4_T5_P12ihipStream_tbEUlRKdE_EESM_SQ_SR_mSS_SV_bEUlT_E_NS1_11comp_targetILNS1_3genE2ELNS1_11target_archE906ELNS1_3gpuE6ELNS1_3repE0EEENS1_30default_config_static_selectorELNS0_4arch9wavefront6targetE0EEEvSP_,@function
_ZN7rocprim17ROCPRIM_400000_NS6detail17trampoline_kernelINS0_14default_configENS1_29binary_search_config_selectorIdiEEZNS1_14transform_implILb0ES3_S5_N6thrust23THRUST_200600_302600_NS6detail15normal_iteratorINS8_10device_ptrIdEEEENSA_INSB_IiEEEEZNS1_13binary_searchIS3_S5_SD_SD_SF_NS1_16binary_search_opENS9_16wrapped_functionINS0_4lessIvEEbEEEE10hipError_tPvRmT1_T2_T3_mmT4_T5_P12ihipStream_tbEUlRKdE_EESM_SQ_SR_mSS_SV_bEUlT_E_NS1_11comp_targetILNS1_3genE2ELNS1_11target_archE906ELNS1_3gpuE6ELNS1_3repE0EEENS1_30default_config_static_selectorELNS0_4arch9wavefront6targetE0EEEvSP_: ; @_ZN7rocprim17ROCPRIM_400000_NS6detail17trampoline_kernelINS0_14default_configENS1_29binary_search_config_selectorIdiEEZNS1_14transform_implILb0ES3_S5_N6thrust23THRUST_200600_302600_NS6detail15normal_iteratorINS8_10device_ptrIdEEEENSA_INSB_IiEEEEZNS1_13binary_searchIS3_S5_SD_SD_SF_NS1_16binary_search_opENS9_16wrapped_functionINS0_4lessIvEEbEEEE10hipError_tPvRmT1_T2_T3_mmT4_T5_P12ihipStream_tbEUlRKdE_EESM_SQ_SR_mSS_SV_bEUlT_E_NS1_11comp_targetILNS1_3genE2ELNS1_11target_archE906ELNS1_3gpuE6ELNS1_3repE0EEENS1_30default_config_static_selectorELNS0_4arch9wavefront6targetE0EEEvSP_
; %bb.0:
	.section	.rodata,"a",@progbits
	.p2align	6, 0x0
	.amdhsa_kernel _ZN7rocprim17ROCPRIM_400000_NS6detail17trampoline_kernelINS0_14default_configENS1_29binary_search_config_selectorIdiEEZNS1_14transform_implILb0ES3_S5_N6thrust23THRUST_200600_302600_NS6detail15normal_iteratorINS8_10device_ptrIdEEEENSA_INSB_IiEEEEZNS1_13binary_searchIS3_S5_SD_SD_SF_NS1_16binary_search_opENS9_16wrapped_functionINS0_4lessIvEEbEEEE10hipError_tPvRmT1_T2_T3_mmT4_T5_P12ihipStream_tbEUlRKdE_EESM_SQ_SR_mSS_SV_bEUlT_E_NS1_11comp_targetILNS1_3genE2ELNS1_11target_archE906ELNS1_3gpuE6ELNS1_3repE0EEENS1_30default_config_static_selectorELNS0_4arch9wavefront6targetE0EEEvSP_
		.amdhsa_group_segment_fixed_size 0
		.amdhsa_private_segment_fixed_size 0
		.amdhsa_kernarg_size 56
		.amdhsa_user_sgpr_count 15
		.amdhsa_user_sgpr_dispatch_ptr 0
		.amdhsa_user_sgpr_queue_ptr 0
		.amdhsa_user_sgpr_kernarg_segment_ptr 1
		.amdhsa_user_sgpr_dispatch_id 0
		.amdhsa_user_sgpr_private_segment_size 0
		.amdhsa_wavefront_size32 1
		.amdhsa_uses_dynamic_stack 0
		.amdhsa_enable_private_segment 0
		.amdhsa_system_sgpr_workgroup_id_x 1
		.amdhsa_system_sgpr_workgroup_id_y 0
		.amdhsa_system_sgpr_workgroup_id_z 0
		.amdhsa_system_sgpr_workgroup_info 0
		.amdhsa_system_vgpr_workitem_id 0
		.amdhsa_next_free_vgpr 1
		.amdhsa_next_free_sgpr 1
		.amdhsa_reserve_vcc 0
		.amdhsa_float_round_mode_32 0
		.amdhsa_float_round_mode_16_64 0
		.amdhsa_float_denorm_mode_32 3
		.amdhsa_float_denorm_mode_16_64 3
		.amdhsa_dx10_clamp 1
		.amdhsa_ieee_mode 1
		.amdhsa_fp16_overflow 0
		.amdhsa_workgroup_processor_mode 1
		.amdhsa_memory_ordered 1
		.amdhsa_forward_progress 0
		.amdhsa_shared_vgpr_count 0
		.amdhsa_exception_fp_ieee_invalid_op 0
		.amdhsa_exception_fp_denorm_src 0
		.amdhsa_exception_fp_ieee_div_zero 0
		.amdhsa_exception_fp_ieee_overflow 0
		.amdhsa_exception_fp_ieee_underflow 0
		.amdhsa_exception_fp_ieee_inexact 0
		.amdhsa_exception_int_div_zero 0
	.end_amdhsa_kernel
	.section	.text._ZN7rocprim17ROCPRIM_400000_NS6detail17trampoline_kernelINS0_14default_configENS1_29binary_search_config_selectorIdiEEZNS1_14transform_implILb0ES3_S5_N6thrust23THRUST_200600_302600_NS6detail15normal_iteratorINS8_10device_ptrIdEEEENSA_INSB_IiEEEEZNS1_13binary_searchIS3_S5_SD_SD_SF_NS1_16binary_search_opENS9_16wrapped_functionINS0_4lessIvEEbEEEE10hipError_tPvRmT1_T2_T3_mmT4_T5_P12ihipStream_tbEUlRKdE_EESM_SQ_SR_mSS_SV_bEUlT_E_NS1_11comp_targetILNS1_3genE2ELNS1_11target_archE906ELNS1_3gpuE6ELNS1_3repE0EEENS1_30default_config_static_selectorELNS0_4arch9wavefront6targetE0EEEvSP_,"axG",@progbits,_ZN7rocprim17ROCPRIM_400000_NS6detail17trampoline_kernelINS0_14default_configENS1_29binary_search_config_selectorIdiEEZNS1_14transform_implILb0ES3_S5_N6thrust23THRUST_200600_302600_NS6detail15normal_iteratorINS8_10device_ptrIdEEEENSA_INSB_IiEEEEZNS1_13binary_searchIS3_S5_SD_SD_SF_NS1_16binary_search_opENS9_16wrapped_functionINS0_4lessIvEEbEEEE10hipError_tPvRmT1_T2_T3_mmT4_T5_P12ihipStream_tbEUlRKdE_EESM_SQ_SR_mSS_SV_bEUlT_E_NS1_11comp_targetILNS1_3genE2ELNS1_11target_archE906ELNS1_3gpuE6ELNS1_3repE0EEENS1_30default_config_static_selectorELNS0_4arch9wavefront6targetE0EEEvSP_,comdat
.Lfunc_end415:
	.size	_ZN7rocprim17ROCPRIM_400000_NS6detail17trampoline_kernelINS0_14default_configENS1_29binary_search_config_selectorIdiEEZNS1_14transform_implILb0ES3_S5_N6thrust23THRUST_200600_302600_NS6detail15normal_iteratorINS8_10device_ptrIdEEEENSA_INSB_IiEEEEZNS1_13binary_searchIS3_S5_SD_SD_SF_NS1_16binary_search_opENS9_16wrapped_functionINS0_4lessIvEEbEEEE10hipError_tPvRmT1_T2_T3_mmT4_T5_P12ihipStream_tbEUlRKdE_EESM_SQ_SR_mSS_SV_bEUlT_E_NS1_11comp_targetILNS1_3genE2ELNS1_11target_archE906ELNS1_3gpuE6ELNS1_3repE0EEENS1_30default_config_static_selectorELNS0_4arch9wavefront6targetE0EEEvSP_, .Lfunc_end415-_ZN7rocprim17ROCPRIM_400000_NS6detail17trampoline_kernelINS0_14default_configENS1_29binary_search_config_selectorIdiEEZNS1_14transform_implILb0ES3_S5_N6thrust23THRUST_200600_302600_NS6detail15normal_iteratorINS8_10device_ptrIdEEEENSA_INSB_IiEEEEZNS1_13binary_searchIS3_S5_SD_SD_SF_NS1_16binary_search_opENS9_16wrapped_functionINS0_4lessIvEEbEEEE10hipError_tPvRmT1_T2_T3_mmT4_T5_P12ihipStream_tbEUlRKdE_EESM_SQ_SR_mSS_SV_bEUlT_E_NS1_11comp_targetILNS1_3genE2ELNS1_11target_archE906ELNS1_3gpuE6ELNS1_3repE0EEENS1_30default_config_static_selectorELNS0_4arch9wavefront6targetE0EEEvSP_
                                        ; -- End function
	.section	.AMDGPU.csdata,"",@progbits
; Kernel info:
; codeLenInByte = 0
; NumSgprs: 0
; NumVgprs: 0
; ScratchSize: 0
; MemoryBound: 0
; FloatMode: 240
; IeeeMode: 1
; LDSByteSize: 0 bytes/workgroup (compile time only)
; SGPRBlocks: 0
; VGPRBlocks: 0
; NumSGPRsForWavesPerEU: 1
; NumVGPRsForWavesPerEU: 1
; Occupancy: 16
; WaveLimiterHint : 0
; COMPUTE_PGM_RSRC2:SCRATCH_EN: 0
; COMPUTE_PGM_RSRC2:USER_SGPR: 15
; COMPUTE_PGM_RSRC2:TRAP_HANDLER: 0
; COMPUTE_PGM_RSRC2:TGID_X_EN: 1
; COMPUTE_PGM_RSRC2:TGID_Y_EN: 0
; COMPUTE_PGM_RSRC2:TGID_Z_EN: 0
; COMPUTE_PGM_RSRC2:TIDIG_COMP_CNT: 0
	.section	.text._ZN7rocprim17ROCPRIM_400000_NS6detail17trampoline_kernelINS0_14default_configENS1_29binary_search_config_selectorIdiEEZNS1_14transform_implILb0ES3_S5_N6thrust23THRUST_200600_302600_NS6detail15normal_iteratorINS8_10device_ptrIdEEEENSA_INSB_IiEEEEZNS1_13binary_searchIS3_S5_SD_SD_SF_NS1_16binary_search_opENS9_16wrapped_functionINS0_4lessIvEEbEEEE10hipError_tPvRmT1_T2_T3_mmT4_T5_P12ihipStream_tbEUlRKdE_EESM_SQ_SR_mSS_SV_bEUlT_E_NS1_11comp_targetILNS1_3genE10ELNS1_11target_archE1201ELNS1_3gpuE5ELNS1_3repE0EEENS1_30default_config_static_selectorELNS0_4arch9wavefront6targetE0EEEvSP_,"axG",@progbits,_ZN7rocprim17ROCPRIM_400000_NS6detail17trampoline_kernelINS0_14default_configENS1_29binary_search_config_selectorIdiEEZNS1_14transform_implILb0ES3_S5_N6thrust23THRUST_200600_302600_NS6detail15normal_iteratorINS8_10device_ptrIdEEEENSA_INSB_IiEEEEZNS1_13binary_searchIS3_S5_SD_SD_SF_NS1_16binary_search_opENS9_16wrapped_functionINS0_4lessIvEEbEEEE10hipError_tPvRmT1_T2_T3_mmT4_T5_P12ihipStream_tbEUlRKdE_EESM_SQ_SR_mSS_SV_bEUlT_E_NS1_11comp_targetILNS1_3genE10ELNS1_11target_archE1201ELNS1_3gpuE5ELNS1_3repE0EEENS1_30default_config_static_selectorELNS0_4arch9wavefront6targetE0EEEvSP_,comdat
	.protected	_ZN7rocprim17ROCPRIM_400000_NS6detail17trampoline_kernelINS0_14default_configENS1_29binary_search_config_selectorIdiEEZNS1_14transform_implILb0ES3_S5_N6thrust23THRUST_200600_302600_NS6detail15normal_iteratorINS8_10device_ptrIdEEEENSA_INSB_IiEEEEZNS1_13binary_searchIS3_S5_SD_SD_SF_NS1_16binary_search_opENS9_16wrapped_functionINS0_4lessIvEEbEEEE10hipError_tPvRmT1_T2_T3_mmT4_T5_P12ihipStream_tbEUlRKdE_EESM_SQ_SR_mSS_SV_bEUlT_E_NS1_11comp_targetILNS1_3genE10ELNS1_11target_archE1201ELNS1_3gpuE5ELNS1_3repE0EEENS1_30default_config_static_selectorELNS0_4arch9wavefront6targetE0EEEvSP_ ; -- Begin function _ZN7rocprim17ROCPRIM_400000_NS6detail17trampoline_kernelINS0_14default_configENS1_29binary_search_config_selectorIdiEEZNS1_14transform_implILb0ES3_S5_N6thrust23THRUST_200600_302600_NS6detail15normal_iteratorINS8_10device_ptrIdEEEENSA_INSB_IiEEEEZNS1_13binary_searchIS3_S5_SD_SD_SF_NS1_16binary_search_opENS9_16wrapped_functionINS0_4lessIvEEbEEEE10hipError_tPvRmT1_T2_T3_mmT4_T5_P12ihipStream_tbEUlRKdE_EESM_SQ_SR_mSS_SV_bEUlT_E_NS1_11comp_targetILNS1_3genE10ELNS1_11target_archE1201ELNS1_3gpuE5ELNS1_3repE0EEENS1_30default_config_static_selectorELNS0_4arch9wavefront6targetE0EEEvSP_
	.globl	_ZN7rocprim17ROCPRIM_400000_NS6detail17trampoline_kernelINS0_14default_configENS1_29binary_search_config_selectorIdiEEZNS1_14transform_implILb0ES3_S5_N6thrust23THRUST_200600_302600_NS6detail15normal_iteratorINS8_10device_ptrIdEEEENSA_INSB_IiEEEEZNS1_13binary_searchIS3_S5_SD_SD_SF_NS1_16binary_search_opENS9_16wrapped_functionINS0_4lessIvEEbEEEE10hipError_tPvRmT1_T2_T3_mmT4_T5_P12ihipStream_tbEUlRKdE_EESM_SQ_SR_mSS_SV_bEUlT_E_NS1_11comp_targetILNS1_3genE10ELNS1_11target_archE1201ELNS1_3gpuE5ELNS1_3repE0EEENS1_30default_config_static_selectorELNS0_4arch9wavefront6targetE0EEEvSP_
	.p2align	8
	.type	_ZN7rocprim17ROCPRIM_400000_NS6detail17trampoline_kernelINS0_14default_configENS1_29binary_search_config_selectorIdiEEZNS1_14transform_implILb0ES3_S5_N6thrust23THRUST_200600_302600_NS6detail15normal_iteratorINS8_10device_ptrIdEEEENSA_INSB_IiEEEEZNS1_13binary_searchIS3_S5_SD_SD_SF_NS1_16binary_search_opENS9_16wrapped_functionINS0_4lessIvEEbEEEE10hipError_tPvRmT1_T2_T3_mmT4_T5_P12ihipStream_tbEUlRKdE_EESM_SQ_SR_mSS_SV_bEUlT_E_NS1_11comp_targetILNS1_3genE10ELNS1_11target_archE1201ELNS1_3gpuE5ELNS1_3repE0EEENS1_30default_config_static_selectorELNS0_4arch9wavefront6targetE0EEEvSP_,@function
_ZN7rocprim17ROCPRIM_400000_NS6detail17trampoline_kernelINS0_14default_configENS1_29binary_search_config_selectorIdiEEZNS1_14transform_implILb0ES3_S5_N6thrust23THRUST_200600_302600_NS6detail15normal_iteratorINS8_10device_ptrIdEEEENSA_INSB_IiEEEEZNS1_13binary_searchIS3_S5_SD_SD_SF_NS1_16binary_search_opENS9_16wrapped_functionINS0_4lessIvEEbEEEE10hipError_tPvRmT1_T2_T3_mmT4_T5_P12ihipStream_tbEUlRKdE_EESM_SQ_SR_mSS_SV_bEUlT_E_NS1_11comp_targetILNS1_3genE10ELNS1_11target_archE1201ELNS1_3gpuE5ELNS1_3repE0EEENS1_30default_config_static_selectorELNS0_4arch9wavefront6targetE0EEEvSP_: ; @_ZN7rocprim17ROCPRIM_400000_NS6detail17trampoline_kernelINS0_14default_configENS1_29binary_search_config_selectorIdiEEZNS1_14transform_implILb0ES3_S5_N6thrust23THRUST_200600_302600_NS6detail15normal_iteratorINS8_10device_ptrIdEEEENSA_INSB_IiEEEEZNS1_13binary_searchIS3_S5_SD_SD_SF_NS1_16binary_search_opENS9_16wrapped_functionINS0_4lessIvEEbEEEE10hipError_tPvRmT1_T2_T3_mmT4_T5_P12ihipStream_tbEUlRKdE_EESM_SQ_SR_mSS_SV_bEUlT_E_NS1_11comp_targetILNS1_3genE10ELNS1_11target_archE1201ELNS1_3gpuE5ELNS1_3repE0EEENS1_30default_config_static_selectorELNS0_4arch9wavefront6targetE0EEEvSP_
; %bb.0:
	.section	.rodata,"a",@progbits
	.p2align	6, 0x0
	.amdhsa_kernel _ZN7rocprim17ROCPRIM_400000_NS6detail17trampoline_kernelINS0_14default_configENS1_29binary_search_config_selectorIdiEEZNS1_14transform_implILb0ES3_S5_N6thrust23THRUST_200600_302600_NS6detail15normal_iteratorINS8_10device_ptrIdEEEENSA_INSB_IiEEEEZNS1_13binary_searchIS3_S5_SD_SD_SF_NS1_16binary_search_opENS9_16wrapped_functionINS0_4lessIvEEbEEEE10hipError_tPvRmT1_T2_T3_mmT4_T5_P12ihipStream_tbEUlRKdE_EESM_SQ_SR_mSS_SV_bEUlT_E_NS1_11comp_targetILNS1_3genE10ELNS1_11target_archE1201ELNS1_3gpuE5ELNS1_3repE0EEENS1_30default_config_static_selectorELNS0_4arch9wavefront6targetE0EEEvSP_
		.amdhsa_group_segment_fixed_size 0
		.amdhsa_private_segment_fixed_size 0
		.amdhsa_kernarg_size 56
		.amdhsa_user_sgpr_count 15
		.amdhsa_user_sgpr_dispatch_ptr 0
		.amdhsa_user_sgpr_queue_ptr 0
		.amdhsa_user_sgpr_kernarg_segment_ptr 1
		.amdhsa_user_sgpr_dispatch_id 0
		.amdhsa_user_sgpr_private_segment_size 0
		.amdhsa_wavefront_size32 1
		.amdhsa_uses_dynamic_stack 0
		.amdhsa_enable_private_segment 0
		.amdhsa_system_sgpr_workgroup_id_x 1
		.amdhsa_system_sgpr_workgroup_id_y 0
		.amdhsa_system_sgpr_workgroup_id_z 0
		.amdhsa_system_sgpr_workgroup_info 0
		.amdhsa_system_vgpr_workitem_id 0
		.amdhsa_next_free_vgpr 1
		.amdhsa_next_free_sgpr 1
		.amdhsa_reserve_vcc 0
		.amdhsa_float_round_mode_32 0
		.amdhsa_float_round_mode_16_64 0
		.amdhsa_float_denorm_mode_32 3
		.amdhsa_float_denorm_mode_16_64 3
		.amdhsa_dx10_clamp 1
		.amdhsa_ieee_mode 1
		.amdhsa_fp16_overflow 0
		.amdhsa_workgroup_processor_mode 1
		.amdhsa_memory_ordered 1
		.amdhsa_forward_progress 0
		.amdhsa_shared_vgpr_count 0
		.amdhsa_exception_fp_ieee_invalid_op 0
		.amdhsa_exception_fp_denorm_src 0
		.amdhsa_exception_fp_ieee_div_zero 0
		.amdhsa_exception_fp_ieee_overflow 0
		.amdhsa_exception_fp_ieee_underflow 0
		.amdhsa_exception_fp_ieee_inexact 0
		.amdhsa_exception_int_div_zero 0
	.end_amdhsa_kernel
	.section	.text._ZN7rocprim17ROCPRIM_400000_NS6detail17trampoline_kernelINS0_14default_configENS1_29binary_search_config_selectorIdiEEZNS1_14transform_implILb0ES3_S5_N6thrust23THRUST_200600_302600_NS6detail15normal_iteratorINS8_10device_ptrIdEEEENSA_INSB_IiEEEEZNS1_13binary_searchIS3_S5_SD_SD_SF_NS1_16binary_search_opENS9_16wrapped_functionINS0_4lessIvEEbEEEE10hipError_tPvRmT1_T2_T3_mmT4_T5_P12ihipStream_tbEUlRKdE_EESM_SQ_SR_mSS_SV_bEUlT_E_NS1_11comp_targetILNS1_3genE10ELNS1_11target_archE1201ELNS1_3gpuE5ELNS1_3repE0EEENS1_30default_config_static_selectorELNS0_4arch9wavefront6targetE0EEEvSP_,"axG",@progbits,_ZN7rocprim17ROCPRIM_400000_NS6detail17trampoline_kernelINS0_14default_configENS1_29binary_search_config_selectorIdiEEZNS1_14transform_implILb0ES3_S5_N6thrust23THRUST_200600_302600_NS6detail15normal_iteratorINS8_10device_ptrIdEEEENSA_INSB_IiEEEEZNS1_13binary_searchIS3_S5_SD_SD_SF_NS1_16binary_search_opENS9_16wrapped_functionINS0_4lessIvEEbEEEE10hipError_tPvRmT1_T2_T3_mmT4_T5_P12ihipStream_tbEUlRKdE_EESM_SQ_SR_mSS_SV_bEUlT_E_NS1_11comp_targetILNS1_3genE10ELNS1_11target_archE1201ELNS1_3gpuE5ELNS1_3repE0EEENS1_30default_config_static_selectorELNS0_4arch9wavefront6targetE0EEEvSP_,comdat
.Lfunc_end416:
	.size	_ZN7rocprim17ROCPRIM_400000_NS6detail17trampoline_kernelINS0_14default_configENS1_29binary_search_config_selectorIdiEEZNS1_14transform_implILb0ES3_S5_N6thrust23THRUST_200600_302600_NS6detail15normal_iteratorINS8_10device_ptrIdEEEENSA_INSB_IiEEEEZNS1_13binary_searchIS3_S5_SD_SD_SF_NS1_16binary_search_opENS9_16wrapped_functionINS0_4lessIvEEbEEEE10hipError_tPvRmT1_T2_T3_mmT4_T5_P12ihipStream_tbEUlRKdE_EESM_SQ_SR_mSS_SV_bEUlT_E_NS1_11comp_targetILNS1_3genE10ELNS1_11target_archE1201ELNS1_3gpuE5ELNS1_3repE0EEENS1_30default_config_static_selectorELNS0_4arch9wavefront6targetE0EEEvSP_, .Lfunc_end416-_ZN7rocprim17ROCPRIM_400000_NS6detail17trampoline_kernelINS0_14default_configENS1_29binary_search_config_selectorIdiEEZNS1_14transform_implILb0ES3_S5_N6thrust23THRUST_200600_302600_NS6detail15normal_iteratorINS8_10device_ptrIdEEEENSA_INSB_IiEEEEZNS1_13binary_searchIS3_S5_SD_SD_SF_NS1_16binary_search_opENS9_16wrapped_functionINS0_4lessIvEEbEEEE10hipError_tPvRmT1_T2_T3_mmT4_T5_P12ihipStream_tbEUlRKdE_EESM_SQ_SR_mSS_SV_bEUlT_E_NS1_11comp_targetILNS1_3genE10ELNS1_11target_archE1201ELNS1_3gpuE5ELNS1_3repE0EEENS1_30default_config_static_selectorELNS0_4arch9wavefront6targetE0EEEvSP_
                                        ; -- End function
	.section	.AMDGPU.csdata,"",@progbits
; Kernel info:
; codeLenInByte = 0
; NumSgprs: 0
; NumVgprs: 0
; ScratchSize: 0
; MemoryBound: 0
; FloatMode: 240
; IeeeMode: 1
; LDSByteSize: 0 bytes/workgroup (compile time only)
; SGPRBlocks: 0
; VGPRBlocks: 0
; NumSGPRsForWavesPerEU: 1
; NumVGPRsForWavesPerEU: 1
; Occupancy: 16
; WaveLimiterHint : 0
; COMPUTE_PGM_RSRC2:SCRATCH_EN: 0
; COMPUTE_PGM_RSRC2:USER_SGPR: 15
; COMPUTE_PGM_RSRC2:TRAP_HANDLER: 0
; COMPUTE_PGM_RSRC2:TGID_X_EN: 1
; COMPUTE_PGM_RSRC2:TGID_Y_EN: 0
; COMPUTE_PGM_RSRC2:TGID_Z_EN: 0
; COMPUTE_PGM_RSRC2:TIDIG_COMP_CNT: 0
	.section	.text._ZN7rocprim17ROCPRIM_400000_NS6detail17trampoline_kernelINS0_14default_configENS1_29binary_search_config_selectorIdiEEZNS1_14transform_implILb0ES3_S5_N6thrust23THRUST_200600_302600_NS6detail15normal_iteratorINS8_10device_ptrIdEEEENSA_INSB_IiEEEEZNS1_13binary_searchIS3_S5_SD_SD_SF_NS1_16binary_search_opENS9_16wrapped_functionINS0_4lessIvEEbEEEE10hipError_tPvRmT1_T2_T3_mmT4_T5_P12ihipStream_tbEUlRKdE_EESM_SQ_SR_mSS_SV_bEUlT_E_NS1_11comp_targetILNS1_3genE10ELNS1_11target_archE1200ELNS1_3gpuE4ELNS1_3repE0EEENS1_30default_config_static_selectorELNS0_4arch9wavefront6targetE0EEEvSP_,"axG",@progbits,_ZN7rocprim17ROCPRIM_400000_NS6detail17trampoline_kernelINS0_14default_configENS1_29binary_search_config_selectorIdiEEZNS1_14transform_implILb0ES3_S5_N6thrust23THRUST_200600_302600_NS6detail15normal_iteratorINS8_10device_ptrIdEEEENSA_INSB_IiEEEEZNS1_13binary_searchIS3_S5_SD_SD_SF_NS1_16binary_search_opENS9_16wrapped_functionINS0_4lessIvEEbEEEE10hipError_tPvRmT1_T2_T3_mmT4_T5_P12ihipStream_tbEUlRKdE_EESM_SQ_SR_mSS_SV_bEUlT_E_NS1_11comp_targetILNS1_3genE10ELNS1_11target_archE1200ELNS1_3gpuE4ELNS1_3repE0EEENS1_30default_config_static_selectorELNS0_4arch9wavefront6targetE0EEEvSP_,comdat
	.protected	_ZN7rocprim17ROCPRIM_400000_NS6detail17trampoline_kernelINS0_14default_configENS1_29binary_search_config_selectorIdiEEZNS1_14transform_implILb0ES3_S5_N6thrust23THRUST_200600_302600_NS6detail15normal_iteratorINS8_10device_ptrIdEEEENSA_INSB_IiEEEEZNS1_13binary_searchIS3_S5_SD_SD_SF_NS1_16binary_search_opENS9_16wrapped_functionINS0_4lessIvEEbEEEE10hipError_tPvRmT1_T2_T3_mmT4_T5_P12ihipStream_tbEUlRKdE_EESM_SQ_SR_mSS_SV_bEUlT_E_NS1_11comp_targetILNS1_3genE10ELNS1_11target_archE1200ELNS1_3gpuE4ELNS1_3repE0EEENS1_30default_config_static_selectorELNS0_4arch9wavefront6targetE0EEEvSP_ ; -- Begin function _ZN7rocprim17ROCPRIM_400000_NS6detail17trampoline_kernelINS0_14default_configENS1_29binary_search_config_selectorIdiEEZNS1_14transform_implILb0ES3_S5_N6thrust23THRUST_200600_302600_NS6detail15normal_iteratorINS8_10device_ptrIdEEEENSA_INSB_IiEEEEZNS1_13binary_searchIS3_S5_SD_SD_SF_NS1_16binary_search_opENS9_16wrapped_functionINS0_4lessIvEEbEEEE10hipError_tPvRmT1_T2_T3_mmT4_T5_P12ihipStream_tbEUlRKdE_EESM_SQ_SR_mSS_SV_bEUlT_E_NS1_11comp_targetILNS1_3genE10ELNS1_11target_archE1200ELNS1_3gpuE4ELNS1_3repE0EEENS1_30default_config_static_selectorELNS0_4arch9wavefront6targetE0EEEvSP_
	.globl	_ZN7rocprim17ROCPRIM_400000_NS6detail17trampoline_kernelINS0_14default_configENS1_29binary_search_config_selectorIdiEEZNS1_14transform_implILb0ES3_S5_N6thrust23THRUST_200600_302600_NS6detail15normal_iteratorINS8_10device_ptrIdEEEENSA_INSB_IiEEEEZNS1_13binary_searchIS3_S5_SD_SD_SF_NS1_16binary_search_opENS9_16wrapped_functionINS0_4lessIvEEbEEEE10hipError_tPvRmT1_T2_T3_mmT4_T5_P12ihipStream_tbEUlRKdE_EESM_SQ_SR_mSS_SV_bEUlT_E_NS1_11comp_targetILNS1_3genE10ELNS1_11target_archE1200ELNS1_3gpuE4ELNS1_3repE0EEENS1_30default_config_static_selectorELNS0_4arch9wavefront6targetE0EEEvSP_
	.p2align	8
	.type	_ZN7rocprim17ROCPRIM_400000_NS6detail17trampoline_kernelINS0_14default_configENS1_29binary_search_config_selectorIdiEEZNS1_14transform_implILb0ES3_S5_N6thrust23THRUST_200600_302600_NS6detail15normal_iteratorINS8_10device_ptrIdEEEENSA_INSB_IiEEEEZNS1_13binary_searchIS3_S5_SD_SD_SF_NS1_16binary_search_opENS9_16wrapped_functionINS0_4lessIvEEbEEEE10hipError_tPvRmT1_T2_T3_mmT4_T5_P12ihipStream_tbEUlRKdE_EESM_SQ_SR_mSS_SV_bEUlT_E_NS1_11comp_targetILNS1_3genE10ELNS1_11target_archE1200ELNS1_3gpuE4ELNS1_3repE0EEENS1_30default_config_static_selectorELNS0_4arch9wavefront6targetE0EEEvSP_,@function
_ZN7rocprim17ROCPRIM_400000_NS6detail17trampoline_kernelINS0_14default_configENS1_29binary_search_config_selectorIdiEEZNS1_14transform_implILb0ES3_S5_N6thrust23THRUST_200600_302600_NS6detail15normal_iteratorINS8_10device_ptrIdEEEENSA_INSB_IiEEEEZNS1_13binary_searchIS3_S5_SD_SD_SF_NS1_16binary_search_opENS9_16wrapped_functionINS0_4lessIvEEbEEEE10hipError_tPvRmT1_T2_T3_mmT4_T5_P12ihipStream_tbEUlRKdE_EESM_SQ_SR_mSS_SV_bEUlT_E_NS1_11comp_targetILNS1_3genE10ELNS1_11target_archE1200ELNS1_3gpuE4ELNS1_3repE0EEENS1_30default_config_static_selectorELNS0_4arch9wavefront6targetE0EEEvSP_: ; @_ZN7rocprim17ROCPRIM_400000_NS6detail17trampoline_kernelINS0_14default_configENS1_29binary_search_config_selectorIdiEEZNS1_14transform_implILb0ES3_S5_N6thrust23THRUST_200600_302600_NS6detail15normal_iteratorINS8_10device_ptrIdEEEENSA_INSB_IiEEEEZNS1_13binary_searchIS3_S5_SD_SD_SF_NS1_16binary_search_opENS9_16wrapped_functionINS0_4lessIvEEbEEEE10hipError_tPvRmT1_T2_T3_mmT4_T5_P12ihipStream_tbEUlRKdE_EESM_SQ_SR_mSS_SV_bEUlT_E_NS1_11comp_targetILNS1_3genE10ELNS1_11target_archE1200ELNS1_3gpuE4ELNS1_3repE0EEENS1_30default_config_static_selectorELNS0_4arch9wavefront6targetE0EEEvSP_
; %bb.0:
	.section	.rodata,"a",@progbits
	.p2align	6, 0x0
	.amdhsa_kernel _ZN7rocprim17ROCPRIM_400000_NS6detail17trampoline_kernelINS0_14default_configENS1_29binary_search_config_selectorIdiEEZNS1_14transform_implILb0ES3_S5_N6thrust23THRUST_200600_302600_NS6detail15normal_iteratorINS8_10device_ptrIdEEEENSA_INSB_IiEEEEZNS1_13binary_searchIS3_S5_SD_SD_SF_NS1_16binary_search_opENS9_16wrapped_functionINS0_4lessIvEEbEEEE10hipError_tPvRmT1_T2_T3_mmT4_T5_P12ihipStream_tbEUlRKdE_EESM_SQ_SR_mSS_SV_bEUlT_E_NS1_11comp_targetILNS1_3genE10ELNS1_11target_archE1200ELNS1_3gpuE4ELNS1_3repE0EEENS1_30default_config_static_selectorELNS0_4arch9wavefront6targetE0EEEvSP_
		.amdhsa_group_segment_fixed_size 0
		.amdhsa_private_segment_fixed_size 0
		.amdhsa_kernarg_size 56
		.amdhsa_user_sgpr_count 15
		.amdhsa_user_sgpr_dispatch_ptr 0
		.amdhsa_user_sgpr_queue_ptr 0
		.amdhsa_user_sgpr_kernarg_segment_ptr 1
		.amdhsa_user_sgpr_dispatch_id 0
		.amdhsa_user_sgpr_private_segment_size 0
		.amdhsa_wavefront_size32 1
		.amdhsa_uses_dynamic_stack 0
		.amdhsa_enable_private_segment 0
		.amdhsa_system_sgpr_workgroup_id_x 1
		.amdhsa_system_sgpr_workgroup_id_y 0
		.amdhsa_system_sgpr_workgroup_id_z 0
		.amdhsa_system_sgpr_workgroup_info 0
		.amdhsa_system_vgpr_workitem_id 0
		.amdhsa_next_free_vgpr 1
		.amdhsa_next_free_sgpr 1
		.amdhsa_reserve_vcc 0
		.amdhsa_float_round_mode_32 0
		.amdhsa_float_round_mode_16_64 0
		.amdhsa_float_denorm_mode_32 3
		.amdhsa_float_denorm_mode_16_64 3
		.amdhsa_dx10_clamp 1
		.amdhsa_ieee_mode 1
		.amdhsa_fp16_overflow 0
		.amdhsa_workgroup_processor_mode 1
		.amdhsa_memory_ordered 1
		.amdhsa_forward_progress 0
		.amdhsa_shared_vgpr_count 0
		.amdhsa_exception_fp_ieee_invalid_op 0
		.amdhsa_exception_fp_denorm_src 0
		.amdhsa_exception_fp_ieee_div_zero 0
		.amdhsa_exception_fp_ieee_overflow 0
		.amdhsa_exception_fp_ieee_underflow 0
		.amdhsa_exception_fp_ieee_inexact 0
		.amdhsa_exception_int_div_zero 0
	.end_amdhsa_kernel
	.section	.text._ZN7rocprim17ROCPRIM_400000_NS6detail17trampoline_kernelINS0_14default_configENS1_29binary_search_config_selectorIdiEEZNS1_14transform_implILb0ES3_S5_N6thrust23THRUST_200600_302600_NS6detail15normal_iteratorINS8_10device_ptrIdEEEENSA_INSB_IiEEEEZNS1_13binary_searchIS3_S5_SD_SD_SF_NS1_16binary_search_opENS9_16wrapped_functionINS0_4lessIvEEbEEEE10hipError_tPvRmT1_T2_T3_mmT4_T5_P12ihipStream_tbEUlRKdE_EESM_SQ_SR_mSS_SV_bEUlT_E_NS1_11comp_targetILNS1_3genE10ELNS1_11target_archE1200ELNS1_3gpuE4ELNS1_3repE0EEENS1_30default_config_static_selectorELNS0_4arch9wavefront6targetE0EEEvSP_,"axG",@progbits,_ZN7rocprim17ROCPRIM_400000_NS6detail17trampoline_kernelINS0_14default_configENS1_29binary_search_config_selectorIdiEEZNS1_14transform_implILb0ES3_S5_N6thrust23THRUST_200600_302600_NS6detail15normal_iteratorINS8_10device_ptrIdEEEENSA_INSB_IiEEEEZNS1_13binary_searchIS3_S5_SD_SD_SF_NS1_16binary_search_opENS9_16wrapped_functionINS0_4lessIvEEbEEEE10hipError_tPvRmT1_T2_T3_mmT4_T5_P12ihipStream_tbEUlRKdE_EESM_SQ_SR_mSS_SV_bEUlT_E_NS1_11comp_targetILNS1_3genE10ELNS1_11target_archE1200ELNS1_3gpuE4ELNS1_3repE0EEENS1_30default_config_static_selectorELNS0_4arch9wavefront6targetE0EEEvSP_,comdat
.Lfunc_end417:
	.size	_ZN7rocprim17ROCPRIM_400000_NS6detail17trampoline_kernelINS0_14default_configENS1_29binary_search_config_selectorIdiEEZNS1_14transform_implILb0ES3_S5_N6thrust23THRUST_200600_302600_NS6detail15normal_iteratorINS8_10device_ptrIdEEEENSA_INSB_IiEEEEZNS1_13binary_searchIS3_S5_SD_SD_SF_NS1_16binary_search_opENS9_16wrapped_functionINS0_4lessIvEEbEEEE10hipError_tPvRmT1_T2_T3_mmT4_T5_P12ihipStream_tbEUlRKdE_EESM_SQ_SR_mSS_SV_bEUlT_E_NS1_11comp_targetILNS1_3genE10ELNS1_11target_archE1200ELNS1_3gpuE4ELNS1_3repE0EEENS1_30default_config_static_selectorELNS0_4arch9wavefront6targetE0EEEvSP_, .Lfunc_end417-_ZN7rocprim17ROCPRIM_400000_NS6detail17trampoline_kernelINS0_14default_configENS1_29binary_search_config_selectorIdiEEZNS1_14transform_implILb0ES3_S5_N6thrust23THRUST_200600_302600_NS6detail15normal_iteratorINS8_10device_ptrIdEEEENSA_INSB_IiEEEEZNS1_13binary_searchIS3_S5_SD_SD_SF_NS1_16binary_search_opENS9_16wrapped_functionINS0_4lessIvEEbEEEE10hipError_tPvRmT1_T2_T3_mmT4_T5_P12ihipStream_tbEUlRKdE_EESM_SQ_SR_mSS_SV_bEUlT_E_NS1_11comp_targetILNS1_3genE10ELNS1_11target_archE1200ELNS1_3gpuE4ELNS1_3repE0EEENS1_30default_config_static_selectorELNS0_4arch9wavefront6targetE0EEEvSP_
                                        ; -- End function
	.section	.AMDGPU.csdata,"",@progbits
; Kernel info:
; codeLenInByte = 0
; NumSgprs: 0
; NumVgprs: 0
; ScratchSize: 0
; MemoryBound: 0
; FloatMode: 240
; IeeeMode: 1
; LDSByteSize: 0 bytes/workgroup (compile time only)
; SGPRBlocks: 0
; VGPRBlocks: 0
; NumSGPRsForWavesPerEU: 1
; NumVGPRsForWavesPerEU: 1
; Occupancy: 16
; WaveLimiterHint : 0
; COMPUTE_PGM_RSRC2:SCRATCH_EN: 0
; COMPUTE_PGM_RSRC2:USER_SGPR: 15
; COMPUTE_PGM_RSRC2:TRAP_HANDLER: 0
; COMPUTE_PGM_RSRC2:TGID_X_EN: 1
; COMPUTE_PGM_RSRC2:TGID_Y_EN: 0
; COMPUTE_PGM_RSRC2:TGID_Z_EN: 0
; COMPUTE_PGM_RSRC2:TIDIG_COMP_CNT: 0
	.section	.text._ZN7rocprim17ROCPRIM_400000_NS6detail17trampoline_kernelINS0_14default_configENS1_29binary_search_config_selectorIdiEEZNS1_14transform_implILb0ES3_S5_N6thrust23THRUST_200600_302600_NS6detail15normal_iteratorINS8_10device_ptrIdEEEENSA_INSB_IiEEEEZNS1_13binary_searchIS3_S5_SD_SD_SF_NS1_16binary_search_opENS9_16wrapped_functionINS0_4lessIvEEbEEEE10hipError_tPvRmT1_T2_T3_mmT4_T5_P12ihipStream_tbEUlRKdE_EESM_SQ_SR_mSS_SV_bEUlT_E_NS1_11comp_targetILNS1_3genE9ELNS1_11target_archE1100ELNS1_3gpuE3ELNS1_3repE0EEENS1_30default_config_static_selectorELNS0_4arch9wavefront6targetE0EEEvSP_,"axG",@progbits,_ZN7rocprim17ROCPRIM_400000_NS6detail17trampoline_kernelINS0_14default_configENS1_29binary_search_config_selectorIdiEEZNS1_14transform_implILb0ES3_S5_N6thrust23THRUST_200600_302600_NS6detail15normal_iteratorINS8_10device_ptrIdEEEENSA_INSB_IiEEEEZNS1_13binary_searchIS3_S5_SD_SD_SF_NS1_16binary_search_opENS9_16wrapped_functionINS0_4lessIvEEbEEEE10hipError_tPvRmT1_T2_T3_mmT4_T5_P12ihipStream_tbEUlRKdE_EESM_SQ_SR_mSS_SV_bEUlT_E_NS1_11comp_targetILNS1_3genE9ELNS1_11target_archE1100ELNS1_3gpuE3ELNS1_3repE0EEENS1_30default_config_static_selectorELNS0_4arch9wavefront6targetE0EEEvSP_,comdat
	.protected	_ZN7rocprim17ROCPRIM_400000_NS6detail17trampoline_kernelINS0_14default_configENS1_29binary_search_config_selectorIdiEEZNS1_14transform_implILb0ES3_S5_N6thrust23THRUST_200600_302600_NS6detail15normal_iteratorINS8_10device_ptrIdEEEENSA_INSB_IiEEEEZNS1_13binary_searchIS3_S5_SD_SD_SF_NS1_16binary_search_opENS9_16wrapped_functionINS0_4lessIvEEbEEEE10hipError_tPvRmT1_T2_T3_mmT4_T5_P12ihipStream_tbEUlRKdE_EESM_SQ_SR_mSS_SV_bEUlT_E_NS1_11comp_targetILNS1_3genE9ELNS1_11target_archE1100ELNS1_3gpuE3ELNS1_3repE0EEENS1_30default_config_static_selectorELNS0_4arch9wavefront6targetE0EEEvSP_ ; -- Begin function _ZN7rocprim17ROCPRIM_400000_NS6detail17trampoline_kernelINS0_14default_configENS1_29binary_search_config_selectorIdiEEZNS1_14transform_implILb0ES3_S5_N6thrust23THRUST_200600_302600_NS6detail15normal_iteratorINS8_10device_ptrIdEEEENSA_INSB_IiEEEEZNS1_13binary_searchIS3_S5_SD_SD_SF_NS1_16binary_search_opENS9_16wrapped_functionINS0_4lessIvEEbEEEE10hipError_tPvRmT1_T2_T3_mmT4_T5_P12ihipStream_tbEUlRKdE_EESM_SQ_SR_mSS_SV_bEUlT_E_NS1_11comp_targetILNS1_3genE9ELNS1_11target_archE1100ELNS1_3gpuE3ELNS1_3repE0EEENS1_30default_config_static_selectorELNS0_4arch9wavefront6targetE0EEEvSP_
	.globl	_ZN7rocprim17ROCPRIM_400000_NS6detail17trampoline_kernelINS0_14default_configENS1_29binary_search_config_selectorIdiEEZNS1_14transform_implILb0ES3_S5_N6thrust23THRUST_200600_302600_NS6detail15normal_iteratorINS8_10device_ptrIdEEEENSA_INSB_IiEEEEZNS1_13binary_searchIS3_S5_SD_SD_SF_NS1_16binary_search_opENS9_16wrapped_functionINS0_4lessIvEEbEEEE10hipError_tPvRmT1_T2_T3_mmT4_T5_P12ihipStream_tbEUlRKdE_EESM_SQ_SR_mSS_SV_bEUlT_E_NS1_11comp_targetILNS1_3genE9ELNS1_11target_archE1100ELNS1_3gpuE3ELNS1_3repE0EEENS1_30default_config_static_selectorELNS0_4arch9wavefront6targetE0EEEvSP_
	.p2align	8
	.type	_ZN7rocprim17ROCPRIM_400000_NS6detail17trampoline_kernelINS0_14default_configENS1_29binary_search_config_selectorIdiEEZNS1_14transform_implILb0ES3_S5_N6thrust23THRUST_200600_302600_NS6detail15normal_iteratorINS8_10device_ptrIdEEEENSA_INSB_IiEEEEZNS1_13binary_searchIS3_S5_SD_SD_SF_NS1_16binary_search_opENS9_16wrapped_functionINS0_4lessIvEEbEEEE10hipError_tPvRmT1_T2_T3_mmT4_T5_P12ihipStream_tbEUlRKdE_EESM_SQ_SR_mSS_SV_bEUlT_E_NS1_11comp_targetILNS1_3genE9ELNS1_11target_archE1100ELNS1_3gpuE3ELNS1_3repE0EEENS1_30default_config_static_selectorELNS0_4arch9wavefront6targetE0EEEvSP_,@function
_ZN7rocprim17ROCPRIM_400000_NS6detail17trampoline_kernelINS0_14default_configENS1_29binary_search_config_selectorIdiEEZNS1_14transform_implILb0ES3_S5_N6thrust23THRUST_200600_302600_NS6detail15normal_iteratorINS8_10device_ptrIdEEEENSA_INSB_IiEEEEZNS1_13binary_searchIS3_S5_SD_SD_SF_NS1_16binary_search_opENS9_16wrapped_functionINS0_4lessIvEEbEEEE10hipError_tPvRmT1_T2_T3_mmT4_T5_P12ihipStream_tbEUlRKdE_EESM_SQ_SR_mSS_SV_bEUlT_E_NS1_11comp_targetILNS1_3genE9ELNS1_11target_archE1100ELNS1_3gpuE3ELNS1_3repE0EEENS1_30default_config_static_selectorELNS0_4arch9wavefront6targetE0EEEvSP_: ; @_ZN7rocprim17ROCPRIM_400000_NS6detail17trampoline_kernelINS0_14default_configENS1_29binary_search_config_selectorIdiEEZNS1_14transform_implILb0ES3_S5_N6thrust23THRUST_200600_302600_NS6detail15normal_iteratorINS8_10device_ptrIdEEEENSA_INSB_IiEEEEZNS1_13binary_searchIS3_S5_SD_SD_SF_NS1_16binary_search_opENS9_16wrapped_functionINS0_4lessIvEEbEEEE10hipError_tPvRmT1_T2_T3_mmT4_T5_P12ihipStream_tbEUlRKdE_EESM_SQ_SR_mSS_SV_bEUlT_E_NS1_11comp_targetILNS1_3genE9ELNS1_11target_archE1100ELNS1_3gpuE3ELNS1_3repE0EEENS1_30default_config_static_selectorELNS0_4arch9wavefront6targetE0EEEvSP_
; %bb.0:
	s_clause 0x2
	s_load_b256 s[4:11], s[0:1], 0x0
	s_load_b32 s2, s[0:1], 0x38
	s_load_b128 s[16:19], s[0:1], 0x20
	s_mov_b32 s21, 0
	s_waitcnt lgkmcnt(0)
	s_lshl_b64 s[0:1], s[6:7], 3
	s_delay_alu instid0(SALU_CYCLE_1) | instskip(SKIP_2) | instid1(SALU_CYCLE_1)
	s_add_u32 s3, s4, s0
	s_addc_u32 s4, s5, s1
	s_lshl_b64 s[0:1], s[6:7], 2
	s_add_u32 s22, s10, s0
	s_addc_u32 s23, s11, s1
	s_lshl_b32 s20, s15, 12
	s_add_i32 s2, s2, -1
	s_lshl_b64 s[0:1], s[20:21], 3
	s_delay_alu instid0(SALU_CYCLE_1)
	s_add_u32 s25, s3, s0
	s_addc_u32 s26, s4, s1
	s_cmp_lg_u32 s15, s2
	s_mov_b32 s0, -1
	s_cbranch_scc0 .LBB418_98
; %bb.1:
	v_lshlrev_b32_e32 v1, 3, v0
	s_cmp_lg_u64 s[18:19], 0
	s_mov_b32 s1, 0
	s_cselect_b32 s2, -1, 0
	s_cmp_eq_u64 s[18:19], 0
	v_add_co_u32 v1, s0, s25, v1
	s_delay_alu instid0(VALU_DEP_1) | instskip(NEXT) | instid1(VALU_DEP_2)
	v_add_co_ci_u32_e64 v2, null, s26, 0, s0
	v_add_co_u32 v3, vcc_lo, 0x1000, v1
	s_delay_alu instid0(VALU_DEP_2)
	v_add_co_ci_u32_e32 v4, vcc_lo, 0, v2, vcc_lo
	v_add_co_u32 v5, vcc_lo, 0x2000, v1
	v_add_co_ci_u32_e32 v6, vcc_lo, 0, v2, vcc_lo
	v_add_co_u32 v7, vcc_lo, 0x3000, v1
	v_add_co_ci_u32_e32 v8, vcc_lo, 0, v2, vcc_lo
	s_clause 0x7
	flat_load_b64 v[31:32], v[1:2]
	flat_load_b64 v[29:30], v[1:2] offset:2048
	flat_load_b64 v[27:28], v[3:4]
	flat_load_b64 v[25:26], v[3:4] offset:2048
	;; [unrolled: 2-line block ×4, first 2 shown]
	v_add_co_u32 v3, vcc_lo, 0x4000, v1
	v_add_co_ci_u32_e32 v4, vcc_lo, 0, v2, vcc_lo
	v_add_co_u32 v5, vcc_lo, 0x5000, v1
	v_add_co_ci_u32_e32 v6, vcc_lo, 0, v2, vcc_lo
	;; [unrolled: 2-line block ×4, first 2 shown]
	s_clause 0x7
	flat_load_b64 v[15:16], v[3:4]
	flat_load_b64 v[13:14], v[3:4] offset:2048
	flat_load_b64 v[11:12], v[5:6]
	flat_load_b64 v[9:10], v[5:6] offset:2048
	;; [unrolled: 2-line block ×4, first 2 shown]
	v_mov_b32_e32 v33, 0
	v_mov_b32_e32 v34, 0
	s_cbranch_scc1 .LBB418_5
; %bb.2:
	v_dual_mov_b32 v33, 0 :: v_dual_mov_b32 v36, s19
	v_dual_mov_b32 v34, 0 :: v_dual_mov_b32 v35, s18
	s_set_inst_prefetch_distance 0x1
	.p2align	6
.LBB418_3:                              ; =>This Inner Loop Header: Depth=1
	s_delay_alu instid0(VALU_DEP_1) | instskip(NEXT) | instid1(VALU_DEP_2)
	v_sub_co_u32 v37, vcc_lo, v35, v33
	v_sub_co_ci_u32_e32 v38, vcc_lo, v36, v34, vcc_lo
	s_delay_alu instid0(VALU_DEP_1) | instskip(SKIP_1) | instid1(VALU_DEP_2)
	v_lshrrev_b64 v[39:40], 1, v[37:38]
	v_lshrrev_b64 v[37:38], 6, v[37:38]
	v_add_co_u32 v39, vcc_lo, v39, v33
	s_delay_alu instid0(VALU_DEP_3) | instskip(NEXT) | instid1(VALU_DEP_2)
	v_add_co_ci_u32_e32 v40, vcc_lo, v40, v34, vcc_lo
	v_add_co_u32 v37, vcc_lo, v39, v37
	s_delay_alu instid0(VALU_DEP_2) | instskip(NEXT) | instid1(VALU_DEP_1)
	v_add_co_ci_u32_e32 v38, vcc_lo, v40, v38, vcc_lo
	v_lshlrev_b64 v[39:40], 3, v[37:38]
	s_delay_alu instid0(VALU_DEP_1) | instskip(NEXT) | instid1(VALU_DEP_2)
	v_add_co_u32 v39, vcc_lo, s16, v39
	v_add_co_ci_u32_e32 v40, vcc_lo, s17, v40, vcc_lo
	global_load_b64 v[39:40], v[39:40], off
	s_waitcnt vmcnt(0) lgkmcnt(15)
	v_cmp_lt_f64_e32 vcc_lo, v[39:40], v[31:32]
	v_add_co_u32 v39, s0, v37, 1
	s_delay_alu instid0(VALU_DEP_1) | instskip(SKIP_1) | instid1(VALU_DEP_2)
	v_add_co_ci_u32_e64 v40, s0, 0, v38, s0
	v_dual_cndmask_b32 v36, v38, v36 :: v_dual_cndmask_b32 v35, v37, v35
	v_dual_cndmask_b32 v34, v34, v40 :: v_dual_cndmask_b32 v33, v33, v39
	s_delay_alu instid0(VALU_DEP_1) | instskip(SKIP_1) | instid1(SALU_CYCLE_1)
	v_cmp_ge_u64_e32 vcc_lo, v[33:34], v[35:36]
	s_or_b32 s1, vcc_lo, s1
	s_and_not1_b32 exec_lo, exec_lo, s1
	s_cbranch_execnz .LBB418_3
; %bb.4:
	s_set_inst_prefetch_distance 0x2
	s_or_b32 exec_lo, exec_lo, s1
.LBB418_5:
	s_mov_b32 s1, 0
	s_mov_b32 s0, exec_lo
	s_delay_alu instid0(VALU_DEP_1)
	v_cmpx_ne_u64_e64 s[18:19], v[33:34]
	s_cbranch_execz .LBB418_7
; %bb.6:
	v_lshlrev_b64 v[33:34], 3, v[33:34]
	s_delay_alu instid0(VALU_DEP_1) | instskip(NEXT) | instid1(VALU_DEP_2)
	v_add_co_u32 v33, vcc_lo, s16, v33
	v_add_co_ci_u32_e32 v34, vcc_lo, s17, v34, vcc_lo
	global_load_b64 v[33:34], v[33:34], off
	s_waitcnt vmcnt(0) lgkmcnt(15)
	v_cmp_ngt_f64_e32 vcc_lo, v[33:34], v[31:32]
	s_and_b32 s1, vcc_lo, exec_lo
.LBB418_7:
	s_or_b32 exec_lo, exec_lo, s0
	s_waitcnt vmcnt(15) lgkmcnt(15)
	v_mov_b32_e32 v31, 0
	v_cndmask_b32_e64 v35, 0, 1, s2
	v_mov_b32_e32 v32, 0
	s_and_not1_b32 vcc_lo, exec_lo, s2
	s_cbranch_vccnz .LBB418_11
; %bb.8:
	v_dual_mov_b32 v34, s19 :: v_dual_mov_b32 v33, s18
	s_mov_b32 s2, 0
	s_set_inst_prefetch_distance 0x1
	.p2align	6
.LBB418_9:                              ; =>This Inner Loop Header: Depth=1
	s_delay_alu instid0(VALU_DEP_1) | instskip(NEXT) | instid1(VALU_DEP_2)
	v_sub_co_u32 v36, vcc_lo, v33, v31
	v_sub_co_ci_u32_e32 v37, vcc_lo, v34, v32, vcc_lo
	s_delay_alu instid0(VALU_DEP_1) | instskip(SKIP_1) | instid1(VALU_DEP_2)
	v_lshrrev_b64 v[38:39], 1, v[36:37]
	v_lshrrev_b64 v[36:37], 6, v[36:37]
	v_add_co_u32 v38, vcc_lo, v38, v31
	s_delay_alu instid0(VALU_DEP_3) | instskip(NEXT) | instid1(VALU_DEP_2)
	v_add_co_ci_u32_e32 v39, vcc_lo, v39, v32, vcc_lo
	v_add_co_u32 v36, vcc_lo, v38, v36
	s_delay_alu instid0(VALU_DEP_2) | instskip(NEXT) | instid1(VALU_DEP_1)
	v_add_co_ci_u32_e32 v37, vcc_lo, v39, v37, vcc_lo
	v_lshlrev_b64 v[38:39], 3, v[36:37]
	s_delay_alu instid0(VALU_DEP_1) | instskip(NEXT) | instid1(VALU_DEP_2)
	v_add_co_u32 v38, vcc_lo, s16, v38
	v_add_co_ci_u32_e32 v39, vcc_lo, s17, v39, vcc_lo
	global_load_b64 v[38:39], v[38:39], off
	s_waitcnt vmcnt(0) lgkmcnt(14)
	v_cmp_lt_f64_e32 vcc_lo, v[38:39], v[29:30]
	v_add_co_u32 v38, s0, v36, 1
	s_delay_alu instid0(VALU_DEP_1) | instskip(SKIP_1) | instid1(VALU_DEP_2)
	v_add_co_ci_u32_e64 v39, s0, 0, v37, s0
	v_dual_cndmask_b32 v34, v37, v34 :: v_dual_cndmask_b32 v33, v36, v33
	v_dual_cndmask_b32 v32, v32, v39 :: v_dual_cndmask_b32 v31, v31, v38
	s_delay_alu instid0(VALU_DEP_1) | instskip(SKIP_1) | instid1(SALU_CYCLE_1)
	v_cmp_ge_u64_e32 vcc_lo, v[31:32], v[33:34]
	s_or_b32 s2, vcc_lo, s2
	s_and_not1_b32 exec_lo, exec_lo, s2
	s_cbranch_execnz .LBB418_9
; %bb.10:
	s_set_inst_prefetch_distance 0x2
	s_or_b32 exec_lo, exec_lo, s2
.LBB418_11:
	s_mov_b32 s2, 0
	s_mov_b32 s0, exec_lo
	v_cmpx_ne_u64_e64 s[18:19], v[31:32]
	s_cbranch_execz .LBB418_13
; %bb.12:
	v_lshlrev_b64 v[31:32], 3, v[31:32]
	s_delay_alu instid0(VALU_DEP_1) | instskip(NEXT) | instid1(VALU_DEP_2)
	v_add_co_u32 v31, vcc_lo, s16, v31
	v_add_co_ci_u32_e32 v32, vcc_lo, s17, v32, vcc_lo
	global_load_b64 v[31:32], v[31:32], off
	s_waitcnt vmcnt(0) lgkmcnt(14)
	v_cmp_ngt_f64_e32 vcc_lo, v[31:32], v[29:30]
	s_and_b32 s2, vcc_lo, exec_lo
.LBB418_13:
	s_or_b32 exec_lo, exec_lo, s0
	v_cmp_ne_u32_e32 vcc_lo, 1, v35
	s_waitcnt vmcnt(14) lgkmcnt(14)
	v_mov_b32_e32 v29, 0
	v_mov_b32_e32 v30, 0
	s_cbranch_vccnz .LBB418_17
; %bb.14:
	v_dual_mov_b32 v32, s19 :: v_dual_mov_b32 v31, s18
	s_mov_b32 s3, 0
	s_set_inst_prefetch_distance 0x1
	.p2align	6
.LBB418_15:                             ; =>This Inner Loop Header: Depth=1
	s_delay_alu instid0(VALU_DEP_1) | instskip(NEXT) | instid1(VALU_DEP_2)
	v_sub_co_u32 v33, vcc_lo, v31, v29
	v_sub_co_ci_u32_e32 v34, vcc_lo, v32, v30, vcc_lo
	s_delay_alu instid0(VALU_DEP_1) | instskip(SKIP_1) | instid1(VALU_DEP_2)
	v_lshrrev_b64 v[36:37], 1, v[33:34]
	v_lshrrev_b64 v[33:34], 6, v[33:34]
	v_add_co_u32 v36, vcc_lo, v36, v29
	s_delay_alu instid0(VALU_DEP_3) | instskip(NEXT) | instid1(VALU_DEP_2)
	v_add_co_ci_u32_e32 v37, vcc_lo, v37, v30, vcc_lo
	v_add_co_u32 v33, vcc_lo, v36, v33
	s_delay_alu instid0(VALU_DEP_2) | instskip(NEXT) | instid1(VALU_DEP_1)
	v_add_co_ci_u32_e32 v34, vcc_lo, v37, v34, vcc_lo
	v_lshlrev_b64 v[36:37], 3, v[33:34]
	s_delay_alu instid0(VALU_DEP_1) | instskip(NEXT) | instid1(VALU_DEP_2)
	v_add_co_u32 v36, vcc_lo, s16, v36
	v_add_co_ci_u32_e32 v37, vcc_lo, s17, v37, vcc_lo
	global_load_b64 v[36:37], v[36:37], off
	s_waitcnt vmcnt(0) lgkmcnt(13)
	v_cmp_lt_f64_e32 vcc_lo, v[36:37], v[27:28]
	v_add_co_u32 v36, s0, v33, 1
	s_delay_alu instid0(VALU_DEP_1) | instskip(SKIP_1) | instid1(VALU_DEP_2)
	v_add_co_ci_u32_e64 v37, s0, 0, v34, s0
	v_dual_cndmask_b32 v32, v34, v32 :: v_dual_cndmask_b32 v31, v33, v31
	v_dual_cndmask_b32 v30, v30, v37 :: v_dual_cndmask_b32 v29, v29, v36
	s_delay_alu instid0(VALU_DEP_1) | instskip(SKIP_1) | instid1(SALU_CYCLE_1)
	v_cmp_ge_u64_e32 vcc_lo, v[29:30], v[31:32]
	s_or_b32 s3, vcc_lo, s3
	s_and_not1_b32 exec_lo, exec_lo, s3
	s_cbranch_execnz .LBB418_15
; %bb.16:
	s_set_inst_prefetch_distance 0x2
	s_or_b32 exec_lo, exec_lo, s3
.LBB418_17:
	s_mov_b32 s3, 0
	s_mov_b32 s0, exec_lo
	s_delay_alu instid0(VALU_DEP_1)
	v_cmpx_ne_u64_e64 s[18:19], v[29:30]
	s_cbranch_execz .LBB418_19
; %bb.18:
	v_lshlrev_b64 v[29:30], 3, v[29:30]
	s_delay_alu instid0(VALU_DEP_1) | instskip(NEXT) | instid1(VALU_DEP_2)
	v_add_co_u32 v29, vcc_lo, s16, v29
	v_add_co_ci_u32_e32 v30, vcc_lo, s17, v30, vcc_lo
	global_load_b64 v[29:30], v[29:30], off
	s_waitcnt vmcnt(0) lgkmcnt(13)
	v_cmp_ngt_f64_e32 vcc_lo, v[29:30], v[27:28]
	s_and_b32 s3, vcc_lo, exec_lo
.LBB418_19:
	s_or_b32 exec_lo, exec_lo, s0
	v_cmp_ne_u32_e32 vcc_lo, 1, v35
	s_waitcnt vmcnt(13) lgkmcnt(13)
	v_mov_b32_e32 v27, 0
	v_mov_b32_e32 v28, 0
	s_cbranch_vccnz .LBB418_23
; %bb.20:
	v_dual_mov_b32 v30, s19 :: v_dual_mov_b32 v29, s18
	s_mov_b32 s4, 0
	s_set_inst_prefetch_distance 0x1
	.p2align	6
.LBB418_21:                             ; =>This Inner Loop Header: Depth=1
	s_delay_alu instid0(VALU_DEP_1) | instskip(NEXT) | instid1(VALU_DEP_2)
	v_sub_co_u32 v31, vcc_lo, v29, v27
	v_sub_co_ci_u32_e32 v32, vcc_lo, v30, v28, vcc_lo
	s_delay_alu instid0(VALU_DEP_1) | instskip(SKIP_1) | instid1(VALU_DEP_2)
	v_lshrrev_b64 v[33:34], 1, v[31:32]
	v_lshrrev_b64 v[31:32], 6, v[31:32]
	v_add_co_u32 v33, vcc_lo, v33, v27
	s_delay_alu instid0(VALU_DEP_3) | instskip(NEXT) | instid1(VALU_DEP_2)
	v_add_co_ci_u32_e32 v34, vcc_lo, v34, v28, vcc_lo
	v_add_co_u32 v31, vcc_lo, v33, v31
	s_delay_alu instid0(VALU_DEP_2) | instskip(NEXT) | instid1(VALU_DEP_1)
	v_add_co_ci_u32_e32 v32, vcc_lo, v34, v32, vcc_lo
	v_lshlrev_b64 v[33:34], 3, v[31:32]
	s_delay_alu instid0(VALU_DEP_1) | instskip(NEXT) | instid1(VALU_DEP_2)
	v_add_co_u32 v33, vcc_lo, s16, v33
	v_add_co_ci_u32_e32 v34, vcc_lo, s17, v34, vcc_lo
	global_load_b64 v[33:34], v[33:34], off
	s_waitcnt vmcnt(0) lgkmcnt(12)
	v_cmp_lt_f64_e32 vcc_lo, v[33:34], v[25:26]
	v_add_co_u32 v33, s0, v31, 1
	s_delay_alu instid0(VALU_DEP_1) | instskip(SKIP_1) | instid1(VALU_DEP_2)
	v_add_co_ci_u32_e64 v34, s0, 0, v32, s0
	v_dual_cndmask_b32 v30, v32, v30 :: v_dual_cndmask_b32 v29, v31, v29
	v_dual_cndmask_b32 v28, v28, v34 :: v_dual_cndmask_b32 v27, v27, v33
	s_delay_alu instid0(VALU_DEP_1) | instskip(SKIP_1) | instid1(SALU_CYCLE_1)
	v_cmp_ge_u64_e32 vcc_lo, v[27:28], v[29:30]
	s_or_b32 s4, vcc_lo, s4
	s_and_not1_b32 exec_lo, exec_lo, s4
	s_cbranch_execnz .LBB418_21
; %bb.22:
	s_set_inst_prefetch_distance 0x2
	s_or_b32 exec_lo, exec_lo, s4
.LBB418_23:
	s_mov_b32 s4, 0
	s_mov_b32 s0, exec_lo
	s_delay_alu instid0(VALU_DEP_1)
	v_cmpx_ne_u64_e64 s[18:19], v[27:28]
	s_cbranch_execz .LBB418_25
; %bb.24:
	v_lshlrev_b64 v[27:28], 3, v[27:28]
	s_delay_alu instid0(VALU_DEP_1) | instskip(NEXT) | instid1(VALU_DEP_2)
	v_add_co_u32 v27, vcc_lo, s16, v27
	v_add_co_ci_u32_e32 v28, vcc_lo, s17, v28, vcc_lo
	global_load_b64 v[27:28], v[27:28], off
	s_waitcnt vmcnt(0) lgkmcnt(12)
	v_cmp_ngt_f64_e32 vcc_lo, v[27:28], v[25:26]
	s_and_b32 s4, vcc_lo, exec_lo
.LBB418_25:
	s_or_b32 exec_lo, exec_lo, s0
	v_cmp_ne_u32_e32 vcc_lo, 1, v35
	s_waitcnt vmcnt(12) lgkmcnt(12)
	v_mov_b32_e32 v25, 0
	v_mov_b32_e32 v26, 0
	s_cbranch_vccnz .LBB418_29
; %bb.26:
	v_dual_mov_b32 v28, s19 :: v_dual_mov_b32 v27, s18
	s_mov_b32 s5, 0
	s_set_inst_prefetch_distance 0x1
	.p2align	6
.LBB418_27:                             ; =>This Inner Loop Header: Depth=1
	s_delay_alu instid0(VALU_DEP_1) | instskip(NEXT) | instid1(VALU_DEP_2)
	v_sub_co_u32 v29, vcc_lo, v27, v25
	v_sub_co_ci_u32_e32 v30, vcc_lo, v28, v26, vcc_lo
	s_delay_alu instid0(VALU_DEP_1) | instskip(SKIP_1) | instid1(VALU_DEP_2)
	v_lshrrev_b64 v[31:32], 1, v[29:30]
	v_lshrrev_b64 v[29:30], 6, v[29:30]
	v_add_co_u32 v31, vcc_lo, v31, v25
	s_delay_alu instid0(VALU_DEP_3) | instskip(NEXT) | instid1(VALU_DEP_2)
	v_add_co_ci_u32_e32 v32, vcc_lo, v32, v26, vcc_lo
	v_add_co_u32 v29, vcc_lo, v31, v29
	s_delay_alu instid0(VALU_DEP_2) | instskip(NEXT) | instid1(VALU_DEP_1)
	v_add_co_ci_u32_e32 v30, vcc_lo, v32, v30, vcc_lo
	v_lshlrev_b64 v[31:32], 3, v[29:30]
	s_delay_alu instid0(VALU_DEP_1) | instskip(NEXT) | instid1(VALU_DEP_2)
	v_add_co_u32 v31, vcc_lo, s16, v31
	v_add_co_ci_u32_e32 v32, vcc_lo, s17, v32, vcc_lo
	global_load_b64 v[31:32], v[31:32], off
	s_waitcnt vmcnt(0) lgkmcnt(11)
	v_cmp_lt_f64_e32 vcc_lo, v[31:32], v[23:24]
	v_add_co_u32 v31, s0, v29, 1
	s_delay_alu instid0(VALU_DEP_1) | instskip(SKIP_1) | instid1(VALU_DEP_2)
	v_add_co_ci_u32_e64 v32, s0, 0, v30, s0
	v_dual_cndmask_b32 v28, v30, v28 :: v_dual_cndmask_b32 v27, v29, v27
	v_dual_cndmask_b32 v26, v26, v32 :: v_dual_cndmask_b32 v25, v25, v31
	s_delay_alu instid0(VALU_DEP_1) | instskip(SKIP_1) | instid1(SALU_CYCLE_1)
	v_cmp_ge_u64_e32 vcc_lo, v[25:26], v[27:28]
	s_or_b32 s5, vcc_lo, s5
	s_and_not1_b32 exec_lo, exec_lo, s5
	s_cbranch_execnz .LBB418_27
; %bb.28:
	s_set_inst_prefetch_distance 0x2
	s_or_b32 exec_lo, exec_lo, s5
.LBB418_29:
	s_mov_b32 s5, 0
	s_mov_b32 s0, exec_lo
	s_delay_alu instid0(VALU_DEP_1)
	v_cmpx_ne_u64_e64 s[18:19], v[25:26]
	s_cbranch_execz .LBB418_31
; %bb.30:
	v_lshlrev_b64 v[25:26], 3, v[25:26]
	s_delay_alu instid0(VALU_DEP_1) | instskip(NEXT) | instid1(VALU_DEP_2)
	v_add_co_u32 v25, vcc_lo, s16, v25
	v_add_co_ci_u32_e32 v26, vcc_lo, s17, v26, vcc_lo
	global_load_b64 v[25:26], v[25:26], off
	s_waitcnt vmcnt(0) lgkmcnt(11)
	v_cmp_ngt_f64_e32 vcc_lo, v[25:26], v[23:24]
	s_and_b32 s5, vcc_lo, exec_lo
.LBB418_31:
	s_or_b32 exec_lo, exec_lo, s0
	v_cmp_ne_u32_e32 vcc_lo, 1, v35
	s_waitcnt vmcnt(11) lgkmcnt(11)
	v_mov_b32_e32 v23, 0
	v_mov_b32_e32 v24, 0
	s_cbranch_vccnz .LBB418_35
; %bb.32:
	v_dual_mov_b32 v26, s19 :: v_dual_mov_b32 v25, s18
	s_mov_b32 s6, 0
	s_set_inst_prefetch_distance 0x1
	.p2align	6
.LBB418_33:                             ; =>This Inner Loop Header: Depth=1
	s_delay_alu instid0(VALU_DEP_1) | instskip(NEXT) | instid1(VALU_DEP_2)
	v_sub_co_u32 v27, vcc_lo, v25, v23
	v_sub_co_ci_u32_e32 v28, vcc_lo, v26, v24, vcc_lo
	s_delay_alu instid0(VALU_DEP_1) | instskip(SKIP_1) | instid1(VALU_DEP_2)
	v_lshrrev_b64 v[29:30], 1, v[27:28]
	v_lshrrev_b64 v[27:28], 6, v[27:28]
	v_add_co_u32 v29, vcc_lo, v29, v23
	s_delay_alu instid0(VALU_DEP_3) | instskip(NEXT) | instid1(VALU_DEP_2)
	v_add_co_ci_u32_e32 v30, vcc_lo, v30, v24, vcc_lo
	v_add_co_u32 v27, vcc_lo, v29, v27
	s_delay_alu instid0(VALU_DEP_2) | instskip(NEXT) | instid1(VALU_DEP_1)
	v_add_co_ci_u32_e32 v28, vcc_lo, v30, v28, vcc_lo
	v_lshlrev_b64 v[29:30], 3, v[27:28]
	s_delay_alu instid0(VALU_DEP_1) | instskip(NEXT) | instid1(VALU_DEP_2)
	v_add_co_u32 v29, vcc_lo, s16, v29
	v_add_co_ci_u32_e32 v30, vcc_lo, s17, v30, vcc_lo
	global_load_b64 v[29:30], v[29:30], off
	s_waitcnt vmcnt(0) lgkmcnt(10)
	v_cmp_lt_f64_e32 vcc_lo, v[29:30], v[21:22]
	v_add_co_u32 v29, s0, v27, 1
	s_delay_alu instid0(VALU_DEP_1) | instskip(SKIP_1) | instid1(VALU_DEP_2)
	v_add_co_ci_u32_e64 v30, s0, 0, v28, s0
	v_dual_cndmask_b32 v26, v28, v26 :: v_dual_cndmask_b32 v25, v27, v25
	v_dual_cndmask_b32 v24, v24, v30 :: v_dual_cndmask_b32 v23, v23, v29
	s_delay_alu instid0(VALU_DEP_1) | instskip(SKIP_1) | instid1(SALU_CYCLE_1)
	v_cmp_ge_u64_e32 vcc_lo, v[23:24], v[25:26]
	s_or_b32 s6, vcc_lo, s6
	s_and_not1_b32 exec_lo, exec_lo, s6
	s_cbranch_execnz .LBB418_33
; %bb.34:
	s_set_inst_prefetch_distance 0x2
	s_or_b32 exec_lo, exec_lo, s6
.LBB418_35:
	s_mov_b32 s6, 0
	s_mov_b32 s0, exec_lo
	s_delay_alu instid0(VALU_DEP_1)
	v_cmpx_ne_u64_e64 s[18:19], v[23:24]
	s_cbranch_execz .LBB418_37
; %bb.36:
	v_lshlrev_b64 v[23:24], 3, v[23:24]
	s_delay_alu instid0(VALU_DEP_1) | instskip(NEXT) | instid1(VALU_DEP_2)
	v_add_co_u32 v23, vcc_lo, s16, v23
	v_add_co_ci_u32_e32 v24, vcc_lo, s17, v24, vcc_lo
	global_load_b64 v[23:24], v[23:24], off
	s_waitcnt vmcnt(0) lgkmcnt(10)
	v_cmp_ngt_f64_e32 vcc_lo, v[23:24], v[21:22]
	s_and_b32 s6, vcc_lo, exec_lo
.LBB418_37:
	s_or_b32 exec_lo, exec_lo, s0
	v_cmp_ne_u32_e32 vcc_lo, 1, v35
	s_waitcnt vmcnt(10) lgkmcnt(10)
	v_mov_b32_e32 v21, 0
	v_mov_b32_e32 v22, 0
	s_cbranch_vccnz .LBB418_41
; %bb.38:
	v_dual_mov_b32 v24, s19 :: v_dual_mov_b32 v23, s18
	s_mov_b32 s7, 0
	s_set_inst_prefetch_distance 0x1
	.p2align	6
.LBB418_39:                             ; =>This Inner Loop Header: Depth=1
	s_delay_alu instid0(VALU_DEP_1) | instskip(NEXT) | instid1(VALU_DEP_2)
	v_sub_co_u32 v25, vcc_lo, v23, v21
	v_sub_co_ci_u32_e32 v26, vcc_lo, v24, v22, vcc_lo
	s_delay_alu instid0(VALU_DEP_1) | instskip(SKIP_1) | instid1(VALU_DEP_2)
	v_lshrrev_b64 v[27:28], 1, v[25:26]
	v_lshrrev_b64 v[25:26], 6, v[25:26]
	v_add_co_u32 v27, vcc_lo, v27, v21
	s_delay_alu instid0(VALU_DEP_3) | instskip(NEXT) | instid1(VALU_DEP_2)
	v_add_co_ci_u32_e32 v28, vcc_lo, v28, v22, vcc_lo
	v_add_co_u32 v25, vcc_lo, v27, v25
	s_delay_alu instid0(VALU_DEP_2) | instskip(NEXT) | instid1(VALU_DEP_1)
	v_add_co_ci_u32_e32 v26, vcc_lo, v28, v26, vcc_lo
	v_lshlrev_b64 v[27:28], 3, v[25:26]
	s_delay_alu instid0(VALU_DEP_1) | instskip(NEXT) | instid1(VALU_DEP_2)
	v_add_co_u32 v27, vcc_lo, s16, v27
	v_add_co_ci_u32_e32 v28, vcc_lo, s17, v28, vcc_lo
	global_load_b64 v[27:28], v[27:28], off
	s_waitcnt vmcnt(0) lgkmcnt(9)
	v_cmp_lt_f64_e32 vcc_lo, v[27:28], v[19:20]
	v_add_co_u32 v27, s0, v25, 1
	s_delay_alu instid0(VALU_DEP_1) | instskip(SKIP_1) | instid1(VALU_DEP_2)
	v_add_co_ci_u32_e64 v28, s0, 0, v26, s0
	v_dual_cndmask_b32 v24, v26, v24 :: v_dual_cndmask_b32 v23, v25, v23
	v_dual_cndmask_b32 v22, v22, v28 :: v_dual_cndmask_b32 v21, v21, v27
	s_delay_alu instid0(VALU_DEP_1) | instskip(SKIP_1) | instid1(SALU_CYCLE_1)
	v_cmp_ge_u64_e32 vcc_lo, v[21:22], v[23:24]
	s_or_b32 s7, vcc_lo, s7
	s_and_not1_b32 exec_lo, exec_lo, s7
	s_cbranch_execnz .LBB418_39
; %bb.40:
	s_set_inst_prefetch_distance 0x2
	s_or_b32 exec_lo, exec_lo, s7
.LBB418_41:
	s_mov_b32 s7, 0
	s_mov_b32 s0, exec_lo
	s_delay_alu instid0(VALU_DEP_1)
	v_cmpx_ne_u64_e64 s[18:19], v[21:22]
	s_cbranch_execz .LBB418_43
; %bb.42:
	v_lshlrev_b64 v[21:22], 3, v[21:22]
	s_delay_alu instid0(VALU_DEP_1) | instskip(NEXT) | instid1(VALU_DEP_2)
	v_add_co_u32 v21, vcc_lo, s16, v21
	v_add_co_ci_u32_e32 v22, vcc_lo, s17, v22, vcc_lo
	global_load_b64 v[21:22], v[21:22], off
	s_waitcnt vmcnt(0) lgkmcnt(9)
	v_cmp_ngt_f64_e32 vcc_lo, v[21:22], v[19:20]
	s_and_b32 s7, vcc_lo, exec_lo
.LBB418_43:
	s_or_b32 exec_lo, exec_lo, s0
	v_cmp_ne_u32_e32 vcc_lo, 1, v35
	s_waitcnt vmcnt(9) lgkmcnt(9)
	v_mov_b32_e32 v19, 0
	v_mov_b32_e32 v20, 0
	s_cbranch_vccnz .LBB418_47
; %bb.44:
	v_dual_mov_b32 v22, s19 :: v_dual_mov_b32 v21, s18
	s_mov_b32 s9, 0
	s_set_inst_prefetch_distance 0x1
	.p2align	6
.LBB418_45:                             ; =>This Inner Loop Header: Depth=1
	s_delay_alu instid0(VALU_DEP_1) | instskip(NEXT) | instid1(VALU_DEP_2)
	v_sub_co_u32 v23, vcc_lo, v21, v19
	v_sub_co_ci_u32_e32 v24, vcc_lo, v22, v20, vcc_lo
	s_delay_alu instid0(VALU_DEP_1) | instskip(SKIP_1) | instid1(VALU_DEP_2)
	v_lshrrev_b64 v[25:26], 1, v[23:24]
	v_lshrrev_b64 v[23:24], 6, v[23:24]
	v_add_co_u32 v25, vcc_lo, v25, v19
	s_delay_alu instid0(VALU_DEP_3) | instskip(NEXT) | instid1(VALU_DEP_2)
	v_add_co_ci_u32_e32 v26, vcc_lo, v26, v20, vcc_lo
	v_add_co_u32 v23, vcc_lo, v25, v23
	s_delay_alu instid0(VALU_DEP_2) | instskip(NEXT) | instid1(VALU_DEP_1)
	v_add_co_ci_u32_e32 v24, vcc_lo, v26, v24, vcc_lo
	v_lshlrev_b64 v[25:26], 3, v[23:24]
	s_delay_alu instid0(VALU_DEP_1) | instskip(NEXT) | instid1(VALU_DEP_2)
	v_add_co_u32 v25, vcc_lo, s16, v25
	v_add_co_ci_u32_e32 v26, vcc_lo, s17, v26, vcc_lo
	global_load_b64 v[25:26], v[25:26], off
	s_waitcnt vmcnt(0) lgkmcnt(8)
	v_cmp_lt_f64_e32 vcc_lo, v[25:26], v[17:18]
	v_add_co_u32 v25, s0, v23, 1
	s_delay_alu instid0(VALU_DEP_1) | instskip(SKIP_1) | instid1(VALU_DEP_2)
	v_add_co_ci_u32_e64 v26, s0, 0, v24, s0
	v_dual_cndmask_b32 v22, v24, v22 :: v_dual_cndmask_b32 v21, v23, v21
	v_dual_cndmask_b32 v20, v20, v26 :: v_dual_cndmask_b32 v19, v19, v25
	s_delay_alu instid0(VALU_DEP_1) | instskip(SKIP_1) | instid1(SALU_CYCLE_1)
	v_cmp_ge_u64_e32 vcc_lo, v[19:20], v[21:22]
	s_or_b32 s9, vcc_lo, s9
	s_and_not1_b32 exec_lo, exec_lo, s9
	s_cbranch_execnz .LBB418_45
; %bb.46:
	s_set_inst_prefetch_distance 0x2
	s_or_b32 exec_lo, exec_lo, s9
.LBB418_47:
	s_mov_b32 s9, 0
	s_mov_b32 s0, exec_lo
	s_delay_alu instid0(VALU_DEP_1)
	v_cmpx_ne_u64_e64 s[18:19], v[19:20]
	s_cbranch_execz .LBB418_49
; %bb.48:
	v_lshlrev_b64 v[19:20], 3, v[19:20]
	s_delay_alu instid0(VALU_DEP_1) | instskip(NEXT) | instid1(VALU_DEP_2)
	v_add_co_u32 v19, vcc_lo, s16, v19
	v_add_co_ci_u32_e32 v20, vcc_lo, s17, v20, vcc_lo
	global_load_b64 v[19:20], v[19:20], off
	s_waitcnt vmcnt(0) lgkmcnt(8)
	v_cmp_ngt_f64_e32 vcc_lo, v[19:20], v[17:18]
	s_and_b32 s9, vcc_lo, exec_lo
.LBB418_49:
	s_or_b32 exec_lo, exec_lo, s0
	v_cmp_ne_u32_e32 vcc_lo, 1, v35
	s_waitcnt vmcnt(8) lgkmcnt(8)
	v_mov_b32_e32 v17, 0
	v_mov_b32_e32 v18, 0
	s_cbranch_vccnz .LBB418_53
; %bb.50:
	v_dual_mov_b32 v20, s19 :: v_dual_mov_b32 v19, s18
	s_mov_b32 s10, 0
	s_set_inst_prefetch_distance 0x1
	.p2align	6
.LBB418_51:                             ; =>This Inner Loop Header: Depth=1
	s_delay_alu instid0(VALU_DEP_1) | instskip(NEXT) | instid1(VALU_DEP_2)
	v_sub_co_u32 v21, vcc_lo, v19, v17
	v_sub_co_ci_u32_e32 v22, vcc_lo, v20, v18, vcc_lo
	s_delay_alu instid0(VALU_DEP_1) | instskip(SKIP_1) | instid1(VALU_DEP_2)
	v_lshrrev_b64 v[23:24], 1, v[21:22]
	v_lshrrev_b64 v[21:22], 6, v[21:22]
	v_add_co_u32 v23, vcc_lo, v23, v17
	s_delay_alu instid0(VALU_DEP_3) | instskip(NEXT) | instid1(VALU_DEP_2)
	v_add_co_ci_u32_e32 v24, vcc_lo, v24, v18, vcc_lo
	v_add_co_u32 v21, vcc_lo, v23, v21
	s_delay_alu instid0(VALU_DEP_2) | instskip(NEXT) | instid1(VALU_DEP_1)
	v_add_co_ci_u32_e32 v22, vcc_lo, v24, v22, vcc_lo
	v_lshlrev_b64 v[23:24], 3, v[21:22]
	s_delay_alu instid0(VALU_DEP_1) | instskip(NEXT) | instid1(VALU_DEP_2)
	v_add_co_u32 v23, vcc_lo, s16, v23
	v_add_co_ci_u32_e32 v24, vcc_lo, s17, v24, vcc_lo
	global_load_b64 v[23:24], v[23:24], off
	s_waitcnt vmcnt(0) lgkmcnt(7)
	v_cmp_lt_f64_e32 vcc_lo, v[23:24], v[15:16]
	v_add_co_u32 v23, s0, v21, 1
	s_delay_alu instid0(VALU_DEP_1) | instskip(SKIP_1) | instid1(VALU_DEP_2)
	v_add_co_ci_u32_e64 v24, s0, 0, v22, s0
	v_dual_cndmask_b32 v20, v22, v20 :: v_dual_cndmask_b32 v19, v21, v19
	v_dual_cndmask_b32 v18, v18, v24 :: v_dual_cndmask_b32 v17, v17, v23
	s_delay_alu instid0(VALU_DEP_1) | instskip(SKIP_1) | instid1(SALU_CYCLE_1)
	v_cmp_ge_u64_e32 vcc_lo, v[17:18], v[19:20]
	s_or_b32 s10, vcc_lo, s10
	s_and_not1_b32 exec_lo, exec_lo, s10
	s_cbranch_execnz .LBB418_51
; %bb.52:
	s_set_inst_prefetch_distance 0x2
	s_or_b32 exec_lo, exec_lo, s10
.LBB418_53:
	v_mov_b32_e32 v19, 0
	s_mov_b32 s0, exec_lo
	s_delay_alu instid0(VALU_DEP_2)
	v_cmpx_ne_u64_e64 s[18:19], v[17:18]
	s_cbranch_execz .LBB418_55
; %bb.54:
	v_lshlrev_b64 v[17:18], 3, v[17:18]
	s_delay_alu instid0(VALU_DEP_1) | instskip(NEXT) | instid1(VALU_DEP_2)
	v_add_co_u32 v17, vcc_lo, s16, v17
	v_add_co_ci_u32_e32 v18, vcc_lo, s17, v18, vcc_lo
	global_load_b64 v[17:18], v[17:18], off
	s_waitcnt vmcnt(0) lgkmcnt(7)
	v_cmp_ngt_f64_e32 vcc_lo, v[17:18], v[15:16]
	v_cndmask_b32_e64 v19, 0, 1, vcc_lo
.LBB418_55:
	s_or_b32 exec_lo, exec_lo, s0
	v_cmp_ne_u32_e32 vcc_lo, 1, v35
	s_waitcnt vmcnt(7) lgkmcnt(7)
	v_mov_b32_e32 v15, 0
	v_mov_b32_e32 v16, 0
	s_cbranch_vccnz .LBB418_59
; %bb.56:
	v_dual_mov_b32 v17, s18 :: v_dual_mov_b32 v18, s19
	s_mov_b32 s10, 0
	s_set_inst_prefetch_distance 0x1
	.p2align	6
.LBB418_57:                             ; =>This Inner Loop Header: Depth=1
	s_delay_alu instid0(VALU_DEP_1) | instskip(NEXT) | instid1(VALU_DEP_2)
	v_sub_co_u32 v20, vcc_lo, v17, v15
	v_sub_co_ci_u32_e32 v21, vcc_lo, v18, v16, vcc_lo
	s_delay_alu instid0(VALU_DEP_1) | instskip(SKIP_1) | instid1(VALU_DEP_2)
	v_lshrrev_b64 v[22:23], 1, v[20:21]
	v_lshrrev_b64 v[20:21], 6, v[20:21]
	v_add_co_u32 v22, vcc_lo, v22, v15
	s_delay_alu instid0(VALU_DEP_3) | instskip(NEXT) | instid1(VALU_DEP_2)
	v_add_co_ci_u32_e32 v23, vcc_lo, v23, v16, vcc_lo
	v_add_co_u32 v20, vcc_lo, v22, v20
	s_delay_alu instid0(VALU_DEP_2) | instskip(NEXT) | instid1(VALU_DEP_1)
	v_add_co_ci_u32_e32 v21, vcc_lo, v23, v21, vcc_lo
	v_lshlrev_b64 v[22:23], 3, v[20:21]
	s_delay_alu instid0(VALU_DEP_1) | instskip(NEXT) | instid1(VALU_DEP_2)
	v_add_co_u32 v22, vcc_lo, s16, v22
	v_add_co_ci_u32_e32 v23, vcc_lo, s17, v23, vcc_lo
	global_load_b64 v[22:23], v[22:23], off
	s_waitcnt vmcnt(0) lgkmcnt(6)
	v_cmp_lt_f64_e32 vcc_lo, v[22:23], v[13:14]
	v_add_co_u32 v22, s0, v20, 1
	s_delay_alu instid0(VALU_DEP_1) | instskip(SKIP_1) | instid1(VALU_DEP_2)
	v_add_co_ci_u32_e64 v23, s0, 0, v21, s0
	v_dual_cndmask_b32 v18, v21, v18 :: v_dual_cndmask_b32 v17, v20, v17
	v_dual_cndmask_b32 v16, v16, v23 :: v_dual_cndmask_b32 v15, v15, v22
	s_delay_alu instid0(VALU_DEP_1) | instskip(SKIP_1) | instid1(SALU_CYCLE_1)
	v_cmp_ge_u64_e32 vcc_lo, v[15:16], v[17:18]
	s_or_b32 s10, vcc_lo, s10
	s_and_not1_b32 exec_lo, exec_lo, s10
	s_cbranch_execnz .LBB418_57
; %bb.58:
	s_set_inst_prefetch_distance 0x2
	s_or_b32 exec_lo, exec_lo, s10
.LBB418_59:
	v_mov_b32_e32 v17, 0
	s_mov_b32 s0, exec_lo
	s_delay_alu instid0(VALU_DEP_2)
	v_cmpx_ne_u64_e64 s[18:19], v[15:16]
	s_cbranch_execz .LBB418_61
; %bb.60:
	v_lshlrev_b64 v[15:16], 3, v[15:16]
	s_delay_alu instid0(VALU_DEP_1) | instskip(NEXT) | instid1(VALU_DEP_2)
	v_add_co_u32 v15, vcc_lo, s16, v15
	v_add_co_ci_u32_e32 v16, vcc_lo, s17, v16, vcc_lo
	global_load_b64 v[15:16], v[15:16], off
	s_waitcnt vmcnt(0) lgkmcnt(6)
	v_cmp_ngt_f64_e32 vcc_lo, v[15:16], v[13:14]
	v_cndmask_b32_e64 v17, 0, 1, vcc_lo
.LBB418_61:
	s_or_b32 exec_lo, exec_lo, s0
	v_cmp_ne_u32_e32 vcc_lo, 1, v35
	s_waitcnt vmcnt(6) lgkmcnt(6)
	v_mov_b32_e32 v13, 0
	v_mov_b32_e32 v14, 0
	s_cbranch_vccnz .LBB418_65
; %bb.62:
	v_dual_mov_b32 v15, s18 :: v_dual_mov_b32 v16, s19
	s_mov_b32 s10, 0
	s_set_inst_prefetch_distance 0x1
	.p2align	6
.LBB418_63:                             ; =>This Inner Loop Header: Depth=1
	s_delay_alu instid0(VALU_DEP_1) | instskip(NEXT) | instid1(VALU_DEP_2)
	v_sub_co_u32 v20, vcc_lo, v15, v13
	v_sub_co_ci_u32_e32 v21, vcc_lo, v16, v14, vcc_lo
	s_delay_alu instid0(VALU_DEP_1) | instskip(SKIP_1) | instid1(VALU_DEP_2)
	v_lshrrev_b64 v[22:23], 1, v[20:21]
	v_lshrrev_b64 v[20:21], 6, v[20:21]
	v_add_co_u32 v18, vcc_lo, v22, v13
	s_delay_alu instid0(VALU_DEP_3) | instskip(NEXT) | instid1(VALU_DEP_2)
	v_add_co_ci_u32_e32 v22, vcc_lo, v23, v14, vcc_lo
	v_add_co_u32 v20, vcc_lo, v18, v20
	s_delay_alu instid0(VALU_DEP_2) | instskip(NEXT) | instid1(VALU_DEP_2)
	v_add_co_ci_u32_e32 v21, vcc_lo, v22, v21, vcc_lo
	v_add_co_u32 v18, s0, v20, 1
	s_delay_alu instid0(VALU_DEP_2) | instskip(NEXT) | instid1(VALU_DEP_1)
	v_lshlrev_b64 v[22:23], 3, v[20:21]
	v_add_co_u32 v22, vcc_lo, s16, v22
	s_delay_alu instid0(VALU_DEP_2)
	v_add_co_ci_u32_e32 v23, vcc_lo, s17, v23, vcc_lo
	global_load_b64 v[22:23], v[22:23], off
	s_waitcnt vmcnt(0) lgkmcnt(5)
	v_cmp_lt_f64_e32 vcc_lo, v[22:23], v[11:12]
	v_add_co_ci_u32_e64 v22, s0, 0, v21, s0
	v_dual_cndmask_b32 v16, v21, v16 :: v_dual_cndmask_b32 v15, v20, v15
	s_delay_alu instid0(VALU_DEP_2) | instskip(SKIP_1) | instid1(VALU_DEP_1)
	v_cndmask_b32_e32 v14, v14, v22, vcc_lo
	v_cndmask_b32_e32 v13, v13, v18, vcc_lo
	v_cmp_ge_u64_e32 vcc_lo, v[13:14], v[15:16]
	s_or_b32 s10, vcc_lo, s10
	s_delay_alu instid0(SALU_CYCLE_1)
	s_and_not1_b32 exec_lo, exec_lo, s10
	s_cbranch_execnz .LBB418_63
; %bb.64:
	s_set_inst_prefetch_distance 0x2
	s_or_b32 exec_lo, exec_lo, s10
.LBB418_65:
	v_mov_b32_e32 v15, 0
	s_mov_b32 s0, exec_lo
	s_delay_alu instid0(VALU_DEP_2)
	v_cmpx_ne_u64_e64 s[18:19], v[13:14]
	s_cbranch_execz .LBB418_67
; %bb.66:
	v_lshlrev_b64 v[13:14], 3, v[13:14]
	s_delay_alu instid0(VALU_DEP_1) | instskip(NEXT) | instid1(VALU_DEP_2)
	v_add_co_u32 v13, vcc_lo, s16, v13
	v_add_co_ci_u32_e32 v14, vcc_lo, s17, v14, vcc_lo
	global_load_b64 v[13:14], v[13:14], off
	s_waitcnt vmcnt(0) lgkmcnt(5)
	v_cmp_ngt_f64_e32 vcc_lo, v[13:14], v[11:12]
	v_cndmask_b32_e64 v15, 0, 1, vcc_lo
.LBB418_67:
	s_or_b32 exec_lo, exec_lo, s0
	v_cmp_ne_u32_e32 vcc_lo, 1, v35
	s_waitcnt vmcnt(5) lgkmcnt(5)
	v_mov_b32_e32 v11, 0
	v_mov_b32_e32 v12, 0
	s_cbranch_vccnz .LBB418_71
; %bb.68:
	v_dual_mov_b32 v13, s18 :: v_dual_mov_b32 v14, s19
	s_mov_b32 s10, 0
	s_set_inst_prefetch_distance 0x1
	.p2align	6
.LBB418_69:                             ; =>This Inner Loop Header: Depth=1
	s_delay_alu instid0(VALU_DEP_1) | instskip(NEXT) | instid1(VALU_DEP_2)
	v_sub_co_u32 v20, vcc_lo, v13, v11
	v_sub_co_ci_u32_e32 v21, vcc_lo, v14, v12, vcc_lo
	s_delay_alu instid0(VALU_DEP_1) | instskip(SKIP_1) | instid1(VALU_DEP_2)
	v_lshrrev_b64 v[22:23], 1, v[20:21]
	v_lshrrev_b64 v[20:21], 6, v[20:21]
	v_add_co_u32 v16, vcc_lo, v22, v11
	s_delay_alu instid0(VALU_DEP_3) | instskip(NEXT) | instid1(VALU_DEP_2)
	v_add_co_ci_u32_e32 v18, vcc_lo, v23, v12, vcc_lo
	v_add_co_u32 v20, vcc_lo, v16, v20
	s_delay_alu instid0(VALU_DEP_2) | instskip(NEXT) | instid1(VALU_DEP_2)
	v_add_co_ci_u32_e32 v21, vcc_lo, v18, v21, vcc_lo
	v_add_co_u32 v16, s0, v20, 1
	s_delay_alu instid0(VALU_DEP_2) | instskip(SKIP_1) | instid1(VALU_DEP_2)
	v_lshlrev_b64 v[22:23], 3, v[20:21]
	v_add_co_ci_u32_e64 v18, s0, 0, v21, s0
	v_add_co_u32 v22, vcc_lo, s16, v22
	s_delay_alu instid0(VALU_DEP_3)
	v_add_co_ci_u32_e32 v23, vcc_lo, s17, v23, vcc_lo
	global_load_b64 v[22:23], v[22:23], off
	s_waitcnt vmcnt(0) lgkmcnt(4)
	v_cmp_lt_f64_e32 vcc_lo, v[22:23], v[9:10]
	v_dual_cndmask_b32 v14, v21, v14 :: v_dual_cndmask_b32 v13, v20, v13
	v_dual_cndmask_b32 v12, v12, v18 :: v_dual_cndmask_b32 v11, v11, v16
	s_delay_alu instid0(VALU_DEP_1) | instskip(SKIP_1) | instid1(SALU_CYCLE_1)
	v_cmp_ge_u64_e32 vcc_lo, v[11:12], v[13:14]
	s_or_b32 s10, vcc_lo, s10
	s_and_not1_b32 exec_lo, exec_lo, s10
	s_cbranch_execnz .LBB418_69
; %bb.70:
	s_set_inst_prefetch_distance 0x2
	s_or_b32 exec_lo, exec_lo, s10
.LBB418_71:
	v_mov_b32_e32 v13, 0
	s_mov_b32 s0, exec_lo
	s_delay_alu instid0(VALU_DEP_2)
	v_cmpx_ne_u64_e64 s[18:19], v[11:12]
	s_cbranch_execz .LBB418_73
; %bb.72:
	v_lshlrev_b64 v[11:12], 3, v[11:12]
	s_delay_alu instid0(VALU_DEP_1) | instskip(NEXT) | instid1(VALU_DEP_2)
	v_add_co_u32 v11, vcc_lo, s16, v11
	v_add_co_ci_u32_e32 v12, vcc_lo, s17, v12, vcc_lo
	global_load_b64 v[11:12], v[11:12], off
	s_waitcnt vmcnt(0) lgkmcnt(4)
	v_cmp_ngt_f64_e32 vcc_lo, v[11:12], v[9:10]
	v_cndmask_b32_e64 v13, 0, 1, vcc_lo
.LBB418_73:
	s_or_b32 exec_lo, exec_lo, s0
	v_cmp_ne_u32_e32 vcc_lo, 1, v35
	s_waitcnt vmcnt(4) lgkmcnt(4)
	v_mov_b32_e32 v9, 0
	v_mov_b32_e32 v10, 0
	s_cbranch_vccnz .LBB418_77
; %bb.74:
	v_dual_mov_b32 v11, s18 :: v_dual_mov_b32 v12, s19
	s_mov_b32 s10, 0
	s_set_inst_prefetch_distance 0x1
	.p2align	6
.LBB418_75:                             ; =>This Inner Loop Header: Depth=1
	s_delay_alu instid0(VALU_DEP_1) | instskip(NEXT) | instid1(VALU_DEP_2)
	v_sub_co_u32 v20, vcc_lo, v11, v9
	v_sub_co_ci_u32_e32 v21, vcc_lo, v12, v10, vcc_lo
	s_delay_alu instid0(VALU_DEP_1) | instskip(SKIP_1) | instid1(VALU_DEP_2)
	v_lshrrev_b64 v[22:23], 1, v[20:21]
	v_lshrrev_b64 v[20:21], 6, v[20:21]
	v_add_co_u32 v14, vcc_lo, v22, v9
	s_delay_alu instid0(VALU_DEP_3) | instskip(NEXT) | instid1(VALU_DEP_2)
	v_add_co_ci_u32_e32 v16, vcc_lo, v23, v10, vcc_lo
	v_add_co_u32 v20, vcc_lo, v14, v20
	s_delay_alu instid0(VALU_DEP_2) | instskip(NEXT) | instid1(VALU_DEP_2)
	v_add_co_ci_u32_e32 v21, vcc_lo, v16, v21, vcc_lo
	v_add_co_u32 v14, s0, v20, 1
	s_delay_alu instid0(VALU_DEP_2) | instskip(SKIP_1) | instid1(VALU_DEP_2)
	v_lshlrev_b64 v[22:23], 3, v[20:21]
	v_add_co_ci_u32_e64 v16, s0, 0, v21, s0
	v_add_co_u32 v22, vcc_lo, s16, v22
	s_delay_alu instid0(VALU_DEP_3)
	v_add_co_ci_u32_e32 v23, vcc_lo, s17, v23, vcc_lo
	global_load_b64 v[22:23], v[22:23], off
	s_waitcnt vmcnt(0) lgkmcnt(3)
	v_cmp_lt_f64_e32 vcc_lo, v[22:23], v[7:8]
	v_dual_cndmask_b32 v12, v21, v12 :: v_dual_cndmask_b32 v11, v20, v11
	v_dual_cndmask_b32 v10, v10, v16 :: v_dual_cndmask_b32 v9, v9, v14
	s_delay_alu instid0(VALU_DEP_1) | instskip(SKIP_1) | instid1(SALU_CYCLE_1)
	v_cmp_ge_u64_e32 vcc_lo, v[9:10], v[11:12]
	s_or_b32 s10, vcc_lo, s10
	s_and_not1_b32 exec_lo, exec_lo, s10
	s_cbranch_execnz .LBB418_75
; %bb.76:
	s_set_inst_prefetch_distance 0x2
	s_or_b32 exec_lo, exec_lo, s10
.LBB418_77:
	v_mov_b32_e32 v11, 0
	s_mov_b32 s0, exec_lo
	s_delay_alu instid0(VALU_DEP_2)
	v_cmpx_ne_u64_e64 s[18:19], v[9:10]
	s_cbranch_execz .LBB418_79
; %bb.78:
	v_lshlrev_b64 v[9:10], 3, v[9:10]
	s_delay_alu instid0(VALU_DEP_1) | instskip(NEXT) | instid1(VALU_DEP_2)
	v_add_co_u32 v9, vcc_lo, s16, v9
	v_add_co_ci_u32_e32 v10, vcc_lo, s17, v10, vcc_lo
	global_load_b64 v[9:10], v[9:10], off
	s_waitcnt vmcnt(0) lgkmcnt(3)
	v_cmp_ngt_f64_e32 vcc_lo, v[9:10], v[7:8]
	v_cndmask_b32_e64 v11, 0, 1, vcc_lo
.LBB418_79:
	s_or_b32 exec_lo, exec_lo, s0
	v_cmp_ne_u32_e32 vcc_lo, 1, v35
	s_waitcnt vmcnt(3) lgkmcnt(3)
	v_mov_b32_e32 v7, 0
	v_mov_b32_e32 v8, 0
	s_cbranch_vccnz .LBB418_83
; %bb.80:
	v_dual_mov_b32 v9, s18 :: v_dual_mov_b32 v10, s19
	s_mov_b32 s10, 0
	s_set_inst_prefetch_distance 0x1
	.p2align	6
.LBB418_81:                             ; =>This Inner Loop Header: Depth=1
	s_delay_alu instid0(VALU_DEP_1) | instskip(NEXT) | instid1(VALU_DEP_2)
	v_sub_co_u32 v20, vcc_lo, v9, v7
	v_sub_co_ci_u32_e32 v21, vcc_lo, v10, v8, vcc_lo
	s_delay_alu instid0(VALU_DEP_1) | instskip(SKIP_1) | instid1(VALU_DEP_2)
	v_lshrrev_b64 v[22:23], 1, v[20:21]
	v_lshrrev_b64 v[20:21], 6, v[20:21]
	v_add_co_u32 v12, vcc_lo, v22, v7
	s_delay_alu instid0(VALU_DEP_3) | instskip(NEXT) | instid1(VALU_DEP_2)
	v_add_co_ci_u32_e32 v14, vcc_lo, v23, v8, vcc_lo
	v_add_co_u32 v20, vcc_lo, v12, v20
	s_delay_alu instid0(VALU_DEP_2) | instskip(NEXT) | instid1(VALU_DEP_2)
	v_add_co_ci_u32_e32 v21, vcc_lo, v14, v21, vcc_lo
	v_add_co_u32 v12, s0, v20, 1
	s_delay_alu instid0(VALU_DEP_2) | instskip(SKIP_1) | instid1(VALU_DEP_2)
	v_lshlrev_b64 v[22:23], 3, v[20:21]
	v_add_co_ci_u32_e64 v14, s0, 0, v21, s0
	v_add_co_u32 v22, vcc_lo, s16, v22
	s_delay_alu instid0(VALU_DEP_3)
	v_add_co_ci_u32_e32 v23, vcc_lo, s17, v23, vcc_lo
	global_load_b64 v[22:23], v[22:23], off
	s_waitcnt vmcnt(0) lgkmcnt(2)
	v_cmp_lt_f64_e32 vcc_lo, v[22:23], v[5:6]
	v_dual_cndmask_b32 v10, v21, v10 :: v_dual_cndmask_b32 v9, v20, v9
	v_dual_cndmask_b32 v8, v8, v14 :: v_dual_cndmask_b32 v7, v7, v12
	s_delay_alu instid0(VALU_DEP_1) | instskip(SKIP_1) | instid1(SALU_CYCLE_1)
	v_cmp_ge_u64_e32 vcc_lo, v[7:8], v[9:10]
	s_or_b32 s10, vcc_lo, s10
	s_and_not1_b32 exec_lo, exec_lo, s10
	s_cbranch_execnz .LBB418_81
; %bb.82:
	s_set_inst_prefetch_distance 0x2
	s_or_b32 exec_lo, exec_lo, s10
.LBB418_83:
	v_mov_b32_e32 v9, 0
	s_mov_b32 s0, exec_lo
	s_delay_alu instid0(VALU_DEP_2)
	v_cmpx_ne_u64_e64 s[18:19], v[7:8]
	s_cbranch_execz .LBB418_85
; %bb.84:
	v_lshlrev_b64 v[7:8], 3, v[7:8]
	s_delay_alu instid0(VALU_DEP_1) | instskip(NEXT) | instid1(VALU_DEP_2)
	v_add_co_u32 v7, vcc_lo, s16, v7
	v_add_co_ci_u32_e32 v8, vcc_lo, s17, v8, vcc_lo
	global_load_b64 v[7:8], v[7:8], off
	s_waitcnt vmcnt(0) lgkmcnt(2)
	v_cmp_ngt_f64_e32 vcc_lo, v[7:8], v[5:6]
	v_cndmask_b32_e64 v9, 0, 1, vcc_lo
.LBB418_85:
	s_or_b32 exec_lo, exec_lo, s0
	v_cmp_ne_u32_e32 vcc_lo, 1, v35
	s_waitcnt vmcnt(2) lgkmcnt(2)
	v_mov_b32_e32 v5, 0
	v_mov_b32_e32 v6, 0
	s_cbranch_vccnz .LBB418_89
; %bb.86:
	v_dual_mov_b32 v7, s18 :: v_dual_mov_b32 v8, s19
	s_mov_b32 s10, 0
	s_set_inst_prefetch_distance 0x1
	.p2align	6
.LBB418_87:                             ; =>This Inner Loop Header: Depth=1
	s_delay_alu instid0(VALU_DEP_1) | instskip(NEXT) | instid1(VALU_DEP_2)
	v_sub_co_u32 v20, vcc_lo, v7, v5
	v_sub_co_ci_u32_e32 v21, vcc_lo, v8, v6, vcc_lo
	s_delay_alu instid0(VALU_DEP_1) | instskip(SKIP_1) | instid1(VALU_DEP_2)
	v_lshrrev_b64 v[22:23], 1, v[20:21]
	v_lshrrev_b64 v[20:21], 6, v[20:21]
	v_add_co_u32 v10, vcc_lo, v22, v5
	s_delay_alu instid0(VALU_DEP_3) | instskip(NEXT) | instid1(VALU_DEP_2)
	v_add_co_ci_u32_e32 v12, vcc_lo, v23, v6, vcc_lo
	v_add_co_u32 v20, vcc_lo, v10, v20
	s_delay_alu instid0(VALU_DEP_2) | instskip(NEXT) | instid1(VALU_DEP_2)
	v_add_co_ci_u32_e32 v21, vcc_lo, v12, v21, vcc_lo
	v_add_co_u32 v10, s0, v20, 1
	s_delay_alu instid0(VALU_DEP_2) | instskip(SKIP_1) | instid1(VALU_DEP_2)
	v_lshlrev_b64 v[22:23], 3, v[20:21]
	v_add_co_ci_u32_e64 v12, s0, 0, v21, s0
	v_add_co_u32 v22, vcc_lo, s16, v22
	s_delay_alu instid0(VALU_DEP_3)
	v_add_co_ci_u32_e32 v23, vcc_lo, s17, v23, vcc_lo
	global_load_b64 v[22:23], v[22:23], off
	s_waitcnt vmcnt(0) lgkmcnt(1)
	v_cmp_lt_f64_e32 vcc_lo, v[22:23], v[3:4]
	v_dual_cndmask_b32 v8, v21, v8 :: v_dual_cndmask_b32 v7, v20, v7
	v_dual_cndmask_b32 v6, v6, v12 :: v_dual_cndmask_b32 v5, v5, v10
	s_delay_alu instid0(VALU_DEP_1) | instskip(SKIP_1) | instid1(SALU_CYCLE_1)
	v_cmp_ge_u64_e32 vcc_lo, v[5:6], v[7:8]
	s_or_b32 s10, vcc_lo, s10
	s_and_not1_b32 exec_lo, exec_lo, s10
	s_cbranch_execnz .LBB418_87
; %bb.88:
	s_set_inst_prefetch_distance 0x2
	s_or_b32 exec_lo, exec_lo, s10
.LBB418_89:
	v_mov_b32_e32 v7, 0
	s_mov_b32 s0, exec_lo
	s_delay_alu instid0(VALU_DEP_2)
	v_cmpx_ne_u64_e64 s[18:19], v[5:6]
	s_cbranch_execz .LBB418_91
; %bb.90:
	v_lshlrev_b64 v[5:6], 3, v[5:6]
	s_delay_alu instid0(VALU_DEP_1) | instskip(NEXT) | instid1(VALU_DEP_2)
	v_add_co_u32 v5, vcc_lo, s16, v5
	v_add_co_ci_u32_e32 v6, vcc_lo, s17, v6, vcc_lo
	global_load_b64 v[5:6], v[5:6], off
	s_waitcnt vmcnt(0) lgkmcnt(1)
	v_cmp_ngt_f64_e32 vcc_lo, v[5:6], v[3:4]
	v_cndmask_b32_e64 v7, 0, 1, vcc_lo
.LBB418_91:
	s_or_b32 exec_lo, exec_lo, s0
	v_cmp_ne_u32_e32 vcc_lo, 1, v35
	s_waitcnt vmcnt(1) lgkmcnt(1)
	v_mov_b32_e32 v3, 0
	v_mov_b32_e32 v4, 0
	s_cbranch_vccnz .LBB418_95
; %bb.92:
	v_dual_mov_b32 v5, s18 :: v_dual_mov_b32 v6, s19
	s_mov_b32 s10, 0
	s_set_inst_prefetch_distance 0x1
	.p2align	6
.LBB418_93:                             ; =>This Inner Loop Header: Depth=1
	s_delay_alu instid0(VALU_DEP_1) | instskip(NEXT) | instid1(VALU_DEP_2)
	v_sub_co_u32 v20, vcc_lo, v5, v3
	v_sub_co_ci_u32_e32 v21, vcc_lo, v6, v4, vcc_lo
	s_delay_alu instid0(VALU_DEP_1) | instskip(SKIP_1) | instid1(VALU_DEP_2)
	v_lshrrev_b64 v[22:23], 1, v[20:21]
	v_lshrrev_b64 v[20:21], 6, v[20:21]
	v_add_co_u32 v8, vcc_lo, v22, v3
	s_delay_alu instid0(VALU_DEP_3) | instskip(NEXT) | instid1(VALU_DEP_2)
	v_add_co_ci_u32_e32 v10, vcc_lo, v23, v4, vcc_lo
	v_add_co_u32 v20, vcc_lo, v8, v20
	s_delay_alu instid0(VALU_DEP_2) | instskip(NEXT) | instid1(VALU_DEP_2)
	v_add_co_ci_u32_e32 v21, vcc_lo, v10, v21, vcc_lo
	v_add_co_u32 v8, s0, v20, 1
	s_delay_alu instid0(VALU_DEP_2) | instskip(SKIP_1) | instid1(VALU_DEP_2)
	v_lshlrev_b64 v[22:23], 3, v[20:21]
	v_add_co_ci_u32_e64 v10, s0, 0, v21, s0
	v_add_co_u32 v22, vcc_lo, s16, v22
	s_delay_alu instid0(VALU_DEP_3)
	v_add_co_ci_u32_e32 v23, vcc_lo, s17, v23, vcc_lo
	global_load_b64 v[22:23], v[22:23], off
	s_waitcnt vmcnt(0) lgkmcnt(0)
	v_cmp_lt_f64_e32 vcc_lo, v[22:23], v[1:2]
	v_dual_cndmask_b32 v6, v21, v6 :: v_dual_cndmask_b32 v5, v20, v5
	v_dual_cndmask_b32 v4, v4, v10 :: v_dual_cndmask_b32 v3, v3, v8
	s_delay_alu instid0(VALU_DEP_1) | instskip(SKIP_1) | instid1(SALU_CYCLE_1)
	v_cmp_ge_u64_e32 vcc_lo, v[3:4], v[5:6]
	s_or_b32 s10, vcc_lo, s10
	s_and_not1_b32 exec_lo, exec_lo, s10
	s_cbranch_execnz .LBB418_93
; %bb.94:
	s_set_inst_prefetch_distance 0x2
	s_or_b32 exec_lo, exec_lo, s10
.LBB418_95:
	v_mov_b32_e32 v5, 0
	s_mov_b32 s0, exec_lo
	s_delay_alu instid0(VALU_DEP_2)
	v_cmpx_ne_u64_e64 s[18:19], v[3:4]
	s_cbranch_execz .LBB418_97
; %bb.96:
	v_lshlrev_b64 v[3:4], 3, v[3:4]
	s_delay_alu instid0(VALU_DEP_1) | instskip(NEXT) | instid1(VALU_DEP_2)
	v_add_co_u32 v3, vcc_lo, s16, v3
	v_add_co_ci_u32_e32 v4, vcc_lo, s17, v4, vcc_lo
	global_load_b64 v[3:4], v[3:4], off
	s_waitcnt vmcnt(0) lgkmcnt(0)
	v_cmp_ngt_f64_e32 vcc_lo, v[3:4], v[1:2]
	v_cndmask_b32_e64 v5, 0, 1, vcc_lo
.LBB418_97:
	s_or_b32 exec_lo, exec_lo, s0
	s_waitcnt vmcnt(0) lgkmcnt(0)
	v_lshlrev_b32_e32 v1, 2, v0
	v_cndmask_b32_e64 v8, 0, 1, s7
	v_cndmask_b32_e64 v10, 0, 1, s6
	s_lshl_b64 s[6:7], s[20:21], 2
	v_cndmask_b32_e64 v3, 0, 1, s2
	s_add_u32 s0, s22, s6
	s_addc_u32 s2, s23, s7
	v_add_co_u32 v1, s0, s0, v1
	s_delay_alu instid0(VALU_DEP_1)
	v_add_co_ci_u32_e64 v2, null, s2, 0, s0
	v_cndmask_b32_e64 v4, 0, 1, s3
	v_cndmask_b32_e64 v14, 0, 1, s4
	s_clause 0x2
	flat_store_b32 v[1:2], v3 offset:1024
	flat_store_b32 v[1:2], v4 offset:2048
	;; [unrolled: 1-line block ×3, first 2 shown]
	v_add_co_u32 v3, vcc_lo, 0x1000, v1
	v_add_co_ci_u32_e32 v4, vcc_lo, 0, v2, vcc_lo
	v_add_co_u32 v20, vcc_lo, 0x2000, v1
	v_add_co_ci_u32_e32 v21, vcc_lo, 0, v2, vcc_lo
	v_add_co_u32 v22, vcc_lo, 0x3000, v1
	v_cndmask_b32_e64 v12, 0, 1, s5
	v_cndmask_b32_e64 v16, 0, 1, s1
	v_add_co_ci_u32_e32 v23, vcc_lo, 0, v2, vcc_lo
	v_cndmask_b32_e64 v6, 0, 1, s9
	s_clause 0x9
	flat_store_b32 v[3:4], v12
	flat_store_b32 v[3:4], v10 offset:1024
	flat_store_b32 v[3:4], v8 offset:2048
	;; [unrolled: 1-line block ×3, first 2 shown]
	flat_store_b32 v[20:21], v19
	flat_store_b32 v[20:21], v17 offset:1024
	flat_store_b32 v[20:21], v15 offset:2048
	;; [unrolled: 1-line block ×3, first 2 shown]
	flat_store_b32 v[22:23], v11
	flat_store_b32 v[22:23], v9 offset:1024
	s_mov_b32 s24, -1
	s_clause 0x1
	flat_store_b32 v[1:2], v16
	flat_store_b32 v[22:23], v7 offset:2048
	s_branch .LBB418_276
.LBB418_98:
	s_mov_b32 s24, s21
                                        ; implicit-def: $vgpr5
                                        ; implicit-def: $vgpr1_vgpr2
	s_and_b32 vcc_lo, exec_lo, s0
	s_cbranch_vccz .LBB418_276
; %bb.99:
	s_sub_i32 s15, s8, s20
                                        ; implicit-def: $vgpr31_vgpr32
	s_delay_alu instid0(SALU_CYCLE_1) | instskip(NEXT) | instid1(VALU_DEP_1)
	v_cmp_gt_u32_e64 s0, s15, v0
	s_and_saveexec_b32 s1, s0
	s_cbranch_execz .LBB418_101
; %bb.100:
	v_lshlrev_b32_e32 v1, 3, v0
	s_delay_alu instid0(VALU_DEP_1) | instskip(NEXT) | instid1(VALU_DEP_1)
	v_add_co_u32 v1, s2, s25, v1
	v_add_co_ci_u32_e64 v2, null, s26, 0, s2
	flat_load_b64 v[31:32], v[1:2]
.LBB418_101:
	s_or_b32 exec_lo, exec_lo, s1
	v_or_b32_e32 v1, 0x100, v0
                                        ; implicit-def: $vgpr29_vgpr30
	s_delay_alu instid0(VALU_DEP_1) | instskip(NEXT) | instid1(VALU_DEP_1)
	v_cmp_gt_u32_e64 s1, s15, v1
	s_and_saveexec_b32 s2, s1
	s_cbranch_execz .LBB418_103
; %bb.102:
	v_lshlrev_b32_e32 v1, 3, v0
	s_delay_alu instid0(VALU_DEP_1) | instskip(NEXT) | instid1(VALU_DEP_1)
	v_add_co_u32 v1, s3, s25, v1
	v_add_co_ci_u32_e64 v2, null, s26, 0, s3
	flat_load_b64 v[29:30], v[1:2] offset:2048
.LBB418_103:
	s_or_b32 exec_lo, exec_lo, s2
	v_or_b32_e32 v1, 0x200, v0
                                        ; implicit-def: $vgpr27_vgpr28
	s_delay_alu instid0(VALU_DEP_1) | instskip(NEXT) | instid1(VALU_DEP_1)
	v_cmp_gt_u32_e64 s2, s15, v1
	s_and_saveexec_b32 s3, s2
	s_cbranch_execz .LBB418_105
; %bb.104:
	v_lshlrev_b32_e32 v1, 3, v1
	s_delay_alu instid0(VALU_DEP_1) | instskip(NEXT) | instid1(VALU_DEP_1)
	v_add_co_u32 v1, s4, s25, v1
	v_add_co_ci_u32_e64 v2, null, s26, 0, s4
	flat_load_b64 v[27:28], v[1:2]
.LBB418_105:
	s_or_b32 exec_lo, exec_lo, s3
	v_or_b32_e32 v1, 0x300, v0
                                        ; implicit-def: $vgpr25_vgpr26
	s_delay_alu instid0(VALU_DEP_1) | instskip(NEXT) | instid1(VALU_DEP_1)
	v_cmp_gt_u32_e64 s3, s15, v1
	s_and_saveexec_b32 s4, s3
	s_cbranch_execz .LBB418_107
; %bb.106:
	v_lshlrev_b32_e32 v1, 3, v1
	s_delay_alu instid0(VALU_DEP_1) | instskip(NEXT) | instid1(VALU_DEP_1)
	v_add_co_u32 v1, s5, s25, v1
	v_add_co_ci_u32_e64 v2, null, s26, 0, s5
	flat_load_b64 v[25:26], v[1:2]
.LBB418_107:
	s_or_b32 exec_lo, exec_lo, s4
	v_or_b32_e32 v1, 0x400, v0
                                        ; implicit-def: $vgpr23_vgpr24
	s_delay_alu instid0(VALU_DEP_1) | instskip(NEXT) | instid1(VALU_DEP_1)
	v_cmp_gt_u32_e64 s4, s15, v1
	s_and_saveexec_b32 s5, s4
	s_cbranch_execz .LBB418_109
; %bb.108:
	v_lshlrev_b32_e32 v1, 3, v1
	s_delay_alu instid0(VALU_DEP_1) | instskip(NEXT) | instid1(VALU_DEP_1)
	v_add_co_u32 v1, s6, s25, v1
	v_add_co_ci_u32_e64 v2, null, s26, 0, s6
	flat_load_b64 v[23:24], v[1:2]
.LBB418_109:
	s_or_b32 exec_lo, exec_lo, s5
	v_or_b32_e32 v1, 0x500, v0
                                        ; implicit-def: $vgpr21_vgpr22
	s_delay_alu instid0(VALU_DEP_1) | instskip(NEXT) | instid1(VALU_DEP_1)
	v_cmp_gt_u32_e64 s5, s15, v1
	s_and_saveexec_b32 s6, s5
	s_cbranch_execz .LBB418_111
; %bb.110:
	v_lshlrev_b32_e32 v1, 3, v1
	s_delay_alu instid0(VALU_DEP_1) | instskip(NEXT) | instid1(VALU_DEP_1)
	v_add_co_u32 v1, s7, s25, v1
	v_add_co_ci_u32_e64 v2, null, s26, 0, s7
	flat_load_b64 v[21:22], v[1:2]
.LBB418_111:
	s_or_b32 exec_lo, exec_lo, s6
	v_or_b32_e32 v1, 0x600, v0
                                        ; implicit-def: $vgpr19_vgpr20
	s_delay_alu instid0(VALU_DEP_1) | instskip(NEXT) | instid1(VALU_DEP_1)
	v_cmp_gt_u32_e64 s6, s15, v1
	s_and_saveexec_b32 s7, s6
	s_cbranch_execz .LBB418_113
; %bb.112:
	v_lshlrev_b32_e32 v1, 3, v1
	s_delay_alu instid0(VALU_DEP_1) | instskip(NEXT) | instid1(VALU_DEP_1)
	v_add_co_u32 v1, s8, s25, v1
	v_add_co_ci_u32_e64 v2, null, s26, 0, s8
	flat_load_b64 v[19:20], v[1:2]
.LBB418_113:
	s_or_b32 exec_lo, exec_lo, s7
	v_or_b32_e32 v1, 0x700, v0
                                        ; implicit-def: $vgpr17_vgpr18
	s_delay_alu instid0(VALU_DEP_1) | instskip(NEXT) | instid1(VALU_DEP_1)
	v_cmp_gt_u32_e64 s7, s15, v1
	s_and_saveexec_b32 s8, s7
	s_cbranch_execz .LBB418_115
; %bb.114:
	v_lshlrev_b32_e32 v1, 3, v1
	s_delay_alu instid0(VALU_DEP_1) | instskip(NEXT) | instid1(VALU_DEP_1)
	v_add_co_u32 v1, s9, s25, v1
	v_add_co_ci_u32_e64 v2, null, s26, 0, s9
	flat_load_b64 v[17:18], v[1:2]
.LBB418_115:
	s_or_b32 exec_lo, exec_lo, s8
	v_or_b32_e32 v1, 0x800, v0
                                        ; implicit-def: $vgpr15_vgpr16
	s_delay_alu instid0(VALU_DEP_1) | instskip(NEXT) | instid1(VALU_DEP_1)
	v_cmp_gt_u32_e64 s8, s15, v1
	s_and_saveexec_b32 s9, s8
	s_cbranch_execz .LBB418_117
; %bb.116:
	v_lshlrev_b32_e32 v1, 3, v1
	s_delay_alu instid0(VALU_DEP_1) | instskip(NEXT) | instid1(VALU_DEP_1)
	v_add_co_u32 v1, s10, s25, v1
	v_add_co_ci_u32_e64 v2, null, s26, 0, s10
	flat_load_b64 v[15:16], v[1:2]
.LBB418_117:
	s_or_b32 exec_lo, exec_lo, s9
	v_or_b32_e32 v1, 0x900, v0
                                        ; implicit-def: $vgpr13_vgpr14
	s_delay_alu instid0(VALU_DEP_1) | instskip(NEXT) | instid1(VALU_DEP_1)
	v_cmp_gt_u32_e64 s9, s15, v1
	s_and_saveexec_b32 s10, s9
	s_cbranch_execz .LBB418_119
; %bb.118:
	v_lshlrev_b32_e32 v1, 3, v1
	s_delay_alu instid0(VALU_DEP_1) | instskip(NEXT) | instid1(VALU_DEP_1)
	v_add_co_u32 v1, s11, s25, v1
	v_add_co_ci_u32_e64 v2, null, s26, 0, s11
	flat_load_b64 v[13:14], v[1:2]
.LBB418_119:
	s_or_b32 exec_lo, exec_lo, s10
	v_or_b32_e32 v1, 0xa00, v0
                                        ; implicit-def: $vgpr11_vgpr12
	s_delay_alu instid0(VALU_DEP_1) | instskip(NEXT) | instid1(VALU_DEP_1)
	v_cmp_gt_u32_e64 s10, s15, v1
	s_and_saveexec_b32 s11, s10
	s_cbranch_execz .LBB418_121
; %bb.120:
	v_lshlrev_b32_e32 v1, 3, v1
	s_delay_alu instid0(VALU_DEP_1) | instskip(NEXT) | instid1(VALU_DEP_1)
	v_add_co_u32 v1, s12, s25, v1
	v_add_co_ci_u32_e64 v2, null, s26, 0, s12
	flat_load_b64 v[11:12], v[1:2]
.LBB418_121:
	s_or_b32 exec_lo, exec_lo, s11
	v_or_b32_e32 v1, 0xb00, v0
                                        ; implicit-def: $vgpr9_vgpr10
	s_delay_alu instid0(VALU_DEP_1) | instskip(NEXT) | instid1(VALU_DEP_1)
	v_cmp_gt_u32_e64 s11, s15, v1
	s_and_saveexec_b32 s12, s11
	s_cbranch_execz .LBB418_123
; %bb.122:
	v_lshlrev_b32_e32 v1, 3, v1
	s_delay_alu instid0(VALU_DEP_1) | instskip(NEXT) | instid1(VALU_DEP_1)
	v_add_co_u32 v1, s13, s25, v1
	v_add_co_ci_u32_e64 v2, null, s26, 0, s13
	flat_load_b64 v[9:10], v[1:2]
.LBB418_123:
	s_or_b32 exec_lo, exec_lo, s12
	v_or_b32_e32 v1, 0xc00, v0
                                        ; implicit-def: $vgpr7_vgpr8
	s_delay_alu instid0(VALU_DEP_1) | instskip(NEXT) | instid1(VALU_DEP_1)
	v_cmp_gt_u32_e64 s12, s15, v1
	s_and_saveexec_b32 s13, s12
	s_cbranch_execz .LBB418_125
; %bb.124:
	v_lshlrev_b32_e32 v1, 3, v1
	s_delay_alu instid0(VALU_DEP_1) | instskip(NEXT) | instid1(VALU_DEP_1)
	v_add_co_u32 v1, s14, s25, v1
	v_add_co_ci_u32_e64 v2, null, s26, 0, s14
	flat_load_b64 v[7:8], v[1:2]
.LBB418_125:
	s_or_b32 exec_lo, exec_lo, s13
	v_or_b32_e32 v1, 0xd00, v0
                                        ; implicit-def: $vgpr5_vgpr6
	s_delay_alu instid0(VALU_DEP_1) | instskip(NEXT) | instid1(VALU_DEP_1)
	v_cmp_gt_u32_e64 s13, s15, v1
	s_and_saveexec_b32 s14, s13
	s_cbranch_execz .LBB418_127
; %bb.126:
	v_lshlrev_b32_e32 v1, 3, v1
	s_delay_alu instid0(VALU_DEP_1) | instskip(NEXT) | instid1(VALU_DEP_1)
	v_add_co_u32 v1, s24, s25, v1
	v_add_co_ci_u32_e64 v2, null, s26, 0, s24
	flat_load_b64 v[5:6], v[1:2]
.LBB418_127:
	s_or_b32 exec_lo, exec_lo, s14
	v_or_b32_e32 v1, 0xe00, v0
                                        ; implicit-def: $vgpr3_vgpr4
	s_delay_alu instid0(VALU_DEP_1) | instskip(NEXT) | instid1(VALU_DEP_1)
	v_cmp_gt_u32_e64 s14, s15, v1
	s_and_saveexec_b32 s24, s14
	s_cbranch_execz .LBB418_129
; %bb.128:
	v_lshlrev_b32_e32 v1, 3, v1
	s_delay_alu instid0(VALU_DEP_1) | instskip(NEXT) | instid1(VALU_DEP_1)
	v_add_co_u32 v1, s27, s25, v1
	v_add_co_ci_u32_e64 v2, null, s26, 0, s27
	flat_load_b64 v[3:4], v[1:2]
.LBB418_129:
	s_or_b32 exec_lo, exec_lo, s24
	v_or_b32_e32 v33, 0xf00, v0
                                        ; implicit-def: $vgpr1_vgpr2
	s_delay_alu instid0(VALU_DEP_1) | instskip(NEXT) | instid1(VALU_DEP_1)
	v_cmp_gt_u32_e64 s24, s15, v33
	s_and_saveexec_b32 s15, s24
	s_cbranch_execz .LBB418_131
; %bb.130:
	v_lshlrev_b32_e32 v1, 3, v33
	s_delay_alu instid0(VALU_DEP_1) | instskip(NEXT) | instid1(VALU_DEP_1)
	v_add_co_u32 v1, s25, s25, v1
	v_add_co_ci_u32_e64 v2, null, s26, 0, s25
	flat_load_b64 v[1:2], v[1:2]
.LBB418_131:
	s_or_b32 exec_lo, exec_lo, s15
	s_cmp_lg_u64 s[18:19], 0
                                        ; implicit-def: $vgpr35
	s_cselect_b32 s25, -1, 0
	s_and_saveexec_b32 s26, s0
	s_cbranch_execnz .LBB418_147
; %bb.132:
	s_or_b32 exec_lo, exec_lo, s26
                                        ; implicit-def: $vgpr33
	s_and_saveexec_b32 s26, s1
	s_cbranch_execnz .LBB418_154
.LBB418_133:
	s_or_b32 exec_lo, exec_lo, s26
                                        ; implicit-def: $vgpr31
	s_and_saveexec_b32 s26, s2
	s_cbranch_execnz .LBB418_161
.LBB418_134:
	s_or_b32 exec_lo, exec_lo, s26
                                        ; implicit-def: $vgpr29
	s_and_saveexec_b32 s26, s3
	s_cbranch_execnz .LBB418_168
.LBB418_135:
	s_or_b32 exec_lo, exec_lo, s26
                                        ; implicit-def: $vgpr27
	s_and_saveexec_b32 s26, s4
	s_cbranch_execnz .LBB418_175
.LBB418_136:
	s_or_b32 exec_lo, exec_lo, s26
                                        ; implicit-def: $vgpr25
	s_and_saveexec_b32 s26, s5
	s_cbranch_execnz .LBB418_182
.LBB418_137:
	s_or_b32 exec_lo, exec_lo, s26
                                        ; implicit-def: $vgpr23
	s_and_saveexec_b32 s26, s6
	s_cbranch_execnz .LBB418_189
.LBB418_138:
	s_or_b32 exec_lo, exec_lo, s26
                                        ; implicit-def: $vgpr21
	s_and_saveexec_b32 s26, s7
	s_cbranch_execnz .LBB418_196
.LBB418_139:
	s_or_b32 exec_lo, exec_lo, s26
                                        ; implicit-def: $vgpr19
	s_and_saveexec_b32 s26, s8
	s_cbranch_execnz .LBB418_203
.LBB418_140:
	s_or_b32 exec_lo, exec_lo, s26
                                        ; implicit-def: $vgpr17
	s_and_saveexec_b32 s26, s9
	s_cbranch_execnz .LBB418_210
.LBB418_141:
	s_or_b32 exec_lo, exec_lo, s26
                                        ; implicit-def: $vgpr15
	s_and_saveexec_b32 s26, s10
	s_cbranch_execnz .LBB418_217
.LBB418_142:
	s_or_b32 exec_lo, exec_lo, s26
                                        ; implicit-def: $vgpr13
	s_and_saveexec_b32 s26, s11
	s_cbranch_execnz .LBB418_224
.LBB418_143:
	s_or_b32 exec_lo, exec_lo, s26
                                        ; implicit-def: $vgpr11
	s_and_saveexec_b32 s26, s12
	s_cbranch_execnz .LBB418_231
.LBB418_144:
	s_or_b32 exec_lo, exec_lo, s26
                                        ; implicit-def: $vgpr9
	s_and_saveexec_b32 s26, s13
	s_cbranch_execnz .LBB418_238
.LBB418_145:
	s_or_b32 exec_lo, exec_lo, s26
                                        ; implicit-def: $vgpr7
	s_and_saveexec_b32 s26, s14
	s_cbranch_execnz .LBB418_245
.LBB418_146:
	s_or_b32 exec_lo, exec_lo, s26
                                        ; implicit-def: $vgpr5
	s_and_saveexec_b32 s26, s24
	s_cbranch_execnz .LBB418_252
	s_branch .LBB418_259
.LBB418_147:
	v_mov_b32_e32 v33, 0
	v_mov_b32_e32 v34, 0
	s_and_not1_b32 vcc_lo, exec_lo, s25
	s_cbranch_vccnz .LBB418_151
; %bb.148:
	v_dual_mov_b32 v36, s19 :: v_dual_mov_b32 v35, s18
	s_mov_b32 s27, 0
	s_set_inst_prefetch_distance 0x1
	.p2align	6
.LBB418_149:                            ; =>This Inner Loop Header: Depth=1
	s_delay_alu instid0(VALU_DEP_1) | instskip(NEXT) | instid1(VALU_DEP_2)
	v_sub_co_u32 v37, vcc_lo, v35, v33
	v_sub_co_ci_u32_e32 v38, vcc_lo, v36, v34, vcc_lo
	s_delay_alu instid0(VALU_DEP_1) | instskip(SKIP_1) | instid1(VALU_DEP_2)
	v_lshrrev_b64 v[39:40], 1, v[37:38]
	v_lshrrev_b64 v[37:38], 6, v[37:38]
	v_add_co_u32 v39, vcc_lo, v39, v33
	s_delay_alu instid0(VALU_DEP_3) | instskip(NEXT) | instid1(VALU_DEP_2)
	v_add_co_ci_u32_e32 v40, vcc_lo, v40, v34, vcc_lo
	v_add_co_u32 v37, vcc_lo, v39, v37
	s_delay_alu instid0(VALU_DEP_2) | instskip(NEXT) | instid1(VALU_DEP_1)
	v_add_co_ci_u32_e32 v38, vcc_lo, v40, v38, vcc_lo
	v_lshlrev_b64 v[39:40], 3, v[37:38]
	s_delay_alu instid0(VALU_DEP_1) | instskip(NEXT) | instid1(VALU_DEP_2)
	v_add_co_u32 v39, vcc_lo, s16, v39
	v_add_co_ci_u32_e32 v40, vcc_lo, s17, v40, vcc_lo
	global_load_b64 v[39:40], v[39:40], off
	s_waitcnt vmcnt(0) lgkmcnt(0)
	v_cmp_lt_f64_e32 vcc_lo, v[39:40], v[31:32]
	v_add_co_u32 v39, s15, v37, 1
	s_delay_alu instid0(VALU_DEP_1) | instskip(SKIP_1) | instid1(VALU_DEP_2)
	v_add_co_ci_u32_e64 v40, s15, 0, v38, s15
	v_dual_cndmask_b32 v36, v38, v36 :: v_dual_cndmask_b32 v35, v37, v35
	v_dual_cndmask_b32 v34, v34, v40 :: v_dual_cndmask_b32 v33, v33, v39
	s_delay_alu instid0(VALU_DEP_1) | instskip(SKIP_1) | instid1(SALU_CYCLE_1)
	v_cmp_ge_u64_e32 vcc_lo, v[33:34], v[35:36]
	s_or_b32 s27, vcc_lo, s27
	s_and_not1_b32 exec_lo, exec_lo, s27
	s_cbranch_execnz .LBB418_149
; %bb.150:
	s_set_inst_prefetch_distance 0x2
	s_or_b32 exec_lo, exec_lo, s27
.LBB418_151:
	s_mov_b32 s27, 0
	s_mov_b32 s15, exec_lo
	v_cmpx_ne_u64_e64 s[18:19], v[33:34]
	s_cbranch_execz .LBB418_153
; %bb.152:
	v_lshlrev_b64 v[33:34], 3, v[33:34]
	s_delay_alu instid0(VALU_DEP_1) | instskip(NEXT) | instid1(VALU_DEP_2)
	v_add_co_u32 v33, vcc_lo, s16, v33
	v_add_co_ci_u32_e32 v34, vcc_lo, s17, v34, vcc_lo
	global_load_b64 v[33:34], v[33:34], off
	s_waitcnt vmcnt(0) lgkmcnt(0)
	v_cmp_ngt_f64_e32 vcc_lo, v[33:34], v[31:32]
	s_and_b32 s27, vcc_lo, exec_lo
.LBB418_153:
	s_or_b32 exec_lo, exec_lo, s15
	v_cndmask_b32_e64 v35, 0, 1, s27
	s_or_b32 exec_lo, exec_lo, s26
                                        ; implicit-def: $vgpr33
	s_and_saveexec_b32 s26, s1
	s_cbranch_execz .LBB418_133
.LBB418_154:
	s_waitcnt vmcnt(0) lgkmcnt(0)
	v_mov_b32_e32 v31, 0
	v_mov_b32_e32 v32, 0
	s_and_not1_b32 vcc_lo, exec_lo, s25
	s_cbranch_vccnz .LBB418_158
; %bb.155:
	v_dual_mov_b32 v34, s19 :: v_dual_mov_b32 v33, s18
	s_mov_b32 s27, 0
	s_set_inst_prefetch_distance 0x1
	.p2align	6
.LBB418_156:                            ; =>This Inner Loop Header: Depth=1
	s_delay_alu instid0(VALU_DEP_1) | instskip(NEXT) | instid1(VALU_DEP_2)
	v_sub_co_u32 v36, vcc_lo, v33, v31
	v_sub_co_ci_u32_e32 v37, vcc_lo, v34, v32, vcc_lo
	s_delay_alu instid0(VALU_DEP_1) | instskip(SKIP_1) | instid1(VALU_DEP_2)
	v_lshrrev_b64 v[38:39], 1, v[36:37]
	v_lshrrev_b64 v[36:37], 6, v[36:37]
	v_add_co_u32 v38, vcc_lo, v38, v31
	s_delay_alu instid0(VALU_DEP_3) | instskip(NEXT) | instid1(VALU_DEP_2)
	v_add_co_ci_u32_e32 v39, vcc_lo, v39, v32, vcc_lo
	v_add_co_u32 v36, vcc_lo, v38, v36
	s_delay_alu instid0(VALU_DEP_2) | instskip(NEXT) | instid1(VALU_DEP_1)
	v_add_co_ci_u32_e32 v37, vcc_lo, v39, v37, vcc_lo
	v_lshlrev_b64 v[38:39], 3, v[36:37]
	s_delay_alu instid0(VALU_DEP_1) | instskip(NEXT) | instid1(VALU_DEP_2)
	v_add_co_u32 v38, vcc_lo, s16, v38
	v_add_co_ci_u32_e32 v39, vcc_lo, s17, v39, vcc_lo
	global_load_b64 v[38:39], v[38:39], off
	s_waitcnt vmcnt(0)
	v_cmp_lt_f64_e32 vcc_lo, v[38:39], v[29:30]
	v_add_co_u32 v38, s15, v36, 1
	s_delay_alu instid0(VALU_DEP_1) | instskip(SKIP_1) | instid1(VALU_DEP_2)
	v_add_co_ci_u32_e64 v39, s15, 0, v37, s15
	v_dual_cndmask_b32 v34, v37, v34 :: v_dual_cndmask_b32 v33, v36, v33
	v_dual_cndmask_b32 v32, v32, v39 :: v_dual_cndmask_b32 v31, v31, v38
	s_delay_alu instid0(VALU_DEP_1) | instskip(SKIP_1) | instid1(SALU_CYCLE_1)
	v_cmp_ge_u64_e32 vcc_lo, v[31:32], v[33:34]
	s_or_b32 s27, vcc_lo, s27
	s_and_not1_b32 exec_lo, exec_lo, s27
	s_cbranch_execnz .LBB418_156
; %bb.157:
	s_set_inst_prefetch_distance 0x2
	s_or_b32 exec_lo, exec_lo, s27
.LBB418_158:
	s_mov_b32 s27, 0
	s_mov_b32 s15, exec_lo
	v_cmpx_ne_u64_e64 s[18:19], v[31:32]
	s_cbranch_execz .LBB418_160
; %bb.159:
	v_lshlrev_b64 v[31:32], 3, v[31:32]
	s_delay_alu instid0(VALU_DEP_1) | instskip(NEXT) | instid1(VALU_DEP_2)
	v_add_co_u32 v31, vcc_lo, s16, v31
	v_add_co_ci_u32_e32 v32, vcc_lo, s17, v32, vcc_lo
	global_load_b64 v[31:32], v[31:32], off
	s_waitcnt vmcnt(0)
	v_cmp_ngt_f64_e32 vcc_lo, v[31:32], v[29:30]
	s_and_b32 s27, vcc_lo, exec_lo
.LBB418_160:
	s_or_b32 exec_lo, exec_lo, s15
	v_cndmask_b32_e64 v33, 0, 1, s27
	s_or_b32 exec_lo, exec_lo, s26
                                        ; implicit-def: $vgpr31
	s_and_saveexec_b32 s26, s2
	s_cbranch_execz .LBB418_134
.LBB418_161:
	s_waitcnt vmcnt(0) lgkmcnt(0)
	v_mov_b32_e32 v29, 0
	v_mov_b32_e32 v30, 0
	s_and_not1_b32 vcc_lo, exec_lo, s25
	s_cbranch_vccnz .LBB418_165
; %bb.162:
	v_dual_mov_b32 v32, s19 :: v_dual_mov_b32 v31, s18
	s_mov_b32 s27, 0
	s_set_inst_prefetch_distance 0x1
	.p2align	6
.LBB418_163:                            ; =>This Inner Loop Header: Depth=1
	s_delay_alu instid0(VALU_DEP_1) | instskip(NEXT) | instid1(VALU_DEP_2)
	v_sub_co_u32 v36, vcc_lo, v31, v29
	v_sub_co_ci_u32_e32 v37, vcc_lo, v32, v30, vcc_lo
	s_delay_alu instid0(VALU_DEP_1) | instskip(SKIP_1) | instid1(VALU_DEP_2)
	v_lshrrev_b64 v[38:39], 1, v[36:37]
	v_lshrrev_b64 v[36:37], 6, v[36:37]
	v_add_co_u32 v34, vcc_lo, v38, v29
	s_delay_alu instid0(VALU_DEP_3) | instskip(NEXT) | instid1(VALU_DEP_2)
	v_add_co_ci_u32_e32 v38, vcc_lo, v39, v30, vcc_lo
	v_add_co_u32 v36, vcc_lo, v34, v36
	s_delay_alu instid0(VALU_DEP_2) | instskip(NEXT) | instid1(VALU_DEP_2)
	v_add_co_ci_u32_e32 v37, vcc_lo, v38, v37, vcc_lo
	v_add_co_u32 v34, s15, v36, 1
	s_delay_alu instid0(VALU_DEP_2) | instskip(NEXT) | instid1(VALU_DEP_1)
	v_lshlrev_b64 v[38:39], 3, v[36:37]
	v_add_co_u32 v38, vcc_lo, s16, v38
	s_delay_alu instid0(VALU_DEP_2)
	v_add_co_ci_u32_e32 v39, vcc_lo, s17, v39, vcc_lo
	global_load_b64 v[38:39], v[38:39], off
	s_waitcnt vmcnt(0)
	v_cmp_lt_f64_e32 vcc_lo, v[38:39], v[27:28]
	v_add_co_ci_u32_e64 v38, s15, 0, v37, s15
	v_dual_cndmask_b32 v32, v37, v32 :: v_dual_cndmask_b32 v31, v36, v31
	s_delay_alu instid0(VALU_DEP_2) | instskip(SKIP_1) | instid1(VALU_DEP_1)
	v_cndmask_b32_e32 v30, v30, v38, vcc_lo
	v_cndmask_b32_e32 v29, v29, v34, vcc_lo
	v_cmp_ge_u64_e32 vcc_lo, v[29:30], v[31:32]
	s_or_b32 s27, vcc_lo, s27
	s_delay_alu instid0(SALU_CYCLE_1)
	s_and_not1_b32 exec_lo, exec_lo, s27
	s_cbranch_execnz .LBB418_163
; %bb.164:
	s_set_inst_prefetch_distance 0x2
	s_or_b32 exec_lo, exec_lo, s27
.LBB418_165:
	s_mov_b32 s27, 0
	s_mov_b32 s15, exec_lo
	v_cmpx_ne_u64_e64 s[18:19], v[29:30]
	s_cbranch_execz .LBB418_167
; %bb.166:
	v_lshlrev_b64 v[29:30], 3, v[29:30]
	s_delay_alu instid0(VALU_DEP_1) | instskip(NEXT) | instid1(VALU_DEP_2)
	v_add_co_u32 v29, vcc_lo, s16, v29
	v_add_co_ci_u32_e32 v30, vcc_lo, s17, v30, vcc_lo
	global_load_b64 v[29:30], v[29:30], off
	s_waitcnt vmcnt(0)
	v_cmp_ngt_f64_e32 vcc_lo, v[29:30], v[27:28]
	s_and_b32 s27, vcc_lo, exec_lo
.LBB418_167:
	s_or_b32 exec_lo, exec_lo, s15
	v_cndmask_b32_e64 v31, 0, 1, s27
	s_or_b32 exec_lo, exec_lo, s26
                                        ; implicit-def: $vgpr29
	s_and_saveexec_b32 s26, s3
	s_cbranch_execz .LBB418_135
.LBB418_168:
	s_waitcnt vmcnt(0) lgkmcnt(0)
	v_mov_b32_e32 v27, 0
	v_mov_b32_e32 v28, 0
	s_and_not1_b32 vcc_lo, exec_lo, s25
	s_cbranch_vccnz .LBB418_172
; %bb.169:
	v_dual_mov_b32 v30, s19 :: v_dual_mov_b32 v29, s18
	s_mov_b32 s27, 0
	s_set_inst_prefetch_distance 0x1
	.p2align	6
.LBB418_170:                            ; =>This Inner Loop Header: Depth=1
	s_delay_alu instid0(VALU_DEP_1) | instskip(NEXT) | instid1(VALU_DEP_2)
	v_sub_co_u32 v36, vcc_lo, v29, v27
	v_sub_co_ci_u32_e32 v37, vcc_lo, v30, v28, vcc_lo
	s_delay_alu instid0(VALU_DEP_1) | instskip(SKIP_1) | instid1(VALU_DEP_2)
	v_lshrrev_b64 v[38:39], 1, v[36:37]
	v_lshrrev_b64 v[36:37], 6, v[36:37]
	v_add_co_u32 v32, vcc_lo, v38, v27
	s_delay_alu instid0(VALU_DEP_3) | instskip(NEXT) | instid1(VALU_DEP_2)
	v_add_co_ci_u32_e32 v34, vcc_lo, v39, v28, vcc_lo
	v_add_co_u32 v36, vcc_lo, v32, v36
	s_delay_alu instid0(VALU_DEP_2) | instskip(NEXT) | instid1(VALU_DEP_2)
	v_add_co_ci_u32_e32 v37, vcc_lo, v34, v37, vcc_lo
	v_add_co_u32 v32, s15, v36, 1
	s_delay_alu instid0(VALU_DEP_2) | instskip(SKIP_1) | instid1(VALU_DEP_2)
	v_lshlrev_b64 v[38:39], 3, v[36:37]
	v_add_co_ci_u32_e64 v34, s15, 0, v37, s15
	v_add_co_u32 v38, vcc_lo, s16, v38
	s_delay_alu instid0(VALU_DEP_3)
	v_add_co_ci_u32_e32 v39, vcc_lo, s17, v39, vcc_lo
	global_load_b64 v[38:39], v[38:39], off
	s_waitcnt vmcnt(0)
	v_cmp_lt_f64_e32 vcc_lo, v[38:39], v[25:26]
	v_dual_cndmask_b32 v30, v37, v30 :: v_dual_cndmask_b32 v29, v36, v29
	v_dual_cndmask_b32 v28, v28, v34 :: v_dual_cndmask_b32 v27, v27, v32
	s_delay_alu instid0(VALU_DEP_1) | instskip(SKIP_1) | instid1(SALU_CYCLE_1)
	v_cmp_ge_u64_e32 vcc_lo, v[27:28], v[29:30]
	s_or_b32 s27, vcc_lo, s27
	s_and_not1_b32 exec_lo, exec_lo, s27
	s_cbranch_execnz .LBB418_170
; %bb.171:
	s_set_inst_prefetch_distance 0x2
	s_or_b32 exec_lo, exec_lo, s27
.LBB418_172:
	s_mov_b32 s27, 0
	s_mov_b32 s15, exec_lo
	v_cmpx_ne_u64_e64 s[18:19], v[27:28]
	s_cbranch_execz .LBB418_174
; %bb.173:
	v_lshlrev_b64 v[27:28], 3, v[27:28]
	s_delay_alu instid0(VALU_DEP_1) | instskip(NEXT) | instid1(VALU_DEP_2)
	v_add_co_u32 v27, vcc_lo, s16, v27
	v_add_co_ci_u32_e32 v28, vcc_lo, s17, v28, vcc_lo
	global_load_b64 v[27:28], v[27:28], off
	s_waitcnt vmcnt(0)
	v_cmp_ngt_f64_e32 vcc_lo, v[27:28], v[25:26]
	s_and_b32 s27, vcc_lo, exec_lo
.LBB418_174:
	s_or_b32 exec_lo, exec_lo, s15
	v_cndmask_b32_e64 v29, 0, 1, s27
	s_or_b32 exec_lo, exec_lo, s26
                                        ; implicit-def: $vgpr27
	s_and_saveexec_b32 s26, s4
	s_cbranch_execz .LBB418_136
.LBB418_175:
	s_waitcnt vmcnt(0) lgkmcnt(0)
	v_mov_b32_e32 v25, 0
	v_mov_b32_e32 v26, 0
	s_and_not1_b32 vcc_lo, exec_lo, s25
	s_cbranch_vccnz .LBB418_179
; %bb.176:
	v_dual_mov_b32 v28, s19 :: v_dual_mov_b32 v27, s18
	s_mov_b32 s27, 0
	s_set_inst_prefetch_distance 0x1
	.p2align	6
.LBB418_177:                            ; =>This Inner Loop Header: Depth=1
	s_delay_alu instid0(VALU_DEP_1) | instskip(NEXT) | instid1(VALU_DEP_2)
	v_sub_co_u32 v36, vcc_lo, v27, v25
	v_sub_co_ci_u32_e32 v37, vcc_lo, v28, v26, vcc_lo
	s_delay_alu instid0(VALU_DEP_1) | instskip(SKIP_1) | instid1(VALU_DEP_2)
	v_lshrrev_b64 v[38:39], 1, v[36:37]
	v_lshrrev_b64 v[36:37], 6, v[36:37]
	v_add_co_u32 v30, vcc_lo, v38, v25
	s_delay_alu instid0(VALU_DEP_3) | instskip(NEXT) | instid1(VALU_DEP_2)
	v_add_co_ci_u32_e32 v32, vcc_lo, v39, v26, vcc_lo
	v_add_co_u32 v36, vcc_lo, v30, v36
	s_delay_alu instid0(VALU_DEP_2) | instskip(NEXT) | instid1(VALU_DEP_2)
	v_add_co_ci_u32_e32 v37, vcc_lo, v32, v37, vcc_lo
	v_add_co_u32 v30, s15, v36, 1
	s_delay_alu instid0(VALU_DEP_2) | instskip(SKIP_1) | instid1(VALU_DEP_2)
	v_lshlrev_b64 v[38:39], 3, v[36:37]
	v_add_co_ci_u32_e64 v32, s15, 0, v37, s15
	v_add_co_u32 v38, vcc_lo, s16, v38
	s_delay_alu instid0(VALU_DEP_3)
	v_add_co_ci_u32_e32 v39, vcc_lo, s17, v39, vcc_lo
	global_load_b64 v[38:39], v[38:39], off
	s_waitcnt vmcnt(0)
	v_cmp_lt_f64_e32 vcc_lo, v[38:39], v[23:24]
	v_dual_cndmask_b32 v28, v37, v28 :: v_dual_cndmask_b32 v27, v36, v27
	v_dual_cndmask_b32 v26, v26, v32 :: v_dual_cndmask_b32 v25, v25, v30
	s_delay_alu instid0(VALU_DEP_1) | instskip(SKIP_1) | instid1(SALU_CYCLE_1)
	v_cmp_ge_u64_e32 vcc_lo, v[25:26], v[27:28]
	s_or_b32 s27, vcc_lo, s27
	s_and_not1_b32 exec_lo, exec_lo, s27
	s_cbranch_execnz .LBB418_177
; %bb.178:
	s_set_inst_prefetch_distance 0x2
	s_or_b32 exec_lo, exec_lo, s27
.LBB418_179:
	s_mov_b32 s27, 0
	s_mov_b32 s15, exec_lo
	v_cmpx_ne_u64_e64 s[18:19], v[25:26]
	s_cbranch_execz .LBB418_181
; %bb.180:
	v_lshlrev_b64 v[25:26], 3, v[25:26]
	s_delay_alu instid0(VALU_DEP_1) | instskip(NEXT) | instid1(VALU_DEP_2)
	v_add_co_u32 v25, vcc_lo, s16, v25
	v_add_co_ci_u32_e32 v26, vcc_lo, s17, v26, vcc_lo
	global_load_b64 v[25:26], v[25:26], off
	s_waitcnt vmcnt(0)
	v_cmp_ngt_f64_e32 vcc_lo, v[25:26], v[23:24]
	s_and_b32 s27, vcc_lo, exec_lo
.LBB418_181:
	s_or_b32 exec_lo, exec_lo, s15
	v_cndmask_b32_e64 v27, 0, 1, s27
	s_or_b32 exec_lo, exec_lo, s26
                                        ; implicit-def: $vgpr25
	s_and_saveexec_b32 s26, s5
	s_cbranch_execz .LBB418_137
.LBB418_182:
	s_waitcnt vmcnt(0) lgkmcnt(0)
	v_mov_b32_e32 v23, 0
	v_mov_b32_e32 v24, 0
	s_and_not1_b32 vcc_lo, exec_lo, s25
	s_cbranch_vccnz .LBB418_186
; %bb.183:
	v_dual_mov_b32 v26, s19 :: v_dual_mov_b32 v25, s18
	s_mov_b32 s27, 0
	s_set_inst_prefetch_distance 0x1
	.p2align	6
.LBB418_184:                            ; =>This Inner Loop Header: Depth=1
	s_delay_alu instid0(VALU_DEP_1) | instskip(NEXT) | instid1(VALU_DEP_2)
	v_sub_co_u32 v36, vcc_lo, v25, v23
	v_sub_co_ci_u32_e32 v37, vcc_lo, v26, v24, vcc_lo
	s_delay_alu instid0(VALU_DEP_1) | instskip(SKIP_1) | instid1(VALU_DEP_2)
	v_lshrrev_b64 v[38:39], 1, v[36:37]
	v_lshrrev_b64 v[36:37], 6, v[36:37]
	v_add_co_u32 v28, vcc_lo, v38, v23
	s_delay_alu instid0(VALU_DEP_3) | instskip(NEXT) | instid1(VALU_DEP_2)
	v_add_co_ci_u32_e32 v30, vcc_lo, v39, v24, vcc_lo
	v_add_co_u32 v36, vcc_lo, v28, v36
	s_delay_alu instid0(VALU_DEP_2) | instskip(NEXT) | instid1(VALU_DEP_2)
	v_add_co_ci_u32_e32 v37, vcc_lo, v30, v37, vcc_lo
	v_add_co_u32 v28, s15, v36, 1
	s_delay_alu instid0(VALU_DEP_2) | instskip(SKIP_1) | instid1(VALU_DEP_2)
	v_lshlrev_b64 v[38:39], 3, v[36:37]
	v_add_co_ci_u32_e64 v30, s15, 0, v37, s15
	v_add_co_u32 v38, vcc_lo, s16, v38
	s_delay_alu instid0(VALU_DEP_3)
	v_add_co_ci_u32_e32 v39, vcc_lo, s17, v39, vcc_lo
	global_load_b64 v[38:39], v[38:39], off
	s_waitcnt vmcnt(0)
	v_cmp_lt_f64_e32 vcc_lo, v[38:39], v[21:22]
	v_dual_cndmask_b32 v26, v37, v26 :: v_dual_cndmask_b32 v25, v36, v25
	v_dual_cndmask_b32 v24, v24, v30 :: v_dual_cndmask_b32 v23, v23, v28
	s_delay_alu instid0(VALU_DEP_1) | instskip(SKIP_1) | instid1(SALU_CYCLE_1)
	v_cmp_ge_u64_e32 vcc_lo, v[23:24], v[25:26]
	s_or_b32 s27, vcc_lo, s27
	s_and_not1_b32 exec_lo, exec_lo, s27
	s_cbranch_execnz .LBB418_184
; %bb.185:
	s_set_inst_prefetch_distance 0x2
	s_or_b32 exec_lo, exec_lo, s27
.LBB418_186:
	s_mov_b32 s27, 0
	s_mov_b32 s15, exec_lo
	v_cmpx_ne_u64_e64 s[18:19], v[23:24]
	s_cbranch_execz .LBB418_188
; %bb.187:
	v_lshlrev_b64 v[23:24], 3, v[23:24]
	s_delay_alu instid0(VALU_DEP_1) | instskip(NEXT) | instid1(VALU_DEP_2)
	v_add_co_u32 v23, vcc_lo, s16, v23
	v_add_co_ci_u32_e32 v24, vcc_lo, s17, v24, vcc_lo
	global_load_b64 v[23:24], v[23:24], off
	s_waitcnt vmcnt(0)
	v_cmp_ngt_f64_e32 vcc_lo, v[23:24], v[21:22]
	s_and_b32 s27, vcc_lo, exec_lo
.LBB418_188:
	s_or_b32 exec_lo, exec_lo, s15
	v_cndmask_b32_e64 v25, 0, 1, s27
	s_or_b32 exec_lo, exec_lo, s26
                                        ; implicit-def: $vgpr23
	s_and_saveexec_b32 s26, s6
	s_cbranch_execz .LBB418_138
.LBB418_189:
	s_waitcnt vmcnt(0) lgkmcnt(0)
	v_mov_b32_e32 v21, 0
	v_mov_b32_e32 v22, 0
	s_and_not1_b32 vcc_lo, exec_lo, s25
	s_cbranch_vccnz .LBB418_193
; %bb.190:
	v_dual_mov_b32 v24, s19 :: v_dual_mov_b32 v23, s18
	s_mov_b32 s27, 0
	s_set_inst_prefetch_distance 0x1
	.p2align	6
.LBB418_191:                            ; =>This Inner Loop Header: Depth=1
	s_delay_alu instid0(VALU_DEP_1) | instskip(NEXT) | instid1(VALU_DEP_2)
	v_sub_co_u32 v36, vcc_lo, v23, v21
	v_sub_co_ci_u32_e32 v37, vcc_lo, v24, v22, vcc_lo
	s_delay_alu instid0(VALU_DEP_1) | instskip(SKIP_1) | instid1(VALU_DEP_2)
	v_lshrrev_b64 v[38:39], 1, v[36:37]
	v_lshrrev_b64 v[36:37], 6, v[36:37]
	v_add_co_u32 v26, vcc_lo, v38, v21
	s_delay_alu instid0(VALU_DEP_3) | instskip(NEXT) | instid1(VALU_DEP_2)
	v_add_co_ci_u32_e32 v28, vcc_lo, v39, v22, vcc_lo
	v_add_co_u32 v36, vcc_lo, v26, v36
	s_delay_alu instid0(VALU_DEP_2) | instskip(NEXT) | instid1(VALU_DEP_2)
	v_add_co_ci_u32_e32 v37, vcc_lo, v28, v37, vcc_lo
	v_add_co_u32 v26, s15, v36, 1
	s_delay_alu instid0(VALU_DEP_2) | instskip(SKIP_1) | instid1(VALU_DEP_2)
	v_lshlrev_b64 v[38:39], 3, v[36:37]
	v_add_co_ci_u32_e64 v28, s15, 0, v37, s15
	v_add_co_u32 v38, vcc_lo, s16, v38
	s_delay_alu instid0(VALU_DEP_3)
	v_add_co_ci_u32_e32 v39, vcc_lo, s17, v39, vcc_lo
	global_load_b64 v[38:39], v[38:39], off
	s_waitcnt vmcnt(0)
	v_cmp_lt_f64_e32 vcc_lo, v[38:39], v[19:20]
	v_dual_cndmask_b32 v24, v37, v24 :: v_dual_cndmask_b32 v23, v36, v23
	v_dual_cndmask_b32 v22, v22, v28 :: v_dual_cndmask_b32 v21, v21, v26
	s_delay_alu instid0(VALU_DEP_1) | instskip(SKIP_1) | instid1(SALU_CYCLE_1)
	v_cmp_ge_u64_e32 vcc_lo, v[21:22], v[23:24]
	s_or_b32 s27, vcc_lo, s27
	s_and_not1_b32 exec_lo, exec_lo, s27
	s_cbranch_execnz .LBB418_191
; %bb.192:
	s_set_inst_prefetch_distance 0x2
	s_or_b32 exec_lo, exec_lo, s27
.LBB418_193:
	s_mov_b32 s27, 0
	s_mov_b32 s15, exec_lo
	v_cmpx_ne_u64_e64 s[18:19], v[21:22]
	s_cbranch_execz .LBB418_195
; %bb.194:
	v_lshlrev_b64 v[21:22], 3, v[21:22]
	s_delay_alu instid0(VALU_DEP_1) | instskip(NEXT) | instid1(VALU_DEP_2)
	v_add_co_u32 v21, vcc_lo, s16, v21
	v_add_co_ci_u32_e32 v22, vcc_lo, s17, v22, vcc_lo
	global_load_b64 v[21:22], v[21:22], off
	s_waitcnt vmcnt(0)
	v_cmp_ngt_f64_e32 vcc_lo, v[21:22], v[19:20]
	s_and_b32 s27, vcc_lo, exec_lo
.LBB418_195:
	s_or_b32 exec_lo, exec_lo, s15
	v_cndmask_b32_e64 v23, 0, 1, s27
	s_or_b32 exec_lo, exec_lo, s26
                                        ; implicit-def: $vgpr21
	s_and_saveexec_b32 s26, s7
	s_cbranch_execz .LBB418_139
.LBB418_196:
	s_waitcnt vmcnt(0) lgkmcnt(0)
	v_mov_b32_e32 v19, 0
	v_mov_b32_e32 v20, 0
	s_and_not1_b32 vcc_lo, exec_lo, s25
	s_cbranch_vccnz .LBB418_200
; %bb.197:
	v_dual_mov_b32 v22, s19 :: v_dual_mov_b32 v21, s18
	s_mov_b32 s27, 0
	s_set_inst_prefetch_distance 0x1
	.p2align	6
.LBB418_198:                            ; =>This Inner Loop Header: Depth=1
	s_delay_alu instid0(VALU_DEP_1) | instskip(NEXT) | instid1(VALU_DEP_2)
	v_sub_co_u32 v36, vcc_lo, v21, v19
	v_sub_co_ci_u32_e32 v37, vcc_lo, v22, v20, vcc_lo
	s_delay_alu instid0(VALU_DEP_1) | instskip(SKIP_1) | instid1(VALU_DEP_2)
	v_lshrrev_b64 v[38:39], 1, v[36:37]
	v_lshrrev_b64 v[36:37], 6, v[36:37]
	v_add_co_u32 v24, vcc_lo, v38, v19
	s_delay_alu instid0(VALU_DEP_3) | instskip(NEXT) | instid1(VALU_DEP_2)
	v_add_co_ci_u32_e32 v26, vcc_lo, v39, v20, vcc_lo
	v_add_co_u32 v36, vcc_lo, v24, v36
	s_delay_alu instid0(VALU_DEP_2) | instskip(NEXT) | instid1(VALU_DEP_2)
	v_add_co_ci_u32_e32 v37, vcc_lo, v26, v37, vcc_lo
	v_add_co_u32 v24, s15, v36, 1
	s_delay_alu instid0(VALU_DEP_2) | instskip(SKIP_1) | instid1(VALU_DEP_2)
	v_lshlrev_b64 v[38:39], 3, v[36:37]
	v_add_co_ci_u32_e64 v26, s15, 0, v37, s15
	v_add_co_u32 v38, vcc_lo, s16, v38
	s_delay_alu instid0(VALU_DEP_3)
	v_add_co_ci_u32_e32 v39, vcc_lo, s17, v39, vcc_lo
	global_load_b64 v[38:39], v[38:39], off
	s_waitcnt vmcnt(0)
	v_cmp_lt_f64_e32 vcc_lo, v[38:39], v[17:18]
	v_dual_cndmask_b32 v22, v37, v22 :: v_dual_cndmask_b32 v21, v36, v21
	v_dual_cndmask_b32 v20, v20, v26 :: v_dual_cndmask_b32 v19, v19, v24
	s_delay_alu instid0(VALU_DEP_1) | instskip(SKIP_1) | instid1(SALU_CYCLE_1)
	v_cmp_ge_u64_e32 vcc_lo, v[19:20], v[21:22]
	s_or_b32 s27, vcc_lo, s27
	s_and_not1_b32 exec_lo, exec_lo, s27
	s_cbranch_execnz .LBB418_198
; %bb.199:
	s_set_inst_prefetch_distance 0x2
	s_or_b32 exec_lo, exec_lo, s27
.LBB418_200:
	s_mov_b32 s27, 0
	s_mov_b32 s15, exec_lo
	v_cmpx_ne_u64_e64 s[18:19], v[19:20]
	s_cbranch_execz .LBB418_202
; %bb.201:
	v_lshlrev_b64 v[19:20], 3, v[19:20]
	s_delay_alu instid0(VALU_DEP_1) | instskip(NEXT) | instid1(VALU_DEP_2)
	v_add_co_u32 v19, vcc_lo, s16, v19
	v_add_co_ci_u32_e32 v20, vcc_lo, s17, v20, vcc_lo
	global_load_b64 v[19:20], v[19:20], off
	s_waitcnt vmcnt(0)
	v_cmp_ngt_f64_e32 vcc_lo, v[19:20], v[17:18]
	s_and_b32 s27, vcc_lo, exec_lo
.LBB418_202:
	s_or_b32 exec_lo, exec_lo, s15
	v_cndmask_b32_e64 v21, 0, 1, s27
	s_or_b32 exec_lo, exec_lo, s26
                                        ; implicit-def: $vgpr19
	s_and_saveexec_b32 s26, s8
	s_cbranch_execz .LBB418_140
.LBB418_203:
	s_waitcnt vmcnt(0) lgkmcnt(0)
	v_mov_b32_e32 v17, 0
	v_mov_b32_e32 v18, 0
	s_and_not1_b32 vcc_lo, exec_lo, s25
	s_cbranch_vccnz .LBB418_207
; %bb.204:
	v_dual_mov_b32 v20, s19 :: v_dual_mov_b32 v19, s18
	s_mov_b32 s27, 0
	s_set_inst_prefetch_distance 0x1
	.p2align	6
.LBB418_205:                            ; =>This Inner Loop Header: Depth=1
	s_delay_alu instid0(VALU_DEP_1) | instskip(NEXT) | instid1(VALU_DEP_2)
	v_sub_co_u32 v36, vcc_lo, v19, v17
	v_sub_co_ci_u32_e32 v37, vcc_lo, v20, v18, vcc_lo
	s_delay_alu instid0(VALU_DEP_1) | instskip(SKIP_1) | instid1(VALU_DEP_2)
	v_lshrrev_b64 v[38:39], 1, v[36:37]
	v_lshrrev_b64 v[36:37], 6, v[36:37]
	v_add_co_u32 v22, vcc_lo, v38, v17
	s_delay_alu instid0(VALU_DEP_3) | instskip(NEXT) | instid1(VALU_DEP_2)
	v_add_co_ci_u32_e32 v24, vcc_lo, v39, v18, vcc_lo
	v_add_co_u32 v36, vcc_lo, v22, v36
	s_delay_alu instid0(VALU_DEP_2) | instskip(NEXT) | instid1(VALU_DEP_2)
	v_add_co_ci_u32_e32 v37, vcc_lo, v24, v37, vcc_lo
	v_add_co_u32 v22, s15, v36, 1
	s_delay_alu instid0(VALU_DEP_2) | instskip(SKIP_1) | instid1(VALU_DEP_2)
	v_lshlrev_b64 v[38:39], 3, v[36:37]
	v_add_co_ci_u32_e64 v24, s15, 0, v37, s15
	v_add_co_u32 v38, vcc_lo, s16, v38
	s_delay_alu instid0(VALU_DEP_3)
	v_add_co_ci_u32_e32 v39, vcc_lo, s17, v39, vcc_lo
	global_load_b64 v[38:39], v[38:39], off
	s_waitcnt vmcnt(0)
	v_cmp_lt_f64_e32 vcc_lo, v[38:39], v[15:16]
	v_dual_cndmask_b32 v20, v37, v20 :: v_dual_cndmask_b32 v19, v36, v19
	v_dual_cndmask_b32 v18, v18, v24 :: v_dual_cndmask_b32 v17, v17, v22
	s_delay_alu instid0(VALU_DEP_1) | instskip(SKIP_1) | instid1(SALU_CYCLE_1)
	v_cmp_ge_u64_e32 vcc_lo, v[17:18], v[19:20]
	s_or_b32 s27, vcc_lo, s27
	s_and_not1_b32 exec_lo, exec_lo, s27
	s_cbranch_execnz .LBB418_205
; %bb.206:
	s_set_inst_prefetch_distance 0x2
	s_or_b32 exec_lo, exec_lo, s27
.LBB418_207:
	s_mov_b32 s27, 0
	s_mov_b32 s15, exec_lo
	v_cmpx_ne_u64_e64 s[18:19], v[17:18]
	s_cbranch_execz .LBB418_209
; %bb.208:
	v_lshlrev_b64 v[17:18], 3, v[17:18]
	s_delay_alu instid0(VALU_DEP_1) | instskip(NEXT) | instid1(VALU_DEP_2)
	v_add_co_u32 v17, vcc_lo, s16, v17
	v_add_co_ci_u32_e32 v18, vcc_lo, s17, v18, vcc_lo
	global_load_b64 v[17:18], v[17:18], off
	s_waitcnt vmcnt(0)
	v_cmp_ngt_f64_e32 vcc_lo, v[17:18], v[15:16]
	s_and_b32 s27, vcc_lo, exec_lo
.LBB418_209:
	s_or_b32 exec_lo, exec_lo, s15
	v_cndmask_b32_e64 v19, 0, 1, s27
	s_or_b32 exec_lo, exec_lo, s26
                                        ; implicit-def: $vgpr17
	s_and_saveexec_b32 s26, s9
	s_cbranch_execz .LBB418_141
.LBB418_210:
	s_waitcnt vmcnt(0) lgkmcnt(0)
	v_mov_b32_e32 v15, 0
	v_mov_b32_e32 v16, 0
	s_and_not1_b32 vcc_lo, exec_lo, s25
	s_cbranch_vccnz .LBB418_214
; %bb.211:
	v_dual_mov_b32 v17, s18 :: v_dual_mov_b32 v18, s19
	s_mov_b32 s27, 0
	s_set_inst_prefetch_distance 0x1
	.p2align	6
.LBB418_212:                            ; =>This Inner Loop Header: Depth=1
	s_delay_alu instid0(VALU_DEP_1) | instskip(NEXT) | instid1(VALU_DEP_2)
	v_sub_co_u32 v36, vcc_lo, v17, v15
	v_sub_co_ci_u32_e32 v37, vcc_lo, v18, v16, vcc_lo
	s_delay_alu instid0(VALU_DEP_1) | instskip(SKIP_1) | instid1(VALU_DEP_2)
	v_lshrrev_b64 v[38:39], 1, v[36:37]
	v_lshrrev_b64 v[36:37], 6, v[36:37]
	v_add_co_u32 v20, vcc_lo, v38, v15
	s_delay_alu instid0(VALU_DEP_3) | instskip(NEXT) | instid1(VALU_DEP_2)
	v_add_co_ci_u32_e32 v22, vcc_lo, v39, v16, vcc_lo
	v_add_co_u32 v36, vcc_lo, v20, v36
	s_delay_alu instid0(VALU_DEP_2) | instskip(NEXT) | instid1(VALU_DEP_2)
	v_add_co_ci_u32_e32 v37, vcc_lo, v22, v37, vcc_lo
	v_add_co_u32 v20, s15, v36, 1
	s_delay_alu instid0(VALU_DEP_2) | instskip(SKIP_1) | instid1(VALU_DEP_2)
	v_lshlrev_b64 v[38:39], 3, v[36:37]
	v_add_co_ci_u32_e64 v22, s15, 0, v37, s15
	v_add_co_u32 v38, vcc_lo, s16, v38
	s_delay_alu instid0(VALU_DEP_3)
	v_add_co_ci_u32_e32 v39, vcc_lo, s17, v39, vcc_lo
	global_load_b64 v[38:39], v[38:39], off
	s_waitcnt vmcnt(0)
	v_cmp_lt_f64_e32 vcc_lo, v[38:39], v[13:14]
	v_dual_cndmask_b32 v18, v37, v18 :: v_dual_cndmask_b32 v17, v36, v17
	v_dual_cndmask_b32 v16, v16, v22 :: v_dual_cndmask_b32 v15, v15, v20
	s_delay_alu instid0(VALU_DEP_1) | instskip(SKIP_1) | instid1(SALU_CYCLE_1)
	v_cmp_ge_u64_e32 vcc_lo, v[15:16], v[17:18]
	s_or_b32 s27, vcc_lo, s27
	s_and_not1_b32 exec_lo, exec_lo, s27
	s_cbranch_execnz .LBB418_212
; %bb.213:
	s_set_inst_prefetch_distance 0x2
	s_or_b32 exec_lo, exec_lo, s27
.LBB418_214:
	s_mov_b32 s27, 0
	s_mov_b32 s15, exec_lo
	v_cmpx_ne_u64_e64 s[18:19], v[15:16]
	s_cbranch_execz .LBB418_216
; %bb.215:
	v_lshlrev_b64 v[15:16], 3, v[15:16]
	s_delay_alu instid0(VALU_DEP_1) | instskip(NEXT) | instid1(VALU_DEP_2)
	v_add_co_u32 v15, vcc_lo, s16, v15
	v_add_co_ci_u32_e32 v16, vcc_lo, s17, v16, vcc_lo
	global_load_b64 v[15:16], v[15:16], off
	s_waitcnt vmcnt(0)
	v_cmp_ngt_f64_e32 vcc_lo, v[15:16], v[13:14]
	s_and_b32 s27, vcc_lo, exec_lo
.LBB418_216:
	s_or_b32 exec_lo, exec_lo, s15
	v_cndmask_b32_e64 v17, 0, 1, s27
	s_or_b32 exec_lo, exec_lo, s26
                                        ; implicit-def: $vgpr15
	s_and_saveexec_b32 s26, s10
	s_cbranch_execz .LBB418_142
.LBB418_217:
	s_waitcnt vmcnt(0) lgkmcnt(0)
	v_mov_b32_e32 v13, 0
	v_mov_b32_e32 v14, 0
	s_and_not1_b32 vcc_lo, exec_lo, s25
	s_cbranch_vccnz .LBB418_221
; %bb.218:
	v_dual_mov_b32 v15, s18 :: v_dual_mov_b32 v16, s19
	s_mov_b32 s27, 0
	s_set_inst_prefetch_distance 0x1
	.p2align	6
.LBB418_219:                            ; =>This Inner Loop Header: Depth=1
	s_delay_alu instid0(VALU_DEP_1) | instskip(NEXT) | instid1(VALU_DEP_2)
	v_sub_co_u32 v36, vcc_lo, v15, v13
	v_sub_co_ci_u32_e32 v37, vcc_lo, v16, v14, vcc_lo
	s_delay_alu instid0(VALU_DEP_1) | instskip(SKIP_1) | instid1(VALU_DEP_2)
	v_lshrrev_b64 v[38:39], 1, v[36:37]
	v_lshrrev_b64 v[36:37], 6, v[36:37]
	v_add_co_u32 v18, vcc_lo, v38, v13
	s_delay_alu instid0(VALU_DEP_3) | instskip(NEXT) | instid1(VALU_DEP_2)
	v_add_co_ci_u32_e32 v20, vcc_lo, v39, v14, vcc_lo
	v_add_co_u32 v36, vcc_lo, v18, v36
	s_delay_alu instid0(VALU_DEP_2) | instskip(NEXT) | instid1(VALU_DEP_2)
	v_add_co_ci_u32_e32 v37, vcc_lo, v20, v37, vcc_lo
	v_add_co_u32 v18, s15, v36, 1
	s_delay_alu instid0(VALU_DEP_2) | instskip(SKIP_1) | instid1(VALU_DEP_2)
	v_lshlrev_b64 v[38:39], 3, v[36:37]
	v_add_co_ci_u32_e64 v20, s15, 0, v37, s15
	v_add_co_u32 v38, vcc_lo, s16, v38
	s_delay_alu instid0(VALU_DEP_3)
	v_add_co_ci_u32_e32 v39, vcc_lo, s17, v39, vcc_lo
	global_load_b64 v[38:39], v[38:39], off
	s_waitcnt vmcnt(0)
	v_cmp_lt_f64_e32 vcc_lo, v[38:39], v[11:12]
	v_dual_cndmask_b32 v16, v37, v16 :: v_dual_cndmask_b32 v15, v36, v15
	v_dual_cndmask_b32 v14, v14, v20 :: v_dual_cndmask_b32 v13, v13, v18
	s_delay_alu instid0(VALU_DEP_1) | instskip(SKIP_1) | instid1(SALU_CYCLE_1)
	v_cmp_ge_u64_e32 vcc_lo, v[13:14], v[15:16]
	s_or_b32 s27, vcc_lo, s27
	s_and_not1_b32 exec_lo, exec_lo, s27
	s_cbranch_execnz .LBB418_219
; %bb.220:
	s_set_inst_prefetch_distance 0x2
	s_or_b32 exec_lo, exec_lo, s27
.LBB418_221:
	s_mov_b32 s27, 0
	s_mov_b32 s15, exec_lo
	v_cmpx_ne_u64_e64 s[18:19], v[13:14]
	s_cbranch_execz .LBB418_223
; %bb.222:
	v_lshlrev_b64 v[13:14], 3, v[13:14]
	s_delay_alu instid0(VALU_DEP_1) | instskip(NEXT) | instid1(VALU_DEP_2)
	v_add_co_u32 v13, vcc_lo, s16, v13
	v_add_co_ci_u32_e32 v14, vcc_lo, s17, v14, vcc_lo
	global_load_b64 v[13:14], v[13:14], off
	s_waitcnt vmcnt(0)
	v_cmp_ngt_f64_e32 vcc_lo, v[13:14], v[11:12]
	s_and_b32 s27, vcc_lo, exec_lo
.LBB418_223:
	s_or_b32 exec_lo, exec_lo, s15
	v_cndmask_b32_e64 v15, 0, 1, s27
	s_or_b32 exec_lo, exec_lo, s26
                                        ; implicit-def: $vgpr13
	s_and_saveexec_b32 s26, s11
	s_cbranch_execz .LBB418_143
.LBB418_224:
	s_waitcnt vmcnt(0) lgkmcnt(0)
	v_mov_b32_e32 v11, 0
	v_mov_b32_e32 v12, 0
	s_and_not1_b32 vcc_lo, exec_lo, s25
	s_cbranch_vccnz .LBB418_228
; %bb.225:
	v_dual_mov_b32 v13, s18 :: v_dual_mov_b32 v14, s19
	s_mov_b32 s27, 0
	s_set_inst_prefetch_distance 0x1
	.p2align	6
.LBB418_226:                            ; =>This Inner Loop Header: Depth=1
	s_delay_alu instid0(VALU_DEP_1) | instskip(NEXT) | instid1(VALU_DEP_2)
	v_sub_co_u32 v36, vcc_lo, v13, v11
	v_sub_co_ci_u32_e32 v37, vcc_lo, v14, v12, vcc_lo
	s_delay_alu instid0(VALU_DEP_1) | instskip(SKIP_1) | instid1(VALU_DEP_2)
	v_lshrrev_b64 v[38:39], 1, v[36:37]
	v_lshrrev_b64 v[36:37], 6, v[36:37]
	v_add_co_u32 v16, vcc_lo, v38, v11
	s_delay_alu instid0(VALU_DEP_3) | instskip(NEXT) | instid1(VALU_DEP_2)
	v_add_co_ci_u32_e32 v18, vcc_lo, v39, v12, vcc_lo
	v_add_co_u32 v36, vcc_lo, v16, v36
	s_delay_alu instid0(VALU_DEP_2) | instskip(NEXT) | instid1(VALU_DEP_2)
	v_add_co_ci_u32_e32 v37, vcc_lo, v18, v37, vcc_lo
	v_add_co_u32 v16, s15, v36, 1
	s_delay_alu instid0(VALU_DEP_2) | instskip(SKIP_1) | instid1(VALU_DEP_2)
	v_lshlrev_b64 v[38:39], 3, v[36:37]
	v_add_co_ci_u32_e64 v18, s15, 0, v37, s15
	v_add_co_u32 v38, vcc_lo, s16, v38
	s_delay_alu instid0(VALU_DEP_3)
	v_add_co_ci_u32_e32 v39, vcc_lo, s17, v39, vcc_lo
	global_load_b64 v[38:39], v[38:39], off
	s_waitcnt vmcnt(0)
	v_cmp_lt_f64_e32 vcc_lo, v[38:39], v[9:10]
	v_dual_cndmask_b32 v14, v37, v14 :: v_dual_cndmask_b32 v13, v36, v13
	v_dual_cndmask_b32 v12, v12, v18 :: v_dual_cndmask_b32 v11, v11, v16
	s_delay_alu instid0(VALU_DEP_1) | instskip(SKIP_1) | instid1(SALU_CYCLE_1)
	v_cmp_ge_u64_e32 vcc_lo, v[11:12], v[13:14]
	s_or_b32 s27, vcc_lo, s27
	s_and_not1_b32 exec_lo, exec_lo, s27
	s_cbranch_execnz .LBB418_226
; %bb.227:
	s_set_inst_prefetch_distance 0x2
	s_or_b32 exec_lo, exec_lo, s27
.LBB418_228:
	s_mov_b32 s27, 0
	s_mov_b32 s15, exec_lo
	v_cmpx_ne_u64_e64 s[18:19], v[11:12]
	s_cbranch_execz .LBB418_230
; %bb.229:
	v_lshlrev_b64 v[11:12], 3, v[11:12]
	s_delay_alu instid0(VALU_DEP_1) | instskip(NEXT) | instid1(VALU_DEP_2)
	v_add_co_u32 v11, vcc_lo, s16, v11
	v_add_co_ci_u32_e32 v12, vcc_lo, s17, v12, vcc_lo
	global_load_b64 v[11:12], v[11:12], off
	s_waitcnt vmcnt(0)
	v_cmp_ngt_f64_e32 vcc_lo, v[11:12], v[9:10]
	s_and_b32 s27, vcc_lo, exec_lo
.LBB418_230:
	s_or_b32 exec_lo, exec_lo, s15
	v_cndmask_b32_e64 v13, 0, 1, s27
	s_or_b32 exec_lo, exec_lo, s26
                                        ; implicit-def: $vgpr11
	s_and_saveexec_b32 s26, s12
	s_cbranch_execz .LBB418_144
.LBB418_231:
	s_waitcnt vmcnt(0) lgkmcnt(0)
	v_mov_b32_e32 v9, 0
	v_mov_b32_e32 v10, 0
	s_and_not1_b32 vcc_lo, exec_lo, s25
	s_cbranch_vccnz .LBB418_235
; %bb.232:
	v_dual_mov_b32 v11, s18 :: v_dual_mov_b32 v12, s19
	s_mov_b32 s27, 0
	s_set_inst_prefetch_distance 0x1
	.p2align	6
.LBB418_233:                            ; =>This Inner Loop Header: Depth=1
	s_delay_alu instid0(VALU_DEP_1) | instskip(NEXT) | instid1(VALU_DEP_2)
	v_sub_co_u32 v36, vcc_lo, v11, v9
	v_sub_co_ci_u32_e32 v37, vcc_lo, v12, v10, vcc_lo
	s_delay_alu instid0(VALU_DEP_1) | instskip(SKIP_1) | instid1(VALU_DEP_2)
	v_lshrrev_b64 v[38:39], 1, v[36:37]
	v_lshrrev_b64 v[36:37], 6, v[36:37]
	v_add_co_u32 v14, vcc_lo, v38, v9
	s_delay_alu instid0(VALU_DEP_3) | instskip(NEXT) | instid1(VALU_DEP_2)
	v_add_co_ci_u32_e32 v16, vcc_lo, v39, v10, vcc_lo
	v_add_co_u32 v36, vcc_lo, v14, v36
	s_delay_alu instid0(VALU_DEP_2) | instskip(NEXT) | instid1(VALU_DEP_2)
	v_add_co_ci_u32_e32 v37, vcc_lo, v16, v37, vcc_lo
	v_add_co_u32 v14, s15, v36, 1
	s_delay_alu instid0(VALU_DEP_2) | instskip(SKIP_1) | instid1(VALU_DEP_2)
	v_lshlrev_b64 v[38:39], 3, v[36:37]
	v_add_co_ci_u32_e64 v16, s15, 0, v37, s15
	v_add_co_u32 v38, vcc_lo, s16, v38
	s_delay_alu instid0(VALU_DEP_3)
	v_add_co_ci_u32_e32 v39, vcc_lo, s17, v39, vcc_lo
	global_load_b64 v[38:39], v[38:39], off
	s_waitcnt vmcnt(0)
	v_cmp_lt_f64_e32 vcc_lo, v[38:39], v[7:8]
	v_dual_cndmask_b32 v12, v37, v12 :: v_dual_cndmask_b32 v11, v36, v11
	v_dual_cndmask_b32 v10, v10, v16 :: v_dual_cndmask_b32 v9, v9, v14
	s_delay_alu instid0(VALU_DEP_1) | instskip(SKIP_1) | instid1(SALU_CYCLE_1)
	v_cmp_ge_u64_e32 vcc_lo, v[9:10], v[11:12]
	s_or_b32 s27, vcc_lo, s27
	s_and_not1_b32 exec_lo, exec_lo, s27
	s_cbranch_execnz .LBB418_233
; %bb.234:
	s_set_inst_prefetch_distance 0x2
	s_or_b32 exec_lo, exec_lo, s27
.LBB418_235:
	s_mov_b32 s27, 0
	s_mov_b32 s15, exec_lo
	v_cmpx_ne_u64_e64 s[18:19], v[9:10]
	s_cbranch_execz .LBB418_237
; %bb.236:
	v_lshlrev_b64 v[9:10], 3, v[9:10]
	s_delay_alu instid0(VALU_DEP_1) | instskip(NEXT) | instid1(VALU_DEP_2)
	v_add_co_u32 v9, vcc_lo, s16, v9
	v_add_co_ci_u32_e32 v10, vcc_lo, s17, v10, vcc_lo
	global_load_b64 v[9:10], v[9:10], off
	s_waitcnt vmcnt(0)
	v_cmp_ngt_f64_e32 vcc_lo, v[9:10], v[7:8]
	s_and_b32 s27, vcc_lo, exec_lo
.LBB418_237:
	s_or_b32 exec_lo, exec_lo, s15
	v_cndmask_b32_e64 v11, 0, 1, s27
	s_or_b32 exec_lo, exec_lo, s26
                                        ; implicit-def: $vgpr9
	s_and_saveexec_b32 s26, s13
	s_cbranch_execz .LBB418_145
.LBB418_238:
	s_waitcnt vmcnt(0) lgkmcnt(0)
	v_mov_b32_e32 v7, 0
	v_mov_b32_e32 v8, 0
	s_and_not1_b32 vcc_lo, exec_lo, s25
	s_cbranch_vccnz .LBB418_242
; %bb.239:
	v_dual_mov_b32 v9, s18 :: v_dual_mov_b32 v10, s19
	s_mov_b32 s27, 0
	s_set_inst_prefetch_distance 0x1
	.p2align	6
.LBB418_240:                            ; =>This Inner Loop Header: Depth=1
	s_delay_alu instid0(VALU_DEP_1) | instskip(NEXT) | instid1(VALU_DEP_2)
	v_sub_co_u32 v36, vcc_lo, v9, v7
	v_sub_co_ci_u32_e32 v37, vcc_lo, v10, v8, vcc_lo
	s_delay_alu instid0(VALU_DEP_1) | instskip(SKIP_1) | instid1(VALU_DEP_2)
	v_lshrrev_b64 v[38:39], 1, v[36:37]
	v_lshrrev_b64 v[36:37], 6, v[36:37]
	v_add_co_u32 v12, vcc_lo, v38, v7
	s_delay_alu instid0(VALU_DEP_3) | instskip(NEXT) | instid1(VALU_DEP_2)
	v_add_co_ci_u32_e32 v14, vcc_lo, v39, v8, vcc_lo
	v_add_co_u32 v36, vcc_lo, v12, v36
	s_delay_alu instid0(VALU_DEP_2) | instskip(NEXT) | instid1(VALU_DEP_2)
	v_add_co_ci_u32_e32 v37, vcc_lo, v14, v37, vcc_lo
	v_add_co_u32 v12, s15, v36, 1
	s_delay_alu instid0(VALU_DEP_2) | instskip(SKIP_1) | instid1(VALU_DEP_2)
	v_lshlrev_b64 v[38:39], 3, v[36:37]
	v_add_co_ci_u32_e64 v14, s15, 0, v37, s15
	v_add_co_u32 v38, vcc_lo, s16, v38
	s_delay_alu instid0(VALU_DEP_3)
	v_add_co_ci_u32_e32 v39, vcc_lo, s17, v39, vcc_lo
	global_load_b64 v[38:39], v[38:39], off
	s_waitcnt vmcnt(0)
	v_cmp_lt_f64_e32 vcc_lo, v[38:39], v[5:6]
	v_dual_cndmask_b32 v10, v37, v10 :: v_dual_cndmask_b32 v9, v36, v9
	v_dual_cndmask_b32 v8, v8, v14 :: v_dual_cndmask_b32 v7, v7, v12
	s_delay_alu instid0(VALU_DEP_1) | instskip(SKIP_1) | instid1(SALU_CYCLE_1)
	v_cmp_ge_u64_e32 vcc_lo, v[7:8], v[9:10]
	s_or_b32 s27, vcc_lo, s27
	s_and_not1_b32 exec_lo, exec_lo, s27
	s_cbranch_execnz .LBB418_240
; %bb.241:
	s_set_inst_prefetch_distance 0x2
	s_or_b32 exec_lo, exec_lo, s27
.LBB418_242:
	s_mov_b32 s27, 0
	s_mov_b32 s15, exec_lo
	v_cmpx_ne_u64_e64 s[18:19], v[7:8]
	s_cbranch_execz .LBB418_244
; %bb.243:
	v_lshlrev_b64 v[7:8], 3, v[7:8]
	s_delay_alu instid0(VALU_DEP_1) | instskip(NEXT) | instid1(VALU_DEP_2)
	v_add_co_u32 v7, vcc_lo, s16, v7
	v_add_co_ci_u32_e32 v8, vcc_lo, s17, v8, vcc_lo
	global_load_b64 v[7:8], v[7:8], off
	s_waitcnt vmcnt(0)
	v_cmp_ngt_f64_e32 vcc_lo, v[7:8], v[5:6]
	s_and_b32 s27, vcc_lo, exec_lo
.LBB418_244:
	s_or_b32 exec_lo, exec_lo, s15
	v_cndmask_b32_e64 v9, 0, 1, s27
	s_or_b32 exec_lo, exec_lo, s26
                                        ; implicit-def: $vgpr7
	s_and_saveexec_b32 s26, s14
	s_cbranch_execz .LBB418_146
.LBB418_245:
	s_waitcnt vmcnt(0) lgkmcnt(0)
	v_mov_b32_e32 v5, 0
	v_mov_b32_e32 v6, 0
	s_and_not1_b32 vcc_lo, exec_lo, s25
	s_cbranch_vccnz .LBB418_249
; %bb.246:
	v_dual_mov_b32 v7, s18 :: v_dual_mov_b32 v8, s19
	s_mov_b32 s27, 0
	s_set_inst_prefetch_distance 0x1
	.p2align	6
.LBB418_247:                            ; =>This Inner Loop Header: Depth=1
	s_delay_alu instid0(VALU_DEP_1) | instskip(NEXT) | instid1(VALU_DEP_2)
	v_sub_co_u32 v36, vcc_lo, v7, v5
	v_sub_co_ci_u32_e32 v37, vcc_lo, v8, v6, vcc_lo
	s_delay_alu instid0(VALU_DEP_1) | instskip(SKIP_1) | instid1(VALU_DEP_2)
	v_lshrrev_b64 v[38:39], 1, v[36:37]
	v_lshrrev_b64 v[36:37], 6, v[36:37]
	v_add_co_u32 v10, vcc_lo, v38, v5
	s_delay_alu instid0(VALU_DEP_3) | instskip(NEXT) | instid1(VALU_DEP_2)
	v_add_co_ci_u32_e32 v12, vcc_lo, v39, v6, vcc_lo
	v_add_co_u32 v36, vcc_lo, v10, v36
	s_delay_alu instid0(VALU_DEP_2) | instskip(NEXT) | instid1(VALU_DEP_2)
	v_add_co_ci_u32_e32 v37, vcc_lo, v12, v37, vcc_lo
	v_add_co_u32 v10, s15, v36, 1
	s_delay_alu instid0(VALU_DEP_2) | instskip(SKIP_1) | instid1(VALU_DEP_2)
	v_lshlrev_b64 v[38:39], 3, v[36:37]
	v_add_co_ci_u32_e64 v12, s15, 0, v37, s15
	v_add_co_u32 v38, vcc_lo, s16, v38
	s_delay_alu instid0(VALU_DEP_3)
	v_add_co_ci_u32_e32 v39, vcc_lo, s17, v39, vcc_lo
	global_load_b64 v[38:39], v[38:39], off
	s_waitcnt vmcnt(0)
	v_cmp_lt_f64_e32 vcc_lo, v[38:39], v[3:4]
	v_dual_cndmask_b32 v8, v37, v8 :: v_dual_cndmask_b32 v7, v36, v7
	v_dual_cndmask_b32 v6, v6, v12 :: v_dual_cndmask_b32 v5, v5, v10
	s_delay_alu instid0(VALU_DEP_1) | instskip(SKIP_1) | instid1(SALU_CYCLE_1)
	v_cmp_ge_u64_e32 vcc_lo, v[5:6], v[7:8]
	s_or_b32 s27, vcc_lo, s27
	s_and_not1_b32 exec_lo, exec_lo, s27
	s_cbranch_execnz .LBB418_247
; %bb.248:
	s_set_inst_prefetch_distance 0x2
	s_or_b32 exec_lo, exec_lo, s27
.LBB418_249:
	s_mov_b32 s27, 0
	s_mov_b32 s15, exec_lo
	v_cmpx_ne_u64_e64 s[18:19], v[5:6]
	s_cbranch_execz .LBB418_251
; %bb.250:
	v_lshlrev_b64 v[5:6], 3, v[5:6]
	s_delay_alu instid0(VALU_DEP_1) | instskip(NEXT) | instid1(VALU_DEP_2)
	v_add_co_u32 v5, vcc_lo, s16, v5
	v_add_co_ci_u32_e32 v6, vcc_lo, s17, v6, vcc_lo
	global_load_b64 v[5:6], v[5:6], off
	s_waitcnt vmcnt(0)
	v_cmp_ngt_f64_e32 vcc_lo, v[5:6], v[3:4]
	s_and_b32 s27, vcc_lo, exec_lo
.LBB418_251:
	s_or_b32 exec_lo, exec_lo, s15
	v_cndmask_b32_e64 v7, 0, 1, s27
	s_or_b32 exec_lo, exec_lo, s26
                                        ; implicit-def: $vgpr5
	s_and_saveexec_b32 s26, s24
	s_cbranch_execz .LBB418_259
.LBB418_252:
	s_waitcnt vmcnt(0) lgkmcnt(0)
	v_mov_b32_e32 v3, 0
	v_mov_b32_e32 v4, 0
	s_and_not1_b32 vcc_lo, exec_lo, s25
	s_cbranch_vccnz .LBB418_256
; %bb.253:
	v_dual_mov_b32 v5, s18 :: v_dual_mov_b32 v6, s19
	s_mov_b32 s25, 0
	s_set_inst_prefetch_distance 0x1
	.p2align	6
.LBB418_254:                            ; =>This Inner Loop Header: Depth=1
	s_delay_alu instid0(VALU_DEP_1) | instskip(NEXT) | instid1(VALU_DEP_2)
	v_sub_co_u32 v36, vcc_lo, v5, v3
	v_sub_co_ci_u32_e32 v37, vcc_lo, v6, v4, vcc_lo
	s_delay_alu instid0(VALU_DEP_1) | instskip(SKIP_1) | instid1(VALU_DEP_2)
	v_lshrrev_b64 v[38:39], 1, v[36:37]
	v_lshrrev_b64 v[36:37], 6, v[36:37]
	v_add_co_u32 v8, vcc_lo, v38, v3
	s_delay_alu instid0(VALU_DEP_3) | instskip(NEXT) | instid1(VALU_DEP_2)
	v_add_co_ci_u32_e32 v10, vcc_lo, v39, v4, vcc_lo
	v_add_co_u32 v36, vcc_lo, v8, v36
	s_delay_alu instid0(VALU_DEP_2) | instskip(NEXT) | instid1(VALU_DEP_2)
	v_add_co_ci_u32_e32 v37, vcc_lo, v10, v37, vcc_lo
	v_add_co_u32 v8, s15, v36, 1
	s_delay_alu instid0(VALU_DEP_2) | instskip(SKIP_1) | instid1(VALU_DEP_2)
	v_lshlrev_b64 v[38:39], 3, v[36:37]
	v_add_co_ci_u32_e64 v10, s15, 0, v37, s15
	v_add_co_u32 v38, vcc_lo, s16, v38
	s_delay_alu instid0(VALU_DEP_3)
	v_add_co_ci_u32_e32 v39, vcc_lo, s17, v39, vcc_lo
	global_load_b64 v[38:39], v[38:39], off
	s_waitcnt vmcnt(0)
	v_cmp_lt_f64_e32 vcc_lo, v[38:39], v[1:2]
	v_dual_cndmask_b32 v6, v37, v6 :: v_dual_cndmask_b32 v5, v36, v5
	v_dual_cndmask_b32 v4, v4, v10 :: v_dual_cndmask_b32 v3, v3, v8
	s_delay_alu instid0(VALU_DEP_1) | instskip(SKIP_1) | instid1(SALU_CYCLE_1)
	v_cmp_ge_u64_e32 vcc_lo, v[3:4], v[5:6]
	s_or_b32 s25, vcc_lo, s25
	s_and_not1_b32 exec_lo, exec_lo, s25
	s_cbranch_execnz .LBB418_254
; %bb.255:
	s_set_inst_prefetch_distance 0x2
	s_or_b32 exec_lo, exec_lo, s25
.LBB418_256:
	s_delay_alu instid0(VALU_DEP_1)
	v_cmp_ne_u64_e32 vcc_lo, s[18:19], v[3:4]
	s_mov_b32 s18, 0
	s_and_saveexec_b32 s15, vcc_lo
	s_cbranch_execz .LBB418_258
; %bb.257:
	v_lshlrev_b64 v[3:4], 3, v[3:4]
	s_delay_alu instid0(VALU_DEP_1) | instskip(NEXT) | instid1(VALU_DEP_2)
	v_add_co_u32 v3, vcc_lo, s16, v3
	v_add_co_ci_u32_e32 v4, vcc_lo, s17, v4, vcc_lo
	global_load_b64 v[3:4], v[3:4], off
	s_waitcnt vmcnt(0)
	v_cmp_ngt_f64_e32 vcc_lo, v[3:4], v[1:2]
	s_and_b32 s18, vcc_lo, exec_lo
.LBB418_258:
	s_or_b32 exec_lo, exec_lo, s15
	v_cndmask_b32_e64 v5, 0, 1, s18
.LBB418_259:
	s_or_b32 exec_lo, exec_lo, s26
	v_lshlrev_b32_e32 v0, 2, v0
	s_lshl_b64 s[16:17], s[20:21], 2
	s_delay_alu instid0(SALU_CYCLE_1) | instskip(SKIP_3) | instid1(VALU_DEP_1)
	s_add_u32 s15, s22, s16
	s_addc_u32 s16, s23, s17
	s_waitcnt vmcnt(0) lgkmcnt(0)
	v_add_co_u32 v1, s15, s15, v0
	v_add_co_ci_u32_e64 v2, null, s16, 0, s15
	s_and_saveexec_b32 s15, s0
	s_delay_alu instid0(SALU_CYCLE_1)
	s_xor_b32 s0, exec_lo, s15
	s_cbranch_execnz .LBB418_279
; %bb.260:
	s_or_b32 exec_lo, exec_lo, s0
	s_and_saveexec_b32 s0, s1
	s_cbranch_execnz .LBB418_280
.LBB418_261:
	s_or_b32 exec_lo, exec_lo, s0
	s_and_saveexec_b32 s0, s2
	s_cbranch_execnz .LBB418_281
.LBB418_262:
	s_or_b32 exec_lo, exec_lo, s0
	s_and_saveexec_b32 s0, s3
	s_cbranch_execnz .LBB418_282
.LBB418_263:
	s_or_b32 exec_lo, exec_lo, s0
	s_and_saveexec_b32 s0, s4
	s_cbranch_execnz .LBB418_283
.LBB418_264:
	s_or_b32 exec_lo, exec_lo, s0
	s_and_saveexec_b32 s0, s5
	s_cbranch_execnz .LBB418_284
.LBB418_265:
	s_or_b32 exec_lo, exec_lo, s0
	s_and_saveexec_b32 s0, s6
	s_cbranch_execnz .LBB418_285
.LBB418_266:
	s_or_b32 exec_lo, exec_lo, s0
	s_and_saveexec_b32 s0, s7
	s_cbranch_execnz .LBB418_286
.LBB418_267:
	s_or_b32 exec_lo, exec_lo, s0
	s_and_saveexec_b32 s0, s8
	s_cbranch_execnz .LBB418_287
.LBB418_268:
	s_or_b32 exec_lo, exec_lo, s0
	s_and_saveexec_b32 s0, s9
	s_cbranch_execnz .LBB418_288
.LBB418_269:
	s_or_b32 exec_lo, exec_lo, s0
	s_and_saveexec_b32 s0, s10
	s_cbranch_execnz .LBB418_289
.LBB418_270:
	s_or_b32 exec_lo, exec_lo, s0
	s_and_saveexec_b32 s0, s11
	s_cbranch_execnz .LBB418_290
.LBB418_271:
	s_or_b32 exec_lo, exec_lo, s0
	s_and_saveexec_b32 s0, s12
	s_cbranch_execnz .LBB418_291
.LBB418_272:
	s_or_b32 exec_lo, exec_lo, s0
	s_and_saveexec_b32 s0, s13
	s_cbranch_execnz .LBB418_292
.LBB418_273:
	s_or_b32 exec_lo, exec_lo, s0
	s_and_saveexec_b32 s0, s14
	s_cbranch_execz .LBB418_275
.LBB418_274:
	v_add_co_u32 v3, vcc_lo, 0x3000, v1
	v_add_co_ci_u32_e32 v4, vcc_lo, 0, v2, vcc_lo
	flat_store_b32 v[3:4], v7 offset:2048
.LBB418_275:
	s_or_b32 exec_lo, exec_lo, s0
.LBB418_276:
	s_and_saveexec_b32 s0, s24
	s_cbranch_execnz .LBB418_278
; %bb.277:
	s_endpgm
.LBB418_278:
	v_add_co_u32 v0, vcc_lo, 0x3000, v1
	v_add_co_ci_u32_e32 v1, vcc_lo, 0, v2, vcc_lo
	flat_store_b32 v[0:1], v5 offset:3072
	s_endpgm
.LBB418_279:
	flat_store_b32 v[1:2], v35
	s_or_b32 exec_lo, exec_lo, s0
	s_and_saveexec_b32 s0, s1
	s_cbranch_execz .LBB418_261
.LBB418_280:
	flat_store_b32 v[1:2], v33 offset:1024
	s_or_b32 exec_lo, exec_lo, s0
	s_and_saveexec_b32 s0, s2
	s_cbranch_execz .LBB418_262
.LBB418_281:
	flat_store_b32 v[1:2], v31 offset:2048
	s_or_b32 exec_lo, exec_lo, s0
	s_and_saveexec_b32 s0, s3
	s_cbranch_execz .LBB418_263
.LBB418_282:
	flat_store_b32 v[1:2], v29 offset:3072
	s_or_b32 exec_lo, exec_lo, s0
	s_and_saveexec_b32 s0, s4
	s_cbranch_execz .LBB418_264
.LBB418_283:
	v_add_co_u32 v3, vcc_lo, 0x1000, v1
	v_add_co_ci_u32_e32 v4, vcc_lo, 0, v2, vcc_lo
	flat_store_b32 v[3:4], v27
	s_or_b32 exec_lo, exec_lo, s0
	s_and_saveexec_b32 s0, s5
	s_cbranch_execz .LBB418_265
.LBB418_284:
	v_add_co_u32 v3, vcc_lo, 0x1000, v1
	v_add_co_ci_u32_e32 v4, vcc_lo, 0, v2, vcc_lo
	flat_store_b32 v[3:4], v25 offset:1024
	s_or_b32 exec_lo, exec_lo, s0
	s_and_saveexec_b32 s0, s6
	s_cbranch_execz .LBB418_266
.LBB418_285:
	v_add_co_u32 v3, vcc_lo, 0x1000, v1
	v_add_co_ci_u32_e32 v4, vcc_lo, 0, v2, vcc_lo
	flat_store_b32 v[3:4], v23 offset:2048
	s_or_b32 exec_lo, exec_lo, s0
	s_and_saveexec_b32 s0, s7
	s_cbranch_execz .LBB418_267
.LBB418_286:
	v_add_co_u32 v3, vcc_lo, 0x1000, v1
	v_add_co_ci_u32_e32 v4, vcc_lo, 0, v2, vcc_lo
	flat_store_b32 v[3:4], v21 offset:3072
	s_or_b32 exec_lo, exec_lo, s0
	s_and_saveexec_b32 s0, s8
	s_cbranch_execz .LBB418_268
.LBB418_287:
	v_add_co_u32 v3, vcc_lo, 0x2000, v1
	v_add_co_ci_u32_e32 v4, vcc_lo, 0, v2, vcc_lo
	flat_store_b32 v[3:4], v19
	s_or_b32 exec_lo, exec_lo, s0
	s_and_saveexec_b32 s0, s9
	s_cbranch_execz .LBB418_269
.LBB418_288:
	v_add_co_u32 v3, vcc_lo, 0x2000, v1
	v_add_co_ci_u32_e32 v4, vcc_lo, 0, v2, vcc_lo
	flat_store_b32 v[3:4], v17 offset:1024
	s_or_b32 exec_lo, exec_lo, s0
	s_and_saveexec_b32 s0, s10
	s_cbranch_execz .LBB418_270
.LBB418_289:
	v_add_co_u32 v3, vcc_lo, 0x2000, v1
	v_add_co_ci_u32_e32 v4, vcc_lo, 0, v2, vcc_lo
	flat_store_b32 v[3:4], v15 offset:2048
	s_or_b32 exec_lo, exec_lo, s0
	s_and_saveexec_b32 s0, s11
	s_cbranch_execz .LBB418_271
.LBB418_290:
	v_add_co_u32 v3, vcc_lo, 0x2000, v1
	v_add_co_ci_u32_e32 v4, vcc_lo, 0, v2, vcc_lo
	flat_store_b32 v[3:4], v13 offset:3072
	s_or_b32 exec_lo, exec_lo, s0
	s_and_saveexec_b32 s0, s12
	s_cbranch_execz .LBB418_272
.LBB418_291:
	v_add_co_u32 v3, vcc_lo, 0x3000, v1
	v_add_co_ci_u32_e32 v4, vcc_lo, 0, v2, vcc_lo
	flat_store_b32 v[3:4], v11
	s_or_b32 exec_lo, exec_lo, s0
	s_and_saveexec_b32 s0, s13
	s_cbranch_execz .LBB418_273
.LBB418_292:
	v_add_co_u32 v3, vcc_lo, 0x3000, v1
	v_add_co_ci_u32_e32 v4, vcc_lo, 0, v2, vcc_lo
	flat_store_b32 v[3:4], v9 offset:1024
	s_or_b32 exec_lo, exec_lo, s0
	s_and_saveexec_b32 s0, s14
	s_cbranch_execnz .LBB418_274
	s_branch .LBB418_275
	.section	.rodata,"a",@progbits
	.p2align	6, 0x0
	.amdhsa_kernel _ZN7rocprim17ROCPRIM_400000_NS6detail17trampoline_kernelINS0_14default_configENS1_29binary_search_config_selectorIdiEEZNS1_14transform_implILb0ES3_S5_N6thrust23THRUST_200600_302600_NS6detail15normal_iteratorINS8_10device_ptrIdEEEENSA_INSB_IiEEEEZNS1_13binary_searchIS3_S5_SD_SD_SF_NS1_16binary_search_opENS9_16wrapped_functionINS0_4lessIvEEbEEEE10hipError_tPvRmT1_T2_T3_mmT4_T5_P12ihipStream_tbEUlRKdE_EESM_SQ_SR_mSS_SV_bEUlT_E_NS1_11comp_targetILNS1_3genE9ELNS1_11target_archE1100ELNS1_3gpuE3ELNS1_3repE0EEENS1_30default_config_static_selectorELNS0_4arch9wavefront6targetE0EEEvSP_
		.amdhsa_group_segment_fixed_size 0
		.amdhsa_private_segment_fixed_size 0
		.amdhsa_kernarg_size 312
		.amdhsa_user_sgpr_count 15
		.amdhsa_user_sgpr_dispatch_ptr 0
		.amdhsa_user_sgpr_queue_ptr 0
		.amdhsa_user_sgpr_kernarg_segment_ptr 1
		.amdhsa_user_sgpr_dispatch_id 0
		.amdhsa_user_sgpr_private_segment_size 0
		.amdhsa_wavefront_size32 1
		.amdhsa_uses_dynamic_stack 0
		.amdhsa_enable_private_segment 0
		.amdhsa_system_sgpr_workgroup_id_x 1
		.amdhsa_system_sgpr_workgroup_id_y 0
		.amdhsa_system_sgpr_workgroup_id_z 0
		.amdhsa_system_sgpr_workgroup_info 0
		.amdhsa_system_vgpr_workitem_id 0
		.amdhsa_next_free_vgpr 41
		.amdhsa_next_free_sgpr 28
		.amdhsa_reserve_vcc 1
		.amdhsa_float_round_mode_32 0
		.amdhsa_float_round_mode_16_64 0
		.amdhsa_float_denorm_mode_32 3
		.amdhsa_float_denorm_mode_16_64 3
		.amdhsa_dx10_clamp 1
		.amdhsa_ieee_mode 1
		.amdhsa_fp16_overflow 0
		.amdhsa_workgroup_processor_mode 1
		.amdhsa_memory_ordered 1
		.amdhsa_forward_progress 0
		.amdhsa_shared_vgpr_count 0
		.amdhsa_exception_fp_ieee_invalid_op 0
		.amdhsa_exception_fp_denorm_src 0
		.amdhsa_exception_fp_ieee_div_zero 0
		.amdhsa_exception_fp_ieee_overflow 0
		.amdhsa_exception_fp_ieee_underflow 0
		.amdhsa_exception_fp_ieee_inexact 0
		.amdhsa_exception_int_div_zero 0
	.end_amdhsa_kernel
	.section	.text._ZN7rocprim17ROCPRIM_400000_NS6detail17trampoline_kernelINS0_14default_configENS1_29binary_search_config_selectorIdiEEZNS1_14transform_implILb0ES3_S5_N6thrust23THRUST_200600_302600_NS6detail15normal_iteratorINS8_10device_ptrIdEEEENSA_INSB_IiEEEEZNS1_13binary_searchIS3_S5_SD_SD_SF_NS1_16binary_search_opENS9_16wrapped_functionINS0_4lessIvEEbEEEE10hipError_tPvRmT1_T2_T3_mmT4_T5_P12ihipStream_tbEUlRKdE_EESM_SQ_SR_mSS_SV_bEUlT_E_NS1_11comp_targetILNS1_3genE9ELNS1_11target_archE1100ELNS1_3gpuE3ELNS1_3repE0EEENS1_30default_config_static_selectorELNS0_4arch9wavefront6targetE0EEEvSP_,"axG",@progbits,_ZN7rocprim17ROCPRIM_400000_NS6detail17trampoline_kernelINS0_14default_configENS1_29binary_search_config_selectorIdiEEZNS1_14transform_implILb0ES3_S5_N6thrust23THRUST_200600_302600_NS6detail15normal_iteratorINS8_10device_ptrIdEEEENSA_INSB_IiEEEEZNS1_13binary_searchIS3_S5_SD_SD_SF_NS1_16binary_search_opENS9_16wrapped_functionINS0_4lessIvEEbEEEE10hipError_tPvRmT1_T2_T3_mmT4_T5_P12ihipStream_tbEUlRKdE_EESM_SQ_SR_mSS_SV_bEUlT_E_NS1_11comp_targetILNS1_3genE9ELNS1_11target_archE1100ELNS1_3gpuE3ELNS1_3repE0EEENS1_30default_config_static_selectorELNS0_4arch9wavefront6targetE0EEEvSP_,comdat
.Lfunc_end418:
	.size	_ZN7rocprim17ROCPRIM_400000_NS6detail17trampoline_kernelINS0_14default_configENS1_29binary_search_config_selectorIdiEEZNS1_14transform_implILb0ES3_S5_N6thrust23THRUST_200600_302600_NS6detail15normal_iteratorINS8_10device_ptrIdEEEENSA_INSB_IiEEEEZNS1_13binary_searchIS3_S5_SD_SD_SF_NS1_16binary_search_opENS9_16wrapped_functionINS0_4lessIvEEbEEEE10hipError_tPvRmT1_T2_T3_mmT4_T5_P12ihipStream_tbEUlRKdE_EESM_SQ_SR_mSS_SV_bEUlT_E_NS1_11comp_targetILNS1_3genE9ELNS1_11target_archE1100ELNS1_3gpuE3ELNS1_3repE0EEENS1_30default_config_static_selectorELNS0_4arch9wavefront6targetE0EEEvSP_, .Lfunc_end418-_ZN7rocprim17ROCPRIM_400000_NS6detail17trampoline_kernelINS0_14default_configENS1_29binary_search_config_selectorIdiEEZNS1_14transform_implILb0ES3_S5_N6thrust23THRUST_200600_302600_NS6detail15normal_iteratorINS8_10device_ptrIdEEEENSA_INSB_IiEEEEZNS1_13binary_searchIS3_S5_SD_SD_SF_NS1_16binary_search_opENS9_16wrapped_functionINS0_4lessIvEEbEEEE10hipError_tPvRmT1_T2_T3_mmT4_T5_P12ihipStream_tbEUlRKdE_EESM_SQ_SR_mSS_SV_bEUlT_E_NS1_11comp_targetILNS1_3genE9ELNS1_11target_archE1100ELNS1_3gpuE3ELNS1_3repE0EEENS1_30default_config_static_selectorELNS0_4arch9wavefront6targetE0EEEvSP_
                                        ; -- End function
	.section	.AMDGPU.csdata,"",@progbits
; Kernel info:
; codeLenInByte = 11896
; NumSgprs: 30
; NumVgprs: 41
; ScratchSize: 0
; MemoryBound: 0
; FloatMode: 240
; IeeeMode: 1
; LDSByteSize: 0 bytes/workgroup (compile time only)
; SGPRBlocks: 3
; VGPRBlocks: 5
; NumSGPRsForWavesPerEU: 30
; NumVGPRsForWavesPerEU: 41
; Occupancy: 16
; WaveLimiterHint : 1
; COMPUTE_PGM_RSRC2:SCRATCH_EN: 0
; COMPUTE_PGM_RSRC2:USER_SGPR: 15
; COMPUTE_PGM_RSRC2:TRAP_HANDLER: 0
; COMPUTE_PGM_RSRC2:TGID_X_EN: 1
; COMPUTE_PGM_RSRC2:TGID_Y_EN: 0
; COMPUTE_PGM_RSRC2:TGID_Z_EN: 0
; COMPUTE_PGM_RSRC2:TIDIG_COMP_CNT: 0
	.section	.text._ZN7rocprim17ROCPRIM_400000_NS6detail17trampoline_kernelINS0_14default_configENS1_29binary_search_config_selectorIdiEEZNS1_14transform_implILb0ES3_S5_N6thrust23THRUST_200600_302600_NS6detail15normal_iteratorINS8_10device_ptrIdEEEENSA_INSB_IiEEEEZNS1_13binary_searchIS3_S5_SD_SD_SF_NS1_16binary_search_opENS9_16wrapped_functionINS0_4lessIvEEbEEEE10hipError_tPvRmT1_T2_T3_mmT4_T5_P12ihipStream_tbEUlRKdE_EESM_SQ_SR_mSS_SV_bEUlT_E_NS1_11comp_targetILNS1_3genE8ELNS1_11target_archE1030ELNS1_3gpuE2ELNS1_3repE0EEENS1_30default_config_static_selectorELNS0_4arch9wavefront6targetE0EEEvSP_,"axG",@progbits,_ZN7rocprim17ROCPRIM_400000_NS6detail17trampoline_kernelINS0_14default_configENS1_29binary_search_config_selectorIdiEEZNS1_14transform_implILb0ES3_S5_N6thrust23THRUST_200600_302600_NS6detail15normal_iteratorINS8_10device_ptrIdEEEENSA_INSB_IiEEEEZNS1_13binary_searchIS3_S5_SD_SD_SF_NS1_16binary_search_opENS9_16wrapped_functionINS0_4lessIvEEbEEEE10hipError_tPvRmT1_T2_T3_mmT4_T5_P12ihipStream_tbEUlRKdE_EESM_SQ_SR_mSS_SV_bEUlT_E_NS1_11comp_targetILNS1_3genE8ELNS1_11target_archE1030ELNS1_3gpuE2ELNS1_3repE0EEENS1_30default_config_static_selectorELNS0_4arch9wavefront6targetE0EEEvSP_,comdat
	.protected	_ZN7rocprim17ROCPRIM_400000_NS6detail17trampoline_kernelINS0_14default_configENS1_29binary_search_config_selectorIdiEEZNS1_14transform_implILb0ES3_S5_N6thrust23THRUST_200600_302600_NS6detail15normal_iteratorINS8_10device_ptrIdEEEENSA_INSB_IiEEEEZNS1_13binary_searchIS3_S5_SD_SD_SF_NS1_16binary_search_opENS9_16wrapped_functionINS0_4lessIvEEbEEEE10hipError_tPvRmT1_T2_T3_mmT4_T5_P12ihipStream_tbEUlRKdE_EESM_SQ_SR_mSS_SV_bEUlT_E_NS1_11comp_targetILNS1_3genE8ELNS1_11target_archE1030ELNS1_3gpuE2ELNS1_3repE0EEENS1_30default_config_static_selectorELNS0_4arch9wavefront6targetE0EEEvSP_ ; -- Begin function _ZN7rocprim17ROCPRIM_400000_NS6detail17trampoline_kernelINS0_14default_configENS1_29binary_search_config_selectorIdiEEZNS1_14transform_implILb0ES3_S5_N6thrust23THRUST_200600_302600_NS6detail15normal_iteratorINS8_10device_ptrIdEEEENSA_INSB_IiEEEEZNS1_13binary_searchIS3_S5_SD_SD_SF_NS1_16binary_search_opENS9_16wrapped_functionINS0_4lessIvEEbEEEE10hipError_tPvRmT1_T2_T3_mmT4_T5_P12ihipStream_tbEUlRKdE_EESM_SQ_SR_mSS_SV_bEUlT_E_NS1_11comp_targetILNS1_3genE8ELNS1_11target_archE1030ELNS1_3gpuE2ELNS1_3repE0EEENS1_30default_config_static_selectorELNS0_4arch9wavefront6targetE0EEEvSP_
	.globl	_ZN7rocprim17ROCPRIM_400000_NS6detail17trampoline_kernelINS0_14default_configENS1_29binary_search_config_selectorIdiEEZNS1_14transform_implILb0ES3_S5_N6thrust23THRUST_200600_302600_NS6detail15normal_iteratorINS8_10device_ptrIdEEEENSA_INSB_IiEEEEZNS1_13binary_searchIS3_S5_SD_SD_SF_NS1_16binary_search_opENS9_16wrapped_functionINS0_4lessIvEEbEEEE10hipError_tPvRmT1_T2_T3_mmT4_T5_P12ihipStream_tbEUlRKdE_EESM_SQ_SR_mSS_SV_bEUlT_E_NS1_11comp_targetILNS1_3genE8ELNS1_11target_archE1030ELNS1_3gpuE2ELNS1_3repE0EEENS1_30default_config_static_selectorELNS0_4arch9wavefront6targetE0EEEvSP_
	.p2align	8
	.type	_ZN7rocprim17ROCPRIM_400000_NS6detail17trampoline_kernelINS0_14default_configENS1_29binary_search_config_selectorIdiEEZNS1_14transform_implILb0ES3_S5_N6thrust23THRUST_200600_302600_NS6detail15normal_iteratorINS8_10device_ptrIdEEEENSA_INSB_IiEEEEZNS1_13binary_searchIS3_S5_SD_SD_SF_NS1_16binary_search_opENS9_16wrapped_functionINS0_4lessIvEEbEEEE10hipError_tPvRmT1_T2_T3_mmT4_T5_P12ihipStream_tbEUlRKdE_EESM_SQ_SR_mSS_SV_bEUlT_E_NS1_11comp_targetILNS1_3genE8ELNS1_11target_archE1030ELNS1_3gpuE2ELNS1_3repE0EEENS1_30default_config_static_selectorELNS0_4arch9wavefront6targetE0EEEvSP_,@function
_ZN7rocprim17ROCPRIM_400000_NS6detail17trampoline_kernelINS0_14default_configENS1_29binary_search_config_selectorIdiEEZNS1_14transform_implILb0ES3_S5_N6thrust23THRUST_200600_302600_NS6detail15normal_iteratorINS8_10device_ptrIdEEEENSA_INSB_IiEEEEZNS1_13binary_searchIS3_S5_SD_SD_SF_NS1_16binary_search_opENS9_16wrapped_functionINS0_4lessIvEEbEEEE10hipError_tPvRmT1_T2_T3_mmT4_T5_P12ihipStream_tbEUlRKdE_EESM_SQ_SR_mSS_SV_bEUlT_E_NS1_11comp_targetILNS1_3genE8ELNS1_11target_archE1030ELNS1_3gpuE2ELNS1_3repE0EEENS1_30default_config_static_selectorELNS0_4arch9wavefront6targetE0EEEvSP_: ; @_ZN7rocprim17ROCPRIM_400000_NS6detail17trampoline_kernelINS0_14default_configENS1_29binary_search_config_selectorIdiEEZNS1_14transform_implILb0ES3_S5_N6thrust23THRUST_200600_302600_NS6detail15normal_iteratorINS8_10device_ptrIdEEEENSA_INSB_IiEEEEZNS1_13binary_searchIS3_S5_SD_SD_SF_NS1_16binary_search_opENS9_16wrapped_functionINS0_4lessIvEEbEEEE10hipError_tPvRmT1_T2_T3_mmT4_T5_P12ihipStream_tbEUlRKdE_EESM_SQ_SR_mSS_SV_bEUlT_E_NS1_11comp_targetILNS1_3genE8ELNS1_11target_archE1030ELNS1_3gpuE2ELNS1_3repE0EEENS1_30default_config_static_selectorELNS0_4arch9wavefront6targetE0EEEvSP_
; %bb.0:
	.section	.rodata,"a",@progbits
	.p2align	6, 0x0
	.amdhsa_kernel _ZN7rocprim17ROCPRIM_400000_NS6detail17trampoline_kernelINS0_14default_configENS1_29binary_search_config_selectorIdiEEZNS1_14transform_implILb0ES3_S5_N6thrust23THRUST_200600_302600_NS6detail15normal_iteratorINS8_10device_ptrIdEEEENSA_INSB_IiEEEEZNS1_13binary_searchIS3_S5_SD_SD_SF_NS1_16binary_search_opENS9_16wrapped_functionINS0_4lessIvEEbEEEE10hipError_tPvRmT1_T2_T3_mmT4_T5_P12ihipStream_tbEUlRKdE_EESM_SQ_SR_mSS_SV_bEUlT_E_NS1_11comp_targetILNS1_3genE8ELNS1_11target_archE1030ELNS1_3gpuE2ELNS1_3repE0EEENS1_30default_config_static_selectorELNS0_4arch9wavefront6targetE0EEEvSP_
		.amdhsa_group_segment_fixed_size 0
		.amdhsa_private_segment_fixed_size 0
		.amdhsa_kernarg_size 56
		.amdhsa_user_sgpr_count 15
		.amdhsa_user_sgpr_dispatch_ptr 0
		.amdhsa_user_sgpr_queue_ptr 0
		.amdhsa_user_sgpr_kernarg_segment_ptr 1
		.amdhsa_user_sgpr_dispatch_id 0
		.amdhsa_user_sgpr_private_segment_size 0
		.amdhsa_wavefront_size32 1
		.amdhsa_uses_dynamic_stack 0
		.amdhsa_enable_private_segment 0
		.amdhsa_system_sgpr_workgroup_id_x 1
		.amdhsa_system_sgpr_workgroup_id_y 0
		.amdhsa_system_sgpr_workgroup_id_z 0
		.amdhsa_system_sgpr_workgroup_info 0
		.amdhsa_system_vgpr_workitem_id 0
		.amdhsa_next_free_vgpr 1
		.amdhsa_next_free_sgpr 1
		.amdhsa_reserve_vcc 0
		.amdhsa_float_round_mode_32 0
		.amdhsa_float_round_mode_16_64 0
		.amdhsa_float_denorm_mode_32 3
		.amdhsa_float_denorm_mode_16_64 3
		.amdhsa_dx10_clamp 1
		.amdhsa_ieee_mode 1
		.amdhsa_fp16_overflow 0
		.amdhsa_workgroup_processor_mode 1
		.amdhsa_memory_ordered 1
		.amdhsa_forward_progress 0
		.amdhsa_shared_vgpr_count 0
		.amdhsa_exception_fp_ieee_invalid_op 0
		.amdhsa_exception_fp_denorm_src 0
		.amdhsa_exception_fp_ieee_div_zero 0
		.amdhsa_exception_fp_ieee_overflow 0
		.amdhsa_exception_fp_ieee_underflow 0
		.amdhsa_exception_fp_ieee_inexact 0
		.amdhsa_exception_int_div_zero 0
	.end_amdhsa_kernel
	.section	.text._ZN7rocprim17ROCPRIM_400000_NS6detail17trampoline_kernelINS0_14default_configENS1_29binary_search_config_selectorIdiEEZNS1_14transform_implILb0ES3_S5_N6thrust23THRUST_200600_302600_NS6detail15normal_iteratorINS8_10device_ptrIdEEEENSA_INSB_IiEEEEZNS1_13binary_searchIS3_S5_SD_SD_SF_NS1_16binary_search_opENS9_16wrapped_functionINS0_4lessIvEEbEEEE10hipError_tPvRmT1_T2_T3_mmT4_T5_P12ihipStream_tbEUlRKdE_EESM_SQ_SR_mSS_SV_bEUlT_E_NS1_11comp_targetILNS1_3genE8ELNS1_11target_archE1030ELNS1_3gpuE2ELNS1_3repE0EEENS1_30default_config_static_selectorELNS0_4arch9wavefront6targetE0EEEvSP_,"axG",@progbits,_ZN7rocprim17ROCPRIM_400000_NS6detail17trampoline_kernelINS0_14default_configENS1_29binary_search_config_selectorIdiEEZNS1_14transform_implILb0ES3_S5_N6thrust23THRUST_200600_302600_NS6detail15normal_iteratorINS8_10device_ptrIdEEEENSA_INSB_IiEEEEZNS1_13binary_searchIS3_S5_SD_SD_SF_NS1_16binary_search_opENS9_16wrapped_functionINS0_4lessIvEEbEEEE10hipError_tPvRmT1_T2_T3_mmT4_T5_P12ihipStream_tbEUlRKdE_EESM_SQ_SR_mSS_SV_bEUlT_E_NS1_11comp_targetILNS1_3genE8ELNS1_11target_archE1030ELNS1_3gpuE2ELNS1_3repE0EEENS1_30default_config_static_selectorELNS0_4arch9wavefront6targetE0EEEvSP_,comdat
.Lfunc_end419:
	.size	_ZN7rocprim17ROCPRIM_400000_NS6detail17trampoline_kernelINS0_14default_configENS1_29binary_search_config_selectorIdiEEZNS1_14transform_implILb0ES3_S5_N6thrust23THRUST_200600_302600_NS6detail15normal_iteratorINS8_10device_ptrIdEEEENSA_INSB_IiEEEEZNS1_13binary_searchIS3_S5_SD_SD_SF_NS1_16binary_search_opENS9_16wrapped_functionINS0_4lessIvEEbEEEE10hipError_tPvRmT1_T2_T3_mmT4_T5_P12ihipStream_tbEUlRKdE_EESM_SQ_SR_mSS_SV_bEUlT_E_NS1_11comp_targetILNS1_3genE8ELNS1_11target_archE1030ELNS1_3gpuE2ELNS1_3repE0EEENS1_30default_config_static_selectorELNS0_4arch9wavefront6targetE0EEEvSP_, .Lfunc_end419-_ZN7rocprim17ROCPRIM_400000_NS6detail17trampoline_kernelINS0_14default_configENS1_29binary_search_config_selectorIdiEEZNS1_14transform_implILb0ES3_S5_N6thrust23THRUST_200600_302600_NS6detail15normal_iteratorINS8_10device_ptrIdEEEENSA_INSB_IiEEEEZNS1_13binary_searchIS3_S5_SD_SD_SF_NS1_16binary_search_opENS9_16wrapped_functionINS0_4lessIvEEbEEEE10hipError_tPvRmT1_T2_T3_mmT4_T5_P12ihipStream_tbEUlRKdE_EESM_SQ_SR_mSS_SV_bEUlT_E_NS1_11comp_targetILNS1_3genE8ELNS1_11target_archE1030ELNS1_3gpuE2ELNS1_3repE0EEENS1_30default_config_static_selectorELNS0_4arch9wavefront6targetE0EEEvSP_
                                        ; -- End function
	.section	.AMDGPU.csdata,"",@progbits
; Kernel info:
; codeLenInByte = 0
; NumSgprs: 0
; NumVgprs: 0
; ScratchSize: 0
; MemoryBound: 0
; FloatMode: 240
; IeeeMode: 1
; LDSByteSize: 0 bytes/workgroup (compile time only)
; SGPRBlocks: 0
; VGPRBlocks: 0
; NumSGPRsForWavesPerEU: 1
; NumVGPRsForWavesPerEU: 1
; Occupancy: 16
; WaveLimiterHint : 0
; COMPUTE_PGM_RSRC2:SCRATCH_EN: 0
; COMPUTE_PGM_RSRC2:USER_SGPR: 15
; COMPUTE_PGM_RSRC2:TRAP_HANDLER: 0
; COMPUTE_PGM_RSRC2:TGID_X_EN: 1
; COMPUTE_PGM_RSRC2:TGID_Y_EN: 0
; COMPUTE_PGM_RSRC2:TGID_Z_EN: 0
; COMPUTE_PGM_RSRC2:TIDIG_COMP_CNT: 0
	.section	.text._ZN7rocprim17ROCPRIM_400000_NS6detail17trampoline_kernelINS0_14default_configENS1_29binary_search_config_selectorIfbEEZNS1_14transform_implILb0ES3_S5_N6thrust23THRUST_200600_302600_NS6detail15normal_iteratorINS8_10device_ptrIfEEEENSA_INSB_IbEEEEZNS1_13binary_searchIS3_S5_SD_SD_SF_NS1_16binary_search_opENS9_16wrapped_functionINS0_4lessIvEEbEEEE10hipError_tPvRmT1_T2_T3_mmT4_T5_P12ihipStream_tbEUlRKfE_EESM_SQ_SR_mSS_SV_bEUlT_E_NS1_11comp_targetILNS1_3genE0ELNS1_11target_archE4294967295ELNS1_3gpuE0ELNS1_3repE0EEENS1_30default_config_static_selectorELNS0_4arch9wavefront6targetE0EEEvSP_,"axG",@progbits,_ZN7rocprim17ROCPRIM_400000_NS6detail17trampoline_kernelINS0_14default_configENS1_29binary_search_config_selectorIfbEEZNS1_14transform_implILb0ES3_S5_N6thrust23THRUST_200600_302600_NS6detail15normal_iteratorINS8_10device_ptrIfEEEENSA_INSB_IbEEEEZNS1_13binary_searchIS3_S5_SD_SD_SF_NS1_16binary_search_opENS9_16wrapped_functionINS0_4lessIvEEbEEEE10hipError_tPvRmT1_T2_T3_mmT4_T5_P12ihipStream_tbEUlRKfE_EESM_SQ_SR_mSS_SV_bEUlT_E_NS1_11comp_targetILNS1_3genE0ELNS1_11target_archE4294967295ELNS1_3gpuE0ELNS1_3repE0EEENS1_30default_config_static_selectorELNS0_4arch9wavefront6targetE0EEEvSP_,comdat
	.protected	_ZN7rocprim17ROCPRIM_400000_NS6detail17trampoline_kernelINS0_14default_configENS1_29binary_search_config_selectorIfbEEZNS1_14transform_implILb0ES3_S5_N6thrust23THRUST_200600_302600_NS6detail15normal_iteratorINS8_10device_ptrIfEEEENSA_INSB_IbEEEEZNS1_13binary_searchIS3_S5_SD_SD_SF_NS1_16binary_search_opENS9_16wrapped_functionINS0_4lessIvEEbEEEE10hipError_tPvRmT1_T2_T3_mmT4_T5_P12ihipStream_tbEUlRKfE_EESM_SQ_SR_mSS_SV_bEUlT_E_NS1_11comp_targetILNS1_3genE0ELNS1_11target_archE4294967295ELNS1_3gpuE0ELNS1_3repE0EEENS1_30default_config_static_selectorELNS0_4arch9wavefront6targetE0EEEvSP_ ; -- Begin function _ZN7rocprim17ROCPRIM_400000_NS6detail17trampoline_kernelINS0_14default_configENS1_29binary_search_config_selectorIfbEEZNS1_14transform_implILb0ES3_S5_N6thrust23THRUST_200600_302600_NS6detail15normal_iteratorINS8_10device_ptrIfEEEENSA_INSB_IbEEEEZNS1_13binary_searchIS3_S5_SD_SD_SF_NS1_16binary_search_opENS9_16wrapped_functionINS0_4lessIvEEbEEEE10hipError_tPvRmT1_T2_T3_mmT4_T5_P12ihipStream_tbEUlRKfE_EESM_SQ_SR_mSS_SV_bEUlT_E_NS1_11comp_targetILNS1_3genE0ELNS1_11target_archE4294967295ELNS1_3gpuE0ELNS1_3repE0EEENS1_30default_config_static_selectorELNS0_4arch9wavefront6targetE0EEEvSP_
	.globl	_ZN7rocprim17ROCPRIM_400000_NS6detail17trampoline_kernelINS0_14default_configENS1_29binary_search_config_selectorIfbEEZNS1_14transform_implILb0ES3_S5_N6thrust23THRUST_200600_302600_NS6detail15normal_iteratorINS8_10device_ptrIfEEEENSA_INSB_IbEEEEZNS1_13binary_searchIS3_S5_SD_SD_SF_NS1_16binary_search_opENS9_16wrapped_functionINS0_4lessIvEEbEEEE10hipError_tPvRmT1_T2_T3_mmT4_T5_P12ihipStream_tbEUlRKfE_EESM_SQ_SR_mSS_SV_bEUlT_E_NS1_11comp_targetILNS1_3genE0ELNS1_11target_archE4294967295ELNS1_3gpuE0ELNS1_3repE0EEENS1_30default_config_static_selectorELNS0_4arch9wavefront6targetE0EEEvSP_
	.p2align	8
	.type	_ZN7rocprim17ROCPRIM_400000_NS6detail17trampoline_kernelINS0_14default_configENS1_29binary_search_config_selectorIfbEEZNS1_14transform_implILb0ES3_S5_N6thrust23THRUST_200600_302600_NS6detail15normal_iteratorINS8_10device_ptrIfEEEENSA_INSB_IbEEEEZNS1_13binary_searchIS3_S5_SD_SD_SF_NS1_16binary_search_opENS9_16wrapped_functionINS0_4lessIvEEbEEEE10hipError_tPvRmT1_T2_T3_mmT4_T5_P12ihipStream_tbEUlRKfE_EESM_SQ_SR_mSS_SV_bEUlT_E_NS1_11comp_targetILNS1_3genE0ELNS1_11target_archE4294967295ELNS1_3gpuE0ELNS1_3repE0EEENS1_30default_config_static_selectorELNS0_4arch9wavefront6targetE0EEEvSP_,@function
_ZN7rocprim17ROCPRIM_400000_NS6detail17trampoline_kernelINS0_14default_configENS1_29binary_search_config_selectorIfbEEZNS1_14transform_implILb0ES3_S5_N6thrust23THRUST_200600_302600_NS6detail15normal_iteratorINS8_10device_ptrIfEEEENSA_INSB_IbEEEEZNS1_13binary_searchIS3_S5_SD_SD_SF_NS1_16binary_search_opENS9_16wrapped_functionINS0_4lessIvEEbEEEE10hipError_tPvRmT1_T2_T3_mmT4_T5_P12ihipStream_tbEUlRKfE_EESM_SQ_SR_mSS_SV_bEUlT_E_NS1_11comp_targetILNS1_3genE0ELNS1_11target_archE4294967295ELNS1_3gpuE0ELNS1_3repE0EEENS1_30default_config_static_selectorELNS0_4arch9wavefront6targetE0EEEvSP_: ; @_ZN7rocprim17ROCPRIM_400000_NS6detail17trampoline_kernelINS0_14default_configENS1_29binary_search_config_selectorIfbEEZNS1_14transform_implILb0ES3_S5_N6thrust23THRUST_200600_302600_NS6detail15normal_iteratorINS8_10device_ptrIfEEEENSA_INSB_IbEEEEZNS1_13binary_searchIS3_S5_SD_SD_SF_NS1_16binary_search_opENS9_16wrapped_functionINS0_4lessIvEEbEEEE10hipError_tPvRmT1_T2_T3_mmT4_T5_P12ihipStream_tbEUlRKfE_EESM_SQ_SR_mSS_SV_bEUlT_E_NS1_11comp_targetILNS1_3genE0ELNS1_11target_archE4294967295ELNS1_3gpuE0ELNS1_3repE0EEENS1_30default_config_static_selectorELNS0_4arch9wavefront6targetE0EEEvSP_
; %bb.0:
	.section	.rodata,"a",@progbits
	.p2align	6, 0x0
	.amdhsa_kernel _ZN7rocprim17ROCPRIM_400000_NS6detail17trampoline_kernelINS0_14default_configENS1_29binary_search_config_selectorIfbEEZNS1_14transform_implILb0ES3_S5_N6thrust23THRUST_200600_302600_NS6detail15normal_iteratorINS8_10device_ptrIfEEEENSA_INSB_IbEEEEZNS1_13binary_searchIS3_S5_SD_SD_SF_NS1_16binary_search_opENS9_16wrapped_functionINS0_4lessIvEEbEEEE10hipError_tPvRmT1_T2_T3_mmT4_T5_P12ihipStream_tbEUlRKfE_EESM_SQ_SR_mSS_SV_bEUlT_E_NS1_11comp_targetILNS1_3genE0ELNS1_11target_archE4294967295ELNS1_3gpuE0ELNS1_3repE0EEENS1_30default_config_static_selectorELNS0_4arch9wavefront6targetE0EEEvSP_
		.amdhsa_group_segment_fixed_size 0
		.amdhsa_private_segment_fixed_size 0
		.amdhsa_kernarg_size 56
		.amdhsa_user_sgpr_count 15
		.amdhsa_user_sgpr_dispatch_ptr 0
		.amdhsa_user_sgpr_queue_ptr 0
		.amdhsa_user_sgpr_kernarg_segment_ptr 1
		.amdhsa_user_sgpr_dispatch_id 0
		.amdhsa_user_sgpr_private_segment_size 0
		.amdhsa_wavefront_size32 1
		.amdhsa_uses_dynamic_stack 0
		.amdhsa_enable_private_segment 0
		.amdhsa_system_sgpr_workgroup_id_x 1
		.amdhsa_system_sgpr_workgroup_id_y 0
		.amdhsa_system_sgpr_workgroup_id_z 0
		.amdhsa_system_sgpr_workgroup_info 0
		.amdhsa_system_vgpr_workitem_id 0
		.amdhsa_next_free_vgpr 1
		.amdhsa_next_free_sgpr 1
		.amdhsa_reserve_vcc 0
		.amdhsa_float_round_mode_32 0
		.amdhsa_float_round_mode_16_64 0
		.amdhsa_float_denorm_mode_32 3
		.amdhsa_float_denorm_mode_16_64 3
		.amdhsa_dx10_clamp 1
		.amdhsa_ieee_mode 1
		.amdhsa_fp16_overflow 0
		.amdhsa_workgroup_processor_mode 1
		.amdhsa_memory_ordered 1
		.amdhsa_forward_progress 0
		.amdhsa_shared_vgpr_count 0
		.amdhsa_exception_fp_ieee_invalid_op 0
		.amdhsa_exception_fp_denorm_src 0
		.amdhsa_exception_fp_ieee_div_zero 0
		.amdhsa_exception_fp_ieee_overflow 0
		.amdhsa_exception_fp_ieee_underflow 0
		.amdhsa_exception_fp_ieee_inexact 0
		.amdhsa_exception_int_div_zero 0
	.end_amdhsa_kernel
	.section	.text._ZN7rocprim17ROCPRIM_400000_NS6detail17trampoline_kernelINS0_14default_configENS1_29binary_search_config_selectorIfbEEZNS1_14transform_implILb0ES3_S5_N6thrust23THRUST_200600_302600_NS6detail15normal_iteratorINS8_10device_ptrIfEEEENSA_INSB_IbEEEEZNS1_13binary_searchIS3_S5_SD_SD_SF_NS1_16binary_search_opENS9_16wrapped_functionINS0_4lessIvEEbEEEE10hipError_tPvRmT1_T2_T3_mmT4_T5_P12ihipStream_tbEUlRKfE_EESM_SQ_SR_mSS_SV_bEUlT_E_NS1_11comp_targetILNS1_3genE0ELNS1_11target_archE4294967295ELNS1_3gpuE0ELNS1_3repE0EEENS1_30default_config_static_selectorELNS0_4arch9wavefront6targetE0EEEvSP_,"axG",@progbits,_ZN7rocprim17ROCPRIM_400000_NS6detail17trampoline_kernelINS0_14default_configENS1_29binary_search_config_selectorIfbEEZNS1_14transform_implILb0ES3_S5_N6thrust23THRUST_200600_302600_NS6detail15normal_iteratorINS8_10device_ptrIfEEEENSA_INSB_IbEEEEZNS1_13binary_searchIS3_S5_SD_SD_SF_NS1_16binary_search_opENS9_16wrapped_functionINS0_4lessIvEEbEEEE10hipError_tPvRmT1_T2_T3_mmT4_T5_P12ihipStream_tbEUlRKfE_EESM_SQ_SR_mSS_SV_bEUlT_E_NS1_11comp_targetILNS1_3genE0ELNS1_11target_archE4294967295ELNS1_3gpuE0ELNS1_3repE0EEENS1_30default_config_static_selectorELNS0_4arch9wavefront6targetE0EEEvSP_,comdat
.Lfunc_end420:
	.size	_ZN7rocprim17ROCPRIM_400000_NS6detail17trampoline_kernelINS0_14default_configENS1_29binary_search_config_selectorIfbEEZNS1_14transform_implILb0ES3_S5_N6thrust23THRUST_200600_302600_NS6detail15normal_iteratorINS8_10device_ptrIfEEEENSA_INSB_IbEEEEZNS1_13binary_searchIS3_S5_SD_SD_SF_NS1_16binary_search_opENS9_16wrapped_functionINS0_4lessIvEEbEEEE10hipError_tPvRmT1_T2_T3_mmT4_T5_P12ihipStream_tbEUlRKfE_EESM_SQ_SR_mSS_SV_bEUlT_E_NS1_11comp_targetILNS1_3genE0ELNS1_11target_archE4294967295ELNS1_3gpuE0ELNS1_3repE0EEENS1_30default_config_static_selectorELNS0_4arch9wavefront6targetE0EEEvSP_, .Lfunc_end420-_ZN7rocprim17ROCPRIM_400000_NS6detail17trampoline_kernelINS0_14default_configENS1_29binary_search_config_selectorIfbEEZNS1_14transform_implILb0ES3_S5_N6thrust23THRUST_200600_302600_NS6detail15normal_iteratorINS8_10device_ptrIfEEEENSA_INSB_IbEEEEZNS1_13binary_searchIS3_S5_SD_SD_SF_NS1_16binary_search_opENS9_16wrapped_functionINS0_4lessIvEEbEEEE10hipError_tPvRmT1_T2_T3_mmT4_T5_P12ihipStream_tbEUlRKfE_EESM_SQ_SR_mSS_SV_bEUlT_E_NS1_11comp_targetILNS1_3genE0ELNS1_11target_archE4294967295ELNS1_3gpuE0ELNS1_3repE0EEENS1_30default_config_static_selectorELNS0_4arch9wavefront6targetE0EEEvSP_
                                        ; -- End function
	.section	.AMDGPU.csdata,"",@progbits
; Kernel info:
; codeLenInByte = 0
; NumSgprs: 0
; NumVgprs: 0
; ScratchSize: 0
; MemoryBound: 0
; FloatMode: 240
; IeeeMode: 1
; LDSByteSize: 0 bytes/workgroup (compile time only)
; SGPRBlocks: 0
; VGPRBlocks: 0
; NumSGPRsForWavesPerEU: 1
; NumVGPRsForWavesPerEU: 1
; Occupancy: 16
; WaveLimiterHint : 0
; COMPUTE_PGM_RSRC2:SCRATCH_EN: 0
; COMPUTE_PGM_RSRC2:USER_SGPR: 15
; COMPUTE_PGM_RSRC2:TRAP_HANDLER: 0
; COMPUTE_PGM_RSRC2:TGID_X_EN: 1
; COMPUTE_PGM_RSRC2:TGID_Y_EN: 0
; COMPUTE_PGM_RSRC2:TGID_Z_EN: 0
; COMPUTE_PGM_RSRC2:TIDIG_COMP_CNT: 0
	.section	.text._ZN7rocprim17ROCPRIM_400000_NS6detail17trampoline_kernelINS0_14default_configENS1_29binary_search_config_selectorIfbEEZNS1_14transform_implILb0ES3_S5_N6thrust23THRUST_200600_302600_NS6detail15normal_iteratorINS8_10device_ptrIfEEEENSA_INSB_IbEEEEZNS1_13binary_searchIS3_S5_SD_SD_SF_NS1_16binary_search_opENS9_16wrapped_functionINS0_4lessIvEEbEEEE10hipError_tPvRmT1_T2_T3_mmT4_T5_P12ihipStream_tbEUlRKfE_EESM_SQ_SR_mSS_SV_bEUlT_E_NS1_11comp_targetILNS1_3genE5ELNS1_11target_archE942ELNS1_3gpuE9ELNS1_3repE0EEENS1_30default_config_static_selectorELNS0_4arch9wavefront6targetE0EEEvSP_,"axG",@progbits,_ZN7rocprim17ROCPRIM_400000_NS6detail17trampoline_kernelINS0_14default_configENS1_29binary_search_config_selectorIfbEEZNS1_14transform_implILb0ES3_S5_N6thrust23THRUST_200600_302600_NS6detail15normal_iteratorINS8_10device_ptrIfEEEENSA_INSB_IbEEEEZNS1_13binary_searchIS3_S5_SD_SD_SF_NS1_16binary_search_opENS9_16wrapped_functionINS0_4lessIvEEbEEEE10hipError_tPvRmT1_T2_T3_mmT4_T5_P12ihipStream_tbEUlRKfE_EESM_SQ_SR_mSS_SV_bEUlT_E_NS1_11comp_targetILNS1_3genE5ELNS1_11target_archE942ELNS1_3gpuE9ELNS1_3repE0EEENS1_30default_config_static_selectorELNS0_4arch9wavefront6targetE0EEEvSP_,comdat
	.protected	_ZN7rocprim17ROCPRIM_400000_NS6detail17trampoline_kernelINS0_14default_configENS1_29binary_search_config_selectorIfbEEZNS1_14transform_implILb0ES3_S5_N6thrust23THRUST_200600_302600_NS6detail15normal_iteratorINS8_10device_ptrIfEEEENSA_INSB_IbEEEEZNS1_13binary_searchIS3_S5_SD_SD_SF_NS1_16binary_search_opENS9_16wrapped_functionINS0_4lessIvEEbEEEE10hipError_tPvRmT1_T2_T3_mmT4_T5_P12ihipStream_tbEUlRKfE_EESM_SQ_SR_mSS_SV_bEUlT_E_NS1_11comp_targetILNS1_3genE5ELNS1_11target_archE942ELNS1_3gpuE9ELNS1_3repE0EEENS1_30default_config_static_selectorELNS0_4arch9wavefront6targetE0EEEvSP_ ; -- Begin function _ZN7rocprim17ROCPRIM_400000_NS6detail17trampoline_kernelINS0_14default_configENS1_29binary_search_config_selectorIfbEEZNS1_14transform_implILb0ES3_S5_N6thrust23THRUST_200600_302600_NS6detail15normal_iteratorINS8_10device_ptrIfEEEENSA_INSB_IbEEEEZNS1_13binary_searchIS3_S5_SD_SD_SF_NS1_16binary_search_opENS9_16wrapped_functionINS0_4lessIvEEbEEEE10hipError_tPvRmT1_T2_T3_mmT4_T5_P12ihipStream_tbEUlRKfE_EESM_SQ_SR_mSS_SV_bEUlT_E_NS1_11comp_targetILNS1_3genE5ELNS1_11target_archE942ELNS1_3gpuE9ELNS1_3repE0EEENS1_30default_config_static_selectorELNS0_4arch9wavefront6targetE0EEEvSP_
	.globl	_ZN7rocprim17ROCPRIM_400000_NS6detail17trampoline_kernelINS0_14default_configENS1_29binary_search_config_selectorIfbEEZNS1_14transform_implILb0ES3_S5_N6thrust23THRUST_200600_302600_NS6detail15normal_iteratorINS8_10device_ptrIfEEEENSA_INSB_IbEEEEZNS1_13binary_searchIS3_S5_SD_SD_SF_NS1_16binary_search_opENS9_16wrapped_functionINS0_4lessIvEEbEEEE10hipError_tPvRmT1_T2_T3_mmT4_T5_P12ihipStream_tbEUlRKfE_EESM_SQ_SR_mSS_SV_bEUlT_E_NS1_11comp_targetILNS1_3genE5ELNS1_11target_archE942ELNS1_3gpuE9ELNS1_3repE0EEENS1_30default_config_static_selectorELNS0_4arch9wavefront6targetE0EEEvSP_
	.p2align	8
	.type	_ZN7rocprim17ROCPRIM_400000_NS6detail17trampoline_kernelINS0_14default_configENS1_29binary_search_config_selectorIfbEEZNS1_14transform_implILb0ES3_S5_N6thrust23THRUST_200600_302600_NS6detail15normal_iteratorINS8_10device_ptrIfEEEENSA_INSB_IbEEEEZNS1_13binary_searchIS3_S5_SD_SD_SF_NS1_16binary_search_opENS9_16wrapped_functionINS0_4lessIvEEbEEEE10hipError_tPvRmT1_T2_T3_mmT4_T5_P12ihipStream_tbEUlRKfE_EESM_SQ_SR_mSS_SV_bEUlT_E_NS1_11comp_targetILNS1_3genE5ELNS1_11target_archE942ELNS1_3gpuE9ELNS1_3repE0EEENS1_30default_config_static_selectorELNS0_4arch9wavefront6targetE0EEEvSP_,@function
_ZN7rocprim17ROCPRIM_400000_NS6detail17trampoline_kernelINS0_14default_configENS1_29binary_search_config_selectorIfbEEZNS1_14transform_implILb0ES3_S5_N6thrust23THRUST_200600_302600_NS6detail15normal_iteratorINS8_10device_ptrIfEEEENSA_INSB_IbEEEEZNS1_13binary_searchIS3_S5_SD_SD_SF_NS1_16binary_search_opENS9_16wrapped_functionINS0_4lessIvEEbEEEE10hipError_tPvRmT1_T2_T3_mmT4_T5_P12ihipStream_tbEUlRKfE_EESM_SQ_SR_mSS_SV_bEUlT_E_NS1_11comp_targetILNS1_3genE5ELNS1_11target_archE942ELNS1_3gpuE9ELNS1_3repE0EEENS1_30default_config_static_selectorELNS0_4arch9wavefront6targetE0EEEvSP_: ; @_ZN7rocprim17ROCPRIM_400000_NS6detail17trampoline_kernelINS0_14default_configENS1_29binary_search_config_selectorIfbEEZNS1_14transform_implILb0ES3_S5_N6thrust23THRUST_200600_302600_NS6detail15normal_iteratorINS8_10device_ptrIfEEEENSA_INSB_IbEEEEZNS1_13binary_searchIS3_S5_SD_SD_SF_NS1_16binary_search_opENS9_16wrapped_functionINS0_4lessIvEEbEEEE10hipError_tPvRmT1_T2_T3_mmT4_T5_P12ihipStream_tbEUlRKfE_EESM_SQ_SR_mSS_SV_bEUlT_E_NS1_11comp_targetILNS1_3genE5ELNS1_11target_archE942ELNS1_3gpuE9ELNS1_3repE0EEENS1_30default_config_static_selectorELNS0_4arch9wavefront6targetE0EEEvSP_
; %bb.0:
	.section	.rodata,"a",@progbits
	.p2align	6, 0x0
	.amdhsa_kernel _ZN7rocprim17ROCPRIM_400000_NS6detail17trampoline_kernelINS0_14default_configENS1_29binary_search_config_selectorIfbEEZNS1_14transform_implILb0ES3_S5_N6thrust23THRUST_200600_302600_NS6detail15normal_iteratorINS8_10device_ptrIfEEEENSA_INSB_IbEEEEZNS1_13binary_searchIS3_S5_SD_SD_SF_NS1_16binary_search_opENS9_16wrapped_functionINS0_4lessIvEEbEEEE10hipError_tPvRmT1_T2_T3_mmT4_T5_P12ihipStream_tbEUlRKfE_EESM_SQ_SR_mSS_SV_bEUlT_E_NS1_11comp_targetILNS1_3genE5ELNS1_11target_archE942ELNS1_3gpuE9ELNS1_3repE0EEENS1_30default_config_static_selectorELNS0_4arch9wavefront6targetE0EEEvSP_
		.amdhsa_group_segment_fixed_size 0
		.amdhsa_private_segment_fixed_size 0
		.amdhsa_kernarg_size 56
		.amdhsa_user_sgpr_count 15
		.amdhsa_user_sgpr_dispatch_ptr 0
		.amdhsa_user_sgpr_queue_ptr 0
		.amdhsa_user_sgpr_kernarg_segment_ptr 1
		.amdhsa_user_sgpr_dispatch_id 0
		.amdhsa_user_sgpr_private_segment_size 0
		.amdhsa_wavefront_size32 1
		.amdhsa_uses_dynamic_stack 0
		.amdhsa_enable_private_segment 0
		.amdhsa_system_sgpr_workgroup_id_x 1
		.amdhsa_system_sgpr_workgroup_id_y 0
		.amdhsa_system_sgpr_workgroup_id_z 0
		.amdhsa_system_sgpr_workgroup_info 0
		.amdhsa_system_vgpr_workitem_id 0
		.amdhsa_next_free_vgpr 1
		.amdhsa_next_free_sgpr 1
		.amdhsa_reserve_vcc 0
		.amdhsa_float_round_mode_32 0
		.amdhsa_float_round_mode_16_64 0
		.amdhsa_float_denorm_mode_32 3
		.amdhsa_float_denorm_mode_16_64 3
		.amdhsa_dx10_clamp 1
		.amdhsa_ieee_mode 1
		.amdhsa_fp16_overflow 0
		.amdhsa_workgroup_processor_mode 1
		.amdhsa_memory_ordered 1
		.amdhsa_forward_progress 0
		.amdhsa_shared_vgpr_count 0
		.amdhsa_exception_fp_ieee_invalid_op 0
		.amdhsa_exception_fp_denorm_src 0
		.amdhsa_exception_fp_ieee_div_zero 0
		.amdhsa_exception_fp_ieee_overflow 0
		.amdhsa_exception_fp_ieee_underflow 0
		.amdhsa_exception_fp_ieee_inexact 0
		.amdhsa_exception_int_div_zero 0
	.end_amdhsa_kernel
	.section	.text._ZN7rocprim17ROCPRIM_400000_NS6detail17trampoline_kernelINS0_14default_configENS1_29binary_search_config_selectorIfbEEZNS1_14transform_implILb0ES3_S5_N6thrust23THRUST_200600_302600_NS6detail15normal_iteratorINS8_10device_ptrIfEEEENSA_INSB_IbEEEEZNS1_13binary_searchIS3_S5_SD_SD_SF_NS1_16binary_search_opENS9_16wrapped_functionINS0_4lessIvEEbEEEE10hipError_tPvRmT1_T2_T3_mmT4_T5_P12ihipStream_tbEUlRKfE_EESM_SQ_SR_mSS_SV_bEUlT_E_NS1_11comp_targetILNS1_3genE5ELNS1_11target_archE942ELNS1_3gpuE9ELNS1_3repE0EEENS1_30default_config_static_selectorELNS0_4arch9wavefront6targetE0EEEvSP_,"axG",@progbits,_ZN7rocprim17ROCPRIM_400000_NS6detail17trampoline_kernelINS0_14default_configENS1_29binary_search_config_selectorIfbEEZNS1_14transform_implILb0ES3_S5_N6thrust23THRUST_200600_302600_NS6detail15normal_iteratorINS8_10device_ptrIfEEEENSA_INSB_IbEEEEZNS1_13binary_searchIS3_S5_SD_SD_SF_NS1_16binary_search_opENS9_16wrapped_functionINS0_4lessIvEEbEEEE10hipError_tPvRmT1_T2_T3_mmT4_T5_P12ihipStream_tbEUlRKfE_EESM_SQ_SR_mSS_SV_bEUlT_E_NS1_11comp_targetILNS1_3genE5ELNS1_11target_archE942ELNS1_3gpuE9ELNS1_3repE0EEENS1_30default_config_static_selectorELNS0_4arch9wavefront6targetE0EEEvSP_,comdat
.Lfunc_end421:
	.size	_ZN7rocprim17ROCPRIM_400000_NS6detail17trampoline_kernelINS0_14default_configENS1_29binary_search_config_selectorIfbEEZNS1_14transform_implILb0ES3_S5_N6thrust23THRUST_200600_302600_NS6detail15normal_iteratorINS8_10device_ptrIfEEEENSA_INSB_IbEEEEZNS1_13binary_searchIS3_S5_SD_SD_SF_NS1_16binary_search_opENS9_16wrapped_functionINS0_4lessIvEEbEEEE10hipError_tPvRmT1_T2_T3_mmT4_T5_P12ihipStream_tbEUlRKfE_EESM_SQ_SR_mSS_SV_bEUlT_E_NS1_11comp_targetILNS1_3genE5ELNS1_11target_archE942ELNS1_3gpuE9ELNS1_3repE0EEENS1_30default_config_static_selectorELNS0_4arch9wavefront6targetE0EEEvSP_, .Lfunc_end421-_ZN7rocprim17ROCPRIM_400000_NS6detail17trampoline_kernelINS0_14default_configENS1_29binary_search_config_selectorIfbEEZNS1_14transform_implILb0ES3_S5_N6thrust23THRUST_200600_302600_NS6detail15normal_iteratorINS8_10device_ptrIfEEEENSA_INSB_IbEEEEZNS1_13binary_searchIS3_S5_SD_SD_SF_NS1_16binary_search_opENS9_16wrapped_functionINS0_4lessIvEEbEEEE10hipError_tPvRmT1_T2_T3_mmT4_T5_P12ihipStream_tbEUlRKfE_EESM_SQ_SR_mSS_SV_bEUlT_E_NS1_11comp_targetILNS1_3genE5ELNS1_11target_archE942ELNS1_3gpuE9ELNS1_3repE0EEENS1_30default_config_static_selectorELNS0_4arch9wavefront6targetE0EEEvSP_
                                        ; -- End function
	.section	.AMDGPU.csdata,"",@progbits
; Kernel info:
; codeLenInByte = 0
; NumSgprs: 0
; NumVgprs: 0
; ScratchSize: 0
; MemoryBound: 0
; FloatMode: 240
; IeeeMode: 1
; LDSByteSize: 0 bytes/workgroup (compile time only)
; SGPRBlocks: 0
; VGPRBlocks: 0
; NumSGPRsForWavesPerEU: 1
; NumVGPRsForWavesPerEU: 1
; Occupancy: 16
; WaveLimiterHint : 0
; COMPUTE_PGM_RSRC2:SCRATCH_EN: 0
; COMPUTE_PGM_RSRC2:USER_SGPR: 15
; COMPUTE_PGM_RSRC2:TRAP_HANDLER: 0
; COMPUTE_PGM_RSRC2:TGID_X_EN: 1
; COMPUTE_PGM_RSRC2:TGID_Y_EN: 0
; COMPUTE_PGM_RSRC2:TGID_Z_EN: 0
; COMPUTE_PGM_RSRC2:TIDIG_COMP_CNT: 0
	.section	.text._ZN7rocprim17ROCPRIM_400000_NS6detail17trampoline_kernelINS0_14default_configENS1_29binary_search_config_selectorIfbEEZNS1_14transform_implILb0ES3_S5_N6thrust23THRUST_200600_302600_NS6detail15normal_iteratorINS8_10device_ptrIfEEEENSA_INSB_IbEEEEZNS1_13binary_searchIS3_S5_SD_SD_SF_NS1_16binary_search_opENS9_16wrapped_functionINS0_4lessIvEEbEEEE10hipError_tPvRmT1_T2_T3_mmT4_T5_P12ihipStream_tbEUlRKfE_EESM_SQ_SR_mSS_SV_bEUlT_E_NS1_11comp_targetILNS1_3genE4ELNS1_11target_archE910ELNS1_3gpuE8ELNS1_3repE0EEENS1_30default_config_static_selectorELNS0_4arch9wavefront6targetE0EEEvSP_,"axG",@progbits,_ZN7rocprim17ROCPRIM_400000_NS6detail17trampoline_kernelINS0_14default_configENS1_29binary_search_config_selectorIfbEEZNS1_14transform_implILb0ES3_S5_N6thrust23THRUST_200600_302600_NS6detail15normal_iteratorINS8_10device_ptrIfEEEENSA_INSB_IbEEEEZNS1_13binary_searchIS3_S5_SD_SD_SF_NS1_16binary_search_opENS9_16wrapped_functionINS0_4lessIvEEbEEEE10hipError_tPvRmT1_T2_T3_mmT4_T5_P12ihipStream_tbEUlRKfE_EESM_SQ_SR_mSS_SV_bEUlT_E_NS1_11comp_targetILNS1_3genE4ELNS1_11target_archE910ELNS1_3gpuE8ELNS1_3repE0EEENS1_30default_config_static_selectorELNS0_4arch9wavefront6targetE0EEEvSP_,comdat
	.protected	_ZN7rocprim17ROCPRIM_400000_NS6detail17trampoline_kernelINS0_14default_configENS1_29binary_search_config_selectorIfbEEZNS1_14transform_implILb0ES3_S5_N6thrust23THRUST_200600_302600_NS6detail15normal_iteratorINS8_10device_ptrIfEEEENSA_INSB_IbEEEEZNS1_13binary_searchIS3_S5_SD_SD_SF_NS1_16binary_search_opENS9_16wrapped_functionINS0_4lessIvEEbEEEE10hipError_tPvRmT1_T2_T3_mmT4_T5_P12ihipStream_tbEUlRKfE_EESM_SQ_SR_mSS_SV_bEUlT_E_NS1_11comp_targetILNS1_3genE4ELNS1_11target_archE910ELNS1_3gpuE8ELNS1_3repE0EEENS1_30default_config_static_selectorELNS0_4arch9wavefront6targetE0EEEvSP_ ; -- Begin function _ZN7rocprim17ROCPRIM_400000_NS6detail17trampoline_kernelINS0_14default_configENS1_29binary_search_config_selectorIfbEEZNS1_14transform_implILb0ES3_S5_N6thrust23THRUST_200600_302600_NS6detail15normal_iteratorINS8_10device_ptrIfEEEENSA_INSB_IbEEEEZNS1_13binary_searchIS3_S5_SD_SD_SF_NS1_16binary_search_opENS9_16wrapped_functionINS0_4lessIvEEbEEEE10hipError_tPvRmT1_T2_T3_mmT4_T5_P12ihipStream_tbEUlRKfE_EESM_SQ_SR_mSS_SV_bEUlT_E_NS1_11comp_targetILNS1_3genE4ELNS1_11target_archE910ELNS1_3gpuE8ELNS1_3repE0EEENS1_30default_config_static_selectorELNS0_4arch9wavefront6targetE0EEEvSP_
	.globl	_ZN7rocprim17ROCPRIM_400000_NS6detail17trampoline_kernelINS0_14default_configENS1_29binary_search_config_selectorIfbEEZNS1_14transform_implILb0ES3_S5_N6thrust23THRUST_200600_302600_NS6detail15normal_iteratorINS8_10device_ptrIfEEEENSA_INSB_IbEEEEZNS1_13binary_searchIS3_S5_SD_SD_SF_NS1_16binary_search_opENS9_16wrapped_functionINS0_4lessIvEEbEEEE10hipError_tPvRmT1_T2_T3_mmT4_T5_P12ihipStream_tbEUlRKfE_EESM_SQ_SR_mSS_SV_bEUlT_E_NS1_11comp_targetILNS1_3genE4ELNS1_11target_archE910ELNS1_3gpuE8ELNS1_3repE0EEENS1_30default_config_static_selectorELNS0_4arch9wavefront6targetE0EEEvSP_
	.p2align	8
	.type	_ZN7rocprim17ROCPRIM_400000_NS6detail17trampoline_kernelINS0_14default_configENS1_29binary_search_config_selectorIfbEEZNS1_14transform_implILb0ES3_S5_N6thrust23THRUST_200600_302600_NS6detail15normal_iteratorINS8_10device_ptrIfEEEENSA_INSB_IbEEEEZNS1_13binary_searchIS3_S5_SD_SD_SF_NS1_16binary_search_opENS9_16wrapped_functionINS0_4lessIvEEbEEEE10hipError_tPvRmT1_T2_T3_mmT4_T5_P12ihipStream_tbEUlRKfE_EESM_SQ_SR_mSS_SV_bEUlT_E_NS1_11comp_targetILNS1_3genE4ELNS1_11target_archE910ELNS1_3gpuE8ELNS1_3repE0EEENS1_30default_config_static_selectorELNS0_4arch9wavefront6targetE0EEEvSP_,@function
_ZN7rocprim17ROCPRIM_400000_NS6detail17trampoline_kernelINS0_14default_configENS1_29binary_search_config_selectorIfbEEZNS1_14transform_implILb0ES3_S5_N6thrust23THRUST_200600_302600_NS6detail15normal_iteratorINS8_10device_ptrIfEEEENSA_INSB_IbEEEEZNS1_13binary_searchIS3_S5_SD_SD_SF_NS1_16binary_search_opENS9_16wrapped_functionINS0_4lessIvEEbEEEE10hipError_tPvRmT1_T2_T3_mmT4_T5_P12ihipStream_tbEUlRKfE_EESM_SQ_SR_mSS_SV_bEUlT_E_NS1_11comp_targetILNS1_3genE4ELNS1_11target_archE910ELNS1_3gpuE8ELNS1_3repE0EEENS1_30default_config_static_selectorELNS0_4arch9wavefront6targetE0EEEvSP_: ; @_ZN7rocprim17ROCPRIM_400000_NS6detail17trampoline_kernelINS0_14default_configENS1_29binary_search_config_selectorIfbEEZNS1_14transform_implILb0ES3_S5_N6thrust23THRUST_200600_302600_NS6detail15normal_iteratorINS8_10device_ptrIfEEEENSA_INSB_IbEEEEZNS1_13binary_searchIS3_S5_SD_SD_SF_NS1_16binary_search_opENS9_16wrapped_functionINS0_4lessIvEEbEEEE10hipError_tPvRmT1_T2_T3_mmT4_T5_P12ihipStream_tbEUlRKfE_EESM_SQ_SR_mSS_SV_bEUlT_E_NS1_11comp_targetILNS1_3genE4ELNS1_11target_archE910ELNS1_3gpuE8ELNS1_3repE0EEENS1_30default_config_static_selectorELNS0_4arch9wavefront6targetE0EEEvSP_
; %bb.0:
	.section	.rodata,"a",@progbits
	.p2align	6, 0x0
	.amdhsa_kernel _ZN7rocprim17ROCPRIM_400000_NS6detail17trampoline_kernelINS0_14default_configENS1_29binary_search_config_selectorIfbEEZNS1_14transform_implILb0ES3_S5_N6thrust23THRUST_200600_302600_NS6detail15normal_iteratorINS8_10device_ptrIfEEEENSA_INSB_IbEEEEZNS1_13binary_searchIS3_S5_SD_SD_SF_NS1_16binary_search_opENS9_16wrapped_functionINS0_4lessIvEEbEEEE10hipError_tPvRmT1_T2_T3_mmT4_T5_P12ihipStream_tbEUlRKfE_EESM_SQ_SR_mSS_SV_bEUlT_E_NS1_11comp_targetILNS1_3genE4ELNS1_11target_archE910ELNS1_3gpuE8ELNS1_3repE0EEENS1_30default_config_static_selectorELNS0_4arch9wavefront6targetE0EEEvSP_
		.amdhsa_group_segment_fixed_size 0
		.amdhsa_private_segment_fixed_size 0
		.amdhsa_kernarg_size 56
		.amdhsa_user_sgpr_count 15
		.amdhsa_user_sgpr_dispatch_ptr 0
		.amdhsa_user_sgpr_queue_ptr 0
		.amdhsa_user_sgpr_kernarg_segment_ptr 1
		.amdhsa_user_sgpr_dispatch_id 0
		.amdhsa_user_sgpr_private_segment_size 0
		.amdhsa_wavefront_size32 1
		.amdhsa_uses_dynamic_stack 0
		.amdhsa_enable_private_segment 0
		.amdhsa_system_sgpr_workgroup_id_x 1
		.amdhsa_system_sgpr_workgroup_id_y 0
		.amdhsa_system_sgpr_workgroup_id_z 0
		.amdhsa_system_sgpr_workgroup_info 0
		.amdhsa_system_vgpr_workitem_id 0
		.amdhsa_next_free_vgpr 1
		.amdhsa_next_free_sgpr 1
		.amdhsa_reserve_vcc 0
		.amdhsa_float_round_mode_32 0
		.amdhsa_float_round_mode_16_64 0
		.amdhsa_float_denorm_mode_32 3
		.amdhsa_float_denorm_mode_16_64 3
		.amdhsa_dx10_clamp 1
		.amdhsa_ieee_mode 1
		.amdhsa_fp16_overflow 0
		.amdhsa_workgroup_processor_mode 1
		.amdhsa_memory_ordered 1
		.amdhsa_forward_progress 0
		.amdhsa_shared_vgpr_count 0
		.amdhsa_exception_fp_ieee_invalid_op 0
		.amdhsa_exception_fp_denorm_src 0
		.amdhsa_exception_fp_ieee_div_zero 0
		.amdhsa_exception_fp_ieee_overflow 0
		.amdhsa_exception_fp_ieee_underflow 0
		.amdhsa_exception_fp_ieee_inexact 0
		.amdhsa_exception_int_div_zero 0
	.end_amdhsa_kernel
	.section	.text._ZN7rocprim17ROCPRIM_400000_NS6detail17trampoline_kernelINS0_14default_configENS1_29binary_search_config_selectorIfbEEZNS1_14transform_implILb0ES3_S5_N6thrust23THRUST_200600_302600_NS6detail15normal_iteratorINS8_10device_ptrIfEEEENSA_INSB_IbEEEEZNS1_13binary_searchIS3_S5_SD_SD_SF_NS1_16binary_search_opENS9_16wrapped_functionINS0_4lessIvEEbEEEE10hipError_tPvRmT1_T2_T3_mmT4_T5_P12ihipStream_tbEUlRKfE_EESM_SQ_SR_mSS_SV_bEUlT_E_NS1_11comp_targetILNS1_3genE4ELNS1_11target_archE910ELNS1_3gpuE8ELNS1_3repE0EEENS1_30default_config_static_selectorELNS0_4arch9wavefront6targetE0EEEvSP_,"axG",@progbits,_ZN7rocprim17ROCPRIM_400000_NS6detail17trampoline_kernelINS0_14default_configENS1_29binary_search_config_selectorIfbEEZNS1_14transform_implILb0ES3_S5_N6thrust23THRUST_200600_302600_NS6detail15normal_iteratorINS8_10device_ptrIfEEEENSA_INSB_IbEEEEZNS1_13binary_searchIS3_S5_SD_SD_SF_NS1_16binary_search_opENS9_16wrapped_functionINS0_4lessIvEEbEEEE10hipError_tPvRmT1_T2_T3_mmT4_T5_P12ihipStream_tbEUlRKfE_EESM_SQ_SR_mSS_SV_bEUlT_E_NS1_11comp_targetILNS1_3genE4ELNS1_11target_archE910ELNS1_3gpuE8ELNS1_3repE0EEENS1_30default_config_static_selectorELNS0_4arch9wavefront6targetE0EEEvSP_,comdat
.Lfunc_end422:
	.size	_ZN7rocprim17ROCPRIM_400000_NS6detail17trampoline_kernelINS0_14default_configENS1_29binary_search_config_selectorIfbEEZNS1_14transform_implILb0ES3_S5_N6thrust23THRUST_200600_302600_NS6detail15normal_iteratorINS8_10device_ptrIfEEEENSA_INSB_IbEEEEZNS1_13binary_searchIS3_S5_SD_SD_SF_NS1_16binary_search_opENS9_16wrapped_functionINS0_4lessIvEEbEEEE10hipError_tPvRmT1_T2_T3_mmT4_T5_P12ihipStream_tbEUlRKfE_EESM_SQ_SR_mSS_SV_bEUlT_E_NS1_11comp_targetILNS1_3genE4ELNS1_11target_archE910ELNS1_3gpuE8ELNS1_3repE0EEENS1_30default_config_static_selectorELNS0_4arch9wavefront6targetE0EEEvSP_, .Lfunc_end422-_ZN7rocprim17ROCPRIM_400000_NS6detail17trampoline_kernelINS0_14default_configENS1_29binary_search_config_selectorIfbEEZNS1_14transform_implILb0ES3_S5_N6thrust23THRUST_200600_302600_NS6detail15normal_iteratorINS8_10device_ptrIfEEEENSA_INSB_IbEEEEZNS1_13binary_searchIS3_S5_SD_SD_SF_NS1_16binary_search_opENS9_16wrapped_functionINS0_4lessIvEEbEEEE10hipError_tPvRmT1_T2_T3_mmT4_T5_P12ihipStream_tbEUlRKfE_EESM_SQ_SR_mSS_SV_bEUlT_E_NS1_11comp_targetILNS1_3genE4ELNS1_11target_archE910ELNS1_3gpuE8ELNS1_3repE0EEENS1_30default_config_static_selectorELNS0_4arch9wavefront6targetE0EEEvSP_
                                        ; -- End function
	.section	.AMDGPU.csdata,"",@progbits
; Kernel info:
; codeLenInByte = 0
; NumSgprs: 0
; NumVgprs: 0
; ScratchSize: 0
; MemoryBound: 0
; FloatMode: 240
; IeeeMode: 1
; LDSByteSize: 0 bytes/workgroup (compile time only)
; SGPRBlocks: 0
; VGPRBlocks: 0
; NumSGPRsForWavesPerEU: 1
; NumVGPRsForWavesPerEU: 1
; Occupancy: 16
; WaveLimiterHint : 0
; COMPUTE_PGM_RSRC2:SCRATCH_EN: 0
; COMPUTE_PGM_RSRC2:USER_SGPR: 15
; COMPUTE_PGM_RSRC2:TRAP_HANDLER: 0
; COMPUTE_PGM_RSRC2:TGID_X_EN: 1
; COMPUTE_PGM_RSRC2:TGID_Y_EN: 0
; COMPUTE_PGM_RSRC2:TGID_Z_EN: 0
; COMPUTE_PGM_RSRC2:TIDIG_COMP_CNT: 0
	.section	.text._ZN7rocprim17ROCPRIM_400000_NS6detail17trampoline_kernelINS0_14default_configENS1_29binary_search_config_selectorIfbEEZNS1_14transform_implILb0ES3_S5_N6thrust23THRUST_200600_302600_NS6detail15normal_iteratorINS8_10device_ptrIfEEEENSA_INSB_IbEEEEZNS1_13binary_searchIS3_S5_SD_SD_SF_NS1_16binary_search_opENS9_16wrapped_functionINS0_4lessIvEEbEEEE10hipError_tPvRmT1_T2_T3_mmT4_T5_P12ihipStream_tbEUlRKfE_EESM_SQ_SR_mSS_SV_bEUlT_E_NS1_11comp_targetILNS1_3genE3ELNS1_11target_archE908ELNS1_3gpuE7ELNS1_3repE0EEENS1_30default_config_static_selectorELNS0_4arch9wavefront6targetE0EEEvSP_,"axG",@progbits,_ZN7rocprim17ROCPRIM_400000_NS6detail17trampoline_kernelINS0_14default_configENS1_29binary_search_config_selectorIfbEEZNS1_14transform_implILb0ES3_S5_N6thrust23THRUST_200600_302600_NS6detail15normal_iteratorINS8_10device_ptrIfEEEENSA_INSB_IbEEEEZNS1_13binary_searchIS3_S5_SD_SD_SF_NS1_16binary_search_opENS9_16wrapped_functionINS0_4lessIvEEbEEEE10hipError_tPvRmT1_T2_T3_mmT4_T5_P12ihipStream_tbEUlRKfE_EESM_SQ_SR_mSS_SV_bEUlT_E_NS1_11comp_targetILNS1_3genE3ELNS1_11target_archE908ELNS1_3gpuE7ELNS1_3repE0EEENS1_30default_config_static_selectorELNS0_4arch9wavefront6targetE0EEEvSP_,comdat
	.protected	_ZN7rocprim17ROCPRIM_400000_NS6detail17trampoline_kernelINS0_14default_configENS1_29binary_search_config_selectorIfbEEZNS1_14transform_implILb0ES3_S5_N6thrust23THRUST_200600_302600_NS6detail15normal_iteratorINS8_10device_ptrIfEEEENSA_INSB_IbEEEEZNS1_13binary_searchIS3_S5_SD_SD_SF_NS1_16binary_search_opENS9_16wrapped_functionINS0_4lessIvEEbEEEE10hipError_tPvRmT1_T2_T3_mmT4_T5_P12ihipStream_tbEUlRKfE_EESM_SQ_SR_mSS_SV_bEUlT_E_NS1_11comp_targetILNS1_3genE3ELNS1_11target_archE908ELNS1_3gpuE7ELNS1_3repE0EEENS1_30default_config_static_selectorELNS0_4arch9wavefront6targetE0EEEvSP_ ; -- Begin function _ZN7rocprim17ROCPRIM_400000_NS6detail17trampoline_kernelINS0_14default_configENS1_29binary_search_config_selectorIfbEEZNS1_14transform_implILb0ES3_S5_N6thrust23THRUST_200600_302600_NS6detail15normal_iteratorINS8_10device_ptrIfEEEENSA_INSB_IbEEEEZNS1_13binary_searchIS3_S5_SD_SD_SF_NS1_16binary_search_opENS9_16wrapped_functionINS0_4lessIvEEbEEEE10hipError_tPvRmT1_T2_T3_mmT4_T5_P12ihipStream_tbEUlRKfE_EESM_SQ_SR_mSS_SV_bEUlT_E_NS1_11comp_targetILNS1_3genE3ELNS1_11target_archE908ELNS1_3gpuE7ELNS1_3repE0EEENS1_30default_config_static_selectorELNS0_4arch9wavefront6targetE0EEEvSP_
	.globl	_ZN7rocprim17ROCPRIM_400000_NS6detail17trampoline_kernelINS0_14default_configENS1_29binary_search_config_selectorIfbEEZNS1_14transform_implILb0ES3_S5_N6thrust23THRUST_200600_302600_NS6detail15normal_iteratorINS8_10device_ptrIfEEEENSA_INSB_IbEEEEZNS1_13binary_searchIS3_S5_SD_SD_SF_NS1_16binary_search_opENS9_16wrapped_functionINS0_4lessIvEEbEEEE10hipError_tPvRmT1_T2_T3_mmT4_T5_P12ihipStream_tbEUlRKfE_EESM_SQ_SR_mSS_SV_bEUlT_E_NS1_11comp_targetILNS1_3genE3ELNS1_11target_archE908ELNS1_3gpuE7ELNS1_3repE0EEENS1_30default_config_static_selectorELNS0_4arch9wavefront6targetE0EEEvSP_
	.p2align	8
	.type	_ZN7rocprim17ROCPRIM_400000_NS6detail17trampoline_kernelINS0_14default_configENS1_29binary_search_config_selectorIfbEEZNS1_14transform_implILb0ES3_S5_N6thrust23THRUST_200600_302600_NS6detail15normal_iteratorINS8_10device_ptrIfEEEENSA_INSB_IbEEEEZNS1_13binary_searchIS3_S5_SD_SD_SF_NS1_16binary_search_opENS9_16wrapped_functionINS0_4lessIvEEbEEEE10hipError_tPvRmT1_T2_T3_mmT4_T5_P12ihipStream_tbEUlRKfE_EESM_SQ_SR_mSS_SV_bEUlT_E_NS1_11comp_targetILNS1_3genE3ELNS1_11target_archE908ELNS1_3gpuE7ELNS1_3repE0EEENS1_30default_config_static_selectorELNS0_4arch9wavefront6targetE0EEEvSP_,@function
_ZN7rocprim17ROCPRIM_400000_NS6detail17trampoline_kernelINS0_14default_configENS1_29binary_search_config_selectorIfbEEZNS1_14transform_implILb0ES3_S5_N6thrust23THRUST_200600_302600_NS6detail15normal_iteratorINS8_10device_ptrIfEEEENSA_INSB_IbEEEEZNS1_13binary_searchIS3_S5_SD_SD_SF_NS1_16binary_search_opENS9_16wrapped_functionINS0_4lessIvEEbEEEE10hipError_tPvRmT1_T2_T3_mmT4_T5_P12ihipStream_tbEUlRKfE_EESM_SQ_SR_mSS_SV_bEUlT_E_NS1_11comp_targetILNS1_3genE3ELNS1_11target_archE908ELNS1_3gpuE7ELNS1_3repE0EEENS1_30default_config_static_selectorELNS0_4arch9wavefront6targetE0EEEvSP_: ; @_ZN7rocprim17ROCPRIM_400000_NS6detail17trampoline_kernelINS0_14default_configENS1_29binary_search_config_selectorIfbEEZNS1_14transform_implILb0ES3_S5_N6thrust23THRUST_200600_302600_NS6detail15normal_iteratorINS8_10device_ptrIfEEEENSA_INSB_IbEEEEZNS1_13binary_searchIS3_S5_SD_SD_SF_NS1_16binary_search_opENS9_16wrapped_functionINS0_4lessIvEEbEEEE10hipError_tPvRmT1_T2_T3_mmT4_T5_P12ihipStream_tbEUlRKfE_EESM_SQ_SR_mSS_SV_bEUlT_E_NS1_11comp_targetILNS1_3genE3ELNS1_11target_archE908ELNS1_3gpuE7ELNS1_3repE0EEENS1_30default_config_static_selectorELNS0_4arch9wavefront6targetE0EEEvSP_
; %bb.0:
	.section	.rodata,"a",@progbits
	.p2align	6, 0x0
	.amdhsa_kernel _ZN7rocprim17ROCPRIM_400000_NS6detail17trampoline_kernelINS0_14default_configENS1_29binary_search_config_selectorIfbEEZNS1_14transform_implILb0ES3_S5_N6thrust23THRUST_200600_302600_NS6detail15normal_iteratorINS8_10device_ptrIfEEEENSA_INSB_IbEEEEZNS1_13binary_searchIS3_S5_SD_SD_SF_NS1_16binary_search_opENS9_16wrapped_functionINS0_4lessIvEEbEEEE10hipError_tPvRmT1_T2_T3_mmT4_T5_P12ihipStream_tbEUlRKfE_EESM_SQ_SR_mSS_SV_bEUlT_E_NS1_11comp_targetILNS1_3genE3ELNS1_11target_archE908ELNS1_3gpuE7ELNS1_3repE0EEENS1_30default_config_static_selectorELNS0_4arch9wavefront6targetE0EEEvSP_
		.amdhsa_group_segment_fixed_size 0
		.amdhsa_private_segment_fixed_size 0
		.amdhsa_kernarg_size 56
		.amdhsa_user_sgpr_count 15
		.amdhsa_user_sgpr_dispatch_ptr 0
		.amdhsa_user_sgpr_queue_ptr 0
		.amdhsa_user_sgpr_kernarg_segment_ptr 1
		.amdhsa_user_sgpr_dispatch_id 0
		.amdhsa_user_sgpr_private_segment_size 0
		.amdhsa_wavefront_size32 1
		.amdhsa_uses_dynamic_stack 0
		.amdhsa_enable_private_segment 0
		.amdhsa_system_sgpr_workgroup_id_x 1
		.amdhsa_system_sgpr_workgroup_id_y 0
		.amdhsa_system_sgpr_workgroup_id_z 0
		.amdhsa_system_sgpr_workgroup_info 0
		.amdhsa_system_vgpr_workitem_id 0
		.amdhsa_next_free_vgpr 1
		.amdhsa_next_free_sgpr 1
		.amdhsa_reserve_vcc 0
		.amdhsa_float_round_mode_32 0
		.amdhsa_float_round_mode_16_64 0
		.amdhsa_float_denorm_mode_32 3
		.amdhsa_float_denorm_mode_16_64 3
		.amdhsa_dx10_clamp 1
		.amdhsa_ieee_mode 1
		.amdhsa_fp16_overflow 0
		.amdhsa_workgroup_processor_mode 1
		.amdhsa_memory_ordered 1
		.amdhsa_forward_progress 0
		.amdhsa_shared_vgpr_count 0
		.amdhsa_exception_fp_ieee_invalid_op 0
		.amdhsa_exception_fp_denorm_src 0
		.amdhsa_exception_fp_ieee_div_zero 0
		.amdhsa_exception_fp_ieee_overflow 0
		.amdhsa_exception_fp_ieee_underflow 0
		.amdhsa_exception_fp_ieee_inexact 0
		.amdhsa_exception_int_div_zero 0
	.end_amdhsa_kernel
	.section	.text._ZN7rocprim17ROCPRIM_400000_NS6detail17trampoline_kernelINS0_14default_configENS1_29binary_search_config_selectorIfbEEZNS1_14transform_implILb0ES3_S5_N6thrust23THRUST_200600_302600_NS6detail15normal_iteratorINS8_10device_ptrIfEEEENSA_INSB_IbEEEEZNS1_13binary_searchIS3_S5_SD_SD_SF_NS1_16binary_search_opENS9_16wrapped_functionINS0_4lessIvEEbEEEE10hipError_tPvRmT1_T2_T3_mmT4_T5_P12ihipStream_tbEUlRKfE_EESM_SQ_SR_mSS_SV_bEUlT_E_NS1_11comp_targetILNS1_3genE3ELNS1_11target_archE908ELNS1_3gpuE7ELNS1_3repE0EEENS1_30default_config_static_selectorELNS0_4arch9wavefront6targetE0EEEvSP_,"axG",@progbits,_ZN7rocprim17ROCPRIM_400000_NS6detail17trampoline_kernelINS0_14default_configENS1_29binary_search_config_selectorIfbEEZNS1_14transform_implILb0ES3_S5_N6thrust23THRUST_200600_302600_NS6detail15normal_iteratorINS8_10device_ptrIfEEEENSA_INSB_IbEEEEZNS1_13binary_searchIS3_S5_SD_SD_SF_NS1_16binary_search_opENS9_16wrapped_functionINS0_4lessIvEEbEEEE10hipError_tPvRmT1_T2_T3_mmT4_T5_P12ihipStream_tbEUlRKfE_EESM_SQ_SR_mSS_SV_bEUlT_E_NS1_11comp_targetILNS1_3genE3ELNS1_11target_archE908ELNS1_3gpuE7ELNS1_3repE0EEENS1_30default_config_static_selectorELNS0_4arch9wavefront6targetE0EEEvSP_,comdat
.Lfunc_end423:
	.size	_ZN7rocprim17ROCPRIM_400000_NS6detail17trampoline_kernelINS0_14default_configENS1_29binary_search_config_selectorIfbEEZNS1_14transform_implILb0ES3_S5_N6thrust23THRUST_200600_302600_NS6detail15normal_iteratorINS8_10device_ptrIfEEEENSA_INSB_IbEEEEZNS1_13binary_searchIS3_S5_SD_SD_SF_NS1_16binary_search_opENS9_16wrapped_functionINS0_4lessIvEEbEEEE10hipError_tPvRmT1_T2_T3_mmT4_T5_P12ihipStream_tbEUlRKfE_EESM_SQ_SR_mSS_SV_bEUlT_E_NS1_11comp_targetILNS1_3genE3ELNS1_11target_archE908ELNS1_3gpuE7ELNS1_3repE0EEENS1_30default_config_static_selectorELNS0_4arch9wavefront6targetE0EEEvSP_, .Lfunc_end423-_ZN7rocprim17ROCPRIM_400000_NS6detail17trampoline_kernelINS0_14default_configENS1_29binary_search_config_selectorIfbEEZNS1_14transform_implILb0ES3_S5_N6thrust23THRUST_200600_302600_NS6detail15normal_iteratorINS8_10device_ptrIfEEEENSA_INSB_IbEEEEZNS1_13binary_searchIS3_S5_SD_SD_SF_NS1_16binary_search_opENS9_16wrapped_functionINS0_4lessIvEEbEEEE10hipError_tPvRmT1_T2_T3_mmT4_T5_P12ihipStream_tbEUlRKfE_EESM_SQ_SR_mSS_SV_bEUlT_E_NS1_11comp_targetILNS1_3genE3ELNS1_11target_archE908ELNS1_3gpuE7ELNS1_3repE0EEENS1_30default_config_static_selectorELNS0_4arch9wavefront6targetE0EEEvSP_
                                        ; -- End function
	.section	.AMDGPU.csdata,"",@progbits
; Kernel info:
; codeLenInByte = 0
; NumSgprs: 0
; NumVgprs: 0
; ScratchSize: 0
; MemoryBound: 0
; FloatMode: 240
; IeeeMode: 1
; LDSByteSize: 0 bytes/workgroup (compile time only)
; SGPRBlocks: 0
; VGPRBlocks: 0
; NumSGPRsForWavesPerEU: 1
; NumVGPRsForWavesPerEU: 1
; Occupancy: 16
; WaveLimiterHint : 0
; COMPUTE_PGM_RSRC2:SCRATCH_EN: 0
; COMPUTE_PGM_RSRC2:USER_SGPR: 15
; COMPUTE_PGM_RSRC2:TRAP_HANDLER: 0
; COMPUTE_PGM_RSRC2:TGID_X_EN: 1
; COMPUTE_PGM_RSRC2:TGID_Y_EN: 0
; COMPUTE_PGM_RSRC2:TGID_Z_EN: 0
; COMPUTE_PGM_RSRC2:TIDIG_COMP_CNT: 0
	.section	.text._ZN7rocprim17ROCPRIM_400000_NS6detail17trampoline_kernelINS0_14default_configENS1_29binary_search_config_selectorIfbEEZNS1_14transform_implILb0ES3_S5_N6thrust23THRUST_200600_302600_NS6detail15normal_iteratorINS8_10device_ptrIfEEEENSA_INSB_IbEEEEZNS1_13binary_searchIS3_S5_SD_SD_SF_NS1_16binary_search_opENS9_16wrapped_functionINS0_4lessIvEEbEEEE10hipError_tPvRmT1_T2_T3_mmT4_T5_P12ihipStream_tbEUlRKfE_EESM_SQ_SR_mSS_SV_bEUlT_E_NS1_11comp_targetILNS1_3genE2ELNS1_11target_archE906ELNS1_3gpuE6ELNS1_3repE0EEENS1_30default_config_static_selectorELNS0_4arch9wavefront6targetE0EEEvSP_,"axG",@progbits,_ZN7rocprim17ROCPRIM_400000_NS6detail17trampoline_kernelINS0_14default_configENS1_29binary_search_config_selectorIfbEEZNS1_14transform_implILb0ES3_S5_N6thrust23THRUST_200600_302600_NS6detail15normal_iteratorINS8_10device_ptrIfEEEENSA_INSB_IbEEEEZNS1_13binary_searchIS3_S5_SD_SD_SF_NS1_16binary_search_opENS9_16wrapped_functionINS0_4lessIvEEbEEEE10hipError_tPvRmT1_T2_T3_mmT4_T5_P12ihipStream_tbEUlRKfE_EESM_SQ_SR_mSS_SV_bEUlT_E_NS1_11comp_targetILNS1_3genE2ELNS1_11target_archE906ELNS1_3gpuE6ELNS1_3repE0EEENS1_30default_config_static_selectorELNS0_4arch9wavefront6targetE0EEEvSP_,comdat
	.protected	_ZN7rocprim17ROCPRIM_400000_NS6detail17trampoline_kernelINS0_14default_configENS1_29binary_search_config_selectorIfbEEZNS1_14transform_implILb0ES3_S5_N6thrust23THRUST_200600_302600_NS6detail15normal_iteratorINS8_10device_ptrIfEEEENSA_INSB_IbEEEEZNS1_13binary_searchIS3_S5_SD_SD_SF_NS1_16binary_search_opENS9_16wrapped_functionINS0_4lessIvEEbEEEE10hipError_tPvRmT1_T2_T3_mmT4_T5_P12ihipStream_tbEUlRKfE_EESM_SQ_SR_mSS_SV_bEUlT_E_NS1_11comp_targetILNS1_3genE2ELNS1_11target_archE906ELNS1_3gpuE6ELNS1_3repE0EEENS1_30default_config_static_selectorELNS0_4arch9wavefront6targetE0EEEvSP_ ; -- Begin function _ZN7rocprim17ROCPRIM_400000_NS6detail17trampoline_kernelINS0_14default_configENS1_29binary_search_config_selectorIfbEEZNS1_14transform_implILb0ES3_S5_N6thrust23THRUST_200600_302600_NS6detail15normal_iteratorINS8_10device_ptrIfEEEENSA_INSB_IbEEEEZNS1_13binary_searchIS3_S5_SD_SD_SF_NS1_16binary_search_opENS9_16wrapped_functionINS0_4lessIvEEbEEEE10hipError_tPvRmT1_T2_T3_mmT4_T5_P12ihipStream_tbEUlRKfE_EESM_SQ_SR_mSS_SV_bEUlT_E_NS1_11comp_targetILNS1_3genE2ELNS1_11target_archE906ELNS1_3gpuE6ELNS1_3repE0EEENS1_30default_config_static_selectorELNS0_4arch9wavefront6targetE0EEEvSP_
	.globl	_ZN7rocprim17ROCPRIM_400000_NS6detail17trampoline_kernelINS0_14default_configENS1_29binary_search_config_selectorIfbEEZNS1_14transform_implILb0ES3_S5_N6thrust23THRUST_200600_302600_NS6detail15normal_iteratorINS8_10device_ptrIfEEEENSA_INSB_IbEEEEZNS1_13binary_searchIS3_S5_SD_SD_SF_NS1_16binary_search_opENS9_16wrapped_functionINS0_4lessIvEEbEEEE10hipError_tPvRmT1_T2_T3_mmT4_T5_P12ihipStream_tbEUlRKfE_EESM_SQ_SR_mSS_SV_bEUlT_E_NS1_11comp_targetILNS1_3genE2ELNS1_11target_archE906ELNS1_3gpuE6ELNS1_3repE0EEENS1_30default_config_static_selectorELNS0_4arch9wavefront6targetE0EEEvSP_
	.p2align	8
	.type	_ZN7rocprim17ROCPRIM_400000_NS6detail17trampoline_kernelINS0_14default_configENS1_29binary_search_config_selectorIfbEEZNS1_14transform_implILb0ES3_S5_N6thrust23THRUST_200600_302600_NS6detail15normal_iteratorINS8_10device_ptrIfEEEENSA_INSB_IbEEEEZNS1_13binary_searchIS3_S5_SD_SD_SF_NS1_16binary_search_opENS9_16wrapped_functionINS0_4lessIvEEbEEEE10hipError_tPvRmT1_T2_T3_mmT4_T5_P12ihipStream_tbEUlRKfE_EESM_SQ_SR_mSS_SV_bEUlT_E_NS1_11comp_targetILNS1_3genE2ELNS1_11target_archE906ELNS1_3gpuE6ELNS1_3repE0EEENS1_30default_config_static_selectorELNS0_4arch9wavefront6targetE0EEEvSP_,@function
_ZN7rocprim17ROCPRIM_400000_NS6detail17trampoline_kernelINS0_14default_configENS1_29binary_search_config_selectorIfbEEZNS1_14transform_implILb0ES3_S5_N6thrust23THRUST_200600_302600_NS6detail15normal_iteratorINS8_10device_ptrIfEEEENSA_INSB_IbEEEEZNS1_13binary_searchIS3_S5_SD_SD_SF_NS1_16binary_search_opENS9_16wrapped_functionINS0_4lessIvEEbEEEE10hipError_tPvRmT1_T2_T3_mmT4_T5_P12ihipStream_tbEUlRKfE_EESM_SQ_SR_mSS_SV_bEUlT_E_NS1_11comp_targetILNS1_3genE2ELNS1_11target_archE906ELNS1_3gpuE6ELNS1_3repE0EEENS1_30default_config_static_selectorELNS0_4arch9wavefront6targetE0EEEvSP_: ; @_ZN7rocprim17ROCPRIM_400000_NS6detail17trampoline_kernelINS0_14default_configENS1_29binary_search_config_selectorIfbEEZNS1_14transform_implILb0ES3_S5_N6thrust23THRUST_200600_302600_NS6detail15normal_iteratorINS8_10device_ptrIfEEEENSA_INSB_IbEEEEZNS1_13binary_searchIS3_S5_SD_SD_SF_NS1_16binary_search_opENS9_16wrapped_functionINS0_4lessIvEEbEEEE10hipError_tPvRmT1_T2_T3_mmT4_T5_P12ihipStream_tbEUlRKfE_EESM_SQ_SR_mSS_SV_bEUlT_E_NS1_11comp_targetILNS1_3genE2ELNS1_11target_archE906ELNS1_3gpuE6ELNS1_3repE0EEENS1_30default_config_static_selectorELNS0_4arch9wavefront6targetE0EEEvSP_
; %bb.0:
	.section	.rodata,"a",@progbits
	.p2align	6, 0x0
	.amdhsa_kernel _ZN7rocprim17ROCPRIM_400000_NS6detail17trampoline_kernelINS0_14default_configENS1_29binary_search_config_selectorIfbEEZNS1_14transform_implILb0ES3_S5_N6thrust23THRUST_200600_302600_NS6detail15normal_iteratorINS8_10device_ptrIfEEEENSA_INSB_IbEEEEZNS1_13binary_searchIS3_S5_SD_SD_SF_NS1_16binary_search_opENS9_16wrapped_functionINS0_4lessIvEEbEEEE10hipError_tPvRmT1_T2_T3_mmT4_T5_P12ihipStream_tbEUlRKfE_EESM_SQ_SR_mSS_SV_bEUlT_E_NS1_11comp_targetILNS1_3genE2ELNS1_11target_archE906ELNS1_3gpuE6ELNS1_3repE0EEENS1_30default_config_static_selectorELNS0_4arch9wavefront6targetE0EEEvSP_
		.amdhsa_group_segment_fixed_size 0
		.amdhsa_private_segment_fixed_size 0
		.amdhsa_kernarg_size 56
		.amdhsa_user_sgpr_count 15
		.amdhsa_user_sgpr_dispatch_ptr 0
		.amdhsa_user_sgpr_queue_ptr 0
		.amdhsa_user_sgpr_kernarg_segment_ptr 1
		.amdhsa_user_sgpr_dispatch_id 0
		.amdhsa_user_sgpr_private_segment_size 0
		.amdhsa_wavefront_size32 1
		.amdhsa_uses_dynamic_stack 0
		.amdhsa_enable_private_segment 0
		.amdhsa_system_sgpr_workgroup_id_x 1
		.amdhsa_system_sgpr_workgroup_id_y 0
		.amdhsa_system_sgpr_workgroup_id_z 0
		.amdhsa_system_sgpr_workgroup_info 0
		.amdhsa_system_vgpr_workitem_id 0
		.amdhsa_next_free_vgpr 1
		.amdhsa_next_free_sgpr 1
		.amdhsa_reserve_vcc 0
		.amdhsa_float_round_mode_32 0
		.amdhsa_float_round_mode_16_64 0
		.amdhsa_float_denorm_mode_32 3
		.amdhsa_float_denorm_mode_16_64 3
		.amdhsa_dx10_clamp 1
		.amdhsa_ieee_mode 1
		.amdhsa_fp16_overflow 0
		.amdhsa_workgroup_processor_mode 1
		.amdhsa_memory_ordered 1
		.amdhsa_forward_progress 0
		.amdhsa_shared_vgpr_count 0
		.amdhsa_exception_fp_ieee_invalid_op 0
		.amdhsa_exception_fp_denorm_src 0
		.amdhsa_exception_fp_ieee_div_zero 0
		.amdhsa_exception_fp_ieee_overflow 0
		.amdhsa_exception_fp_ieee_underflow 0
		.amdhsa_exception_fp_ieee_inexact 0
		.amdhsa_exception_int_div_zero 0
	.end_amdhsa_kernel
	.section	.text._ZN7rocprim17ROCPRIM_400000_NS6detail17trampoline_kernelINS0_14default_configENS1_29binary_search_config_selectorIfbEEZNS1_14transform_implILb0ES3_S5_N6thrust23THRUST_200600_302600_NS6detail15normal_iteratorINS8_10device_ptrIfEEEENSA_INSB_IbEEEEZNS1_13binary_searchIS3_S5_SD_SD_SF_NS1_16binary_search_opENS9_16wrapped_functionINS0_4lessIvEEbEEEE10hipError_tPvRmT1_T2_T3_mmT4_T5_P12ihipStream_tbEUlRKfE_EESM_SQ_SR_mSS_SV_bEUlT_E_NS1_11comp_targetILNS1_3genE2ELNS1_11target_archE906ELNS1_3gpuE6ELNS1_3repE0EEENS1_30default_config_static_selectorELNS0_4arch9wavefront6targetE0EEEvSP_,"axG",@progbits,_ZN7rocprim17ROCPRIM_400000_NS6detail17trampoline_kernelINS0_14default_configENS1_29binary_search_config_selectorIfbEEZNS1_14transform_implILb0ES3_S5_N6thrust23THRUST_200600_302600_NS6detail15normal_iteratorINS8_10device_ptrIfEEEENSA_INSB_IbEEEEZNS1_13binary_searchIS3_S5_SD_SD_SF_NS1_16binary_search_opENS9_16wrapped_functionINS0_4lessIvEEbEEEE10hipError_tPvRmT1_T2_T3_mmT4_T5_P12ihipStream_tbEUlRKfE_EESM_SQ_SR_mSS_SV_bEUlT_E_NS1_11comp_targetILNS1_3genE2ELNS1_11target_archE906ELNS1_3gpuE6ELNS1_3repE0EEENS1_30default_config_static_selectorELNS0_4arch9wavefront6targetE0EEEvSP_,comdat
.Lfunc_end424:
	.size	_ZN7rocprim17ROCPRIM_400000_NS6detail17trampoline_kernelINS0_14default_configENS1_29binary_search_config_selectorIfbEEZNS1_14transform_implILb0ES3_S5_N6thrust23THRUST_200600_302600_NS6detail15normal_iteratorINS8_10device_ptrIfEEEENSA_INSB_IbEEEEZNS1_13binary_searchIS3_S5_SD_SD_SF_NS1_16binary_search_opENS9_16wrapped_functionINS0_4lessIvEEbEEEE10hipError_tPvRmT1_T2_T3_mmT4_T5_P12ihipStream_tbEUlRKfE_EESM_SQ_SR_mSS_SV_bEUlT_E_NS1_11comp_targetILNS1_3genE2ELNS1_11target_archE906ELNS1_3gpuE6ELNS1_3repE0EEENS1_30default_config_static_selectorELNS0_4arch9wavefront6targetE0EEEvSP_, .Lfunc_end424-_ZN7rocprim17ROCPRIM_400000_NS6detail17trampoline_kernelINS0_14default_configENS1_29binary_search_config_selectorIfbEEZNS1_14transform_implILb0ES3_S5_N6thrust23THRUST_200600_302600_NS6detail15normal_iteratorINS8_10device_ptrIfEEEENSA_INSB_IbEEEEZNS1_13binary_searchIS3_S5_SD_SD_SF_NS1_16binary_search_opENS9_16wrapped_functionINS0_4lessIvEEbEEEE10hipError_tPvRmT1_T2_T3_mmT4_T5_P12ihipStream_tbEUlRKfE_EESM_SQ_SR_mSS_SV_bEUlT_E_NS1_11comp_targetILNS1_3genE2ELNS1_11target_archE906ELNS1_3gpuE6ELNS1_3repE0EEENS1_30default_config_static_selectorELNS0_4arch9wavefront6targetE0EEEvSP_
                                        ; -- End function
	.section	.AMDGPU.csdata,"",@progbits
; Kernel info:
; codeLenInByte = 0
; NumSgprs: 0
; NumVgprs: 0
; ScratchSize: 0
; MemoryBound: 0
; FloatMode: 240
; IeeeMode: 1
; LDSByteSize: 0 bytes/workgroup (compile time only)
; SGPRBlocks: 0
; VGPRBlocks: 0
; NumSGPRsForWavesPerEU: 1
; NumVGPRsForWavesPerEU: 1
; Occupancy: 16
; WaveLimiterHint : 0
; COMPUTE_PGM_RSRC2:SCRATCH_EN: 0
; COMPUTE_PGM_RSRC2:USER_SGPR: 15
; COMPUTE_PGM_RSRC2:TRAP_HANDLER: 0
; COMPUTE_PGM_RSRC2:TGID_X_EN: 1
; COMPUTE_PGM_RSRC2:TGID_Y_EN: 0
; COMPUTE_PGM_RSRC2:TGID_Z_EN: 0
; COMPUTE_PGM_RSRC2:TIDIG_COMP_CNT: 0
	.section	.text._ZN7rocprim17ROCPRIM_400000_NS6detail17trampoline_kernelINS0_14default_configENS1_29binary_search_config_selectorIfbEEZNS1_14transform_implILb0ES3_S5_N6thrust23THRUST_200600_302600_NS6detail15normal_iteratorINS8_10device_ptrIfEEEENSA_INSB_IbEEEEZNS1_13binary_searchIS3_S5_SD_SD_SF_NS1_16binary_search_opENS9_16wrapped_functionINS0_4lessIvEEbEEEE10hipError_tPvRmT1_T2_T3_mmT4_T5_P12ihipStream_tbEUlRKfE_EESM_SQ_SR_mSS_SV_bEUlT_E_NS1_11comp_targetILNS1_3genE10ELNS1_11target_archE1201ELNS1_3gpuE5ELNS1_3repE0EEENS1_30default_config_static_selectorELNS0_4arch9wavefront6targetE0EEEvSP_,"axG",@progbits,_ZN7rocprim17ROCPRIM_400000_NS6detail17trampoline_kernelINS0_14default_configENS1_29binary_search_config_selectorIfbEEZNS1_14transform_implILb0ES3_S5_N6thrust23THRUST_200600_302600_NS6detail15normal_iteratorINS8_10device_ptrIfEEEENSA_INSB_IbEEEEZNS1_13binary_searchIS3_S5_SD_SD_SF_NS1_16binary_search_opENS9_16wrapped_functionINS0_4lessIvEEbEEEE10hipError_tPvRmT1_T2_T3_mmT4_T5_P12ihipStream_tbEUlRKfE_EESM_SQ_SR_mSS_SV_bEUlT_E_NS1_11comp_targetILNS1_3genE10ELNS1_11target_archE1201ELNS1_3gpuE5ELNS1_3repE0EEENS1_30default_config_static_selectorELNS0_4arch9wavefront6targetE0EEEvSP_,comdat
	.protected	_ZN7rocprim17ROCPRIM_400000_NS6detail17trampoline_kernelINS0_14default_configENS1_29binary_search_config_selectorIfbEEZNS1_14transform_implILb0ES3_S5_N6thrust23THRUST_200600_302600_NS6detail15normal_iteratorINS8_10device_ptrIfEEEENSA_INSB_IbEEEEZNS1_13binary_searchIS3_S5_SD_SD_SF_NS1_16binary_search_opENS9_16wrapped_functionINS0_4lessIvEEbEEEE10hipError_tPvRmT1_T2_T3_mmT4_T5_P12ihipStream_tbEUlRKfE_EESM_SQ_SR_mSS_SV_bEUlT_E_NS1_11comp_targetILNS1_3genE10ELNS1_11target_archE1201ELNS1_3gpuE5ELNS1_3repE0EEENS1_30default_config_static_selectorELNS0_4arch9wavefront6targetE0EEEvSP_ ; -- Begin function _ZN7rocprim17ROCPRIM_400000_NS6detail17trampoline_kernelINS0_14default_configENS1_29binary_search_config_selectorIfbEEZNS1_14transform_implILb0ES3_S5_N6thrust23THRUST_200600_302600_NS6detail15normal_iteratorINS8_10device_ptrIfEEEENSA_INSB_IbEEEEZNS1_13binary_searchIS3_S5_SD_SD_SF_NS1_16binary_search_opENS9_16wrapped_functionINS0_4lessIvEEbEEEE10hipError_tPvRmT1_T2_T3_mmT4_T5_P12ihipStream_tbEUlRKfE_EESM_SQ_SR_mSS_SV_bEUlT_E_NS1_11comp_targetILNS1_3genE10ELNS1_11target_archE1201ELNS1_3gpuE5ELNS1_3repE0EEENS1_30default_config_static_selectorELNS0_4arch9wavefront6targetE0EEEvSP_
	.globl	_ZN7rocprim17ROCPRIM_400000_NS6detail17trampoline_kernelINS0_14default_configENS1_29binary_search_config_selectorIfbEEZNS1_14transform_implILb0ES3_S5_N6thrust23THRUST_200600_302600_NS6detail15normal_iteratorINS8_10device_ptrIfEEEENSA_INSB_IbEEEEZNS1_13binary_searchIS3_S5_SD_SD_SF_NS1_16binary_search_opENS9_16wrapped_functionINS0_4lessIvEEbEEEE10hipError_tPvRmT1_T2_T3_mmT4_T5_P12ihipStream_tbEUlRKfE_EESM_SQ_SR_mSS_SV_bEUlT_E_NS1_11comp_targetILNS1_3genE10ELNS1_11target_archE1201ELNS1_3gpuE5ELNS1_3repE0EEENS1_30default_config_static_selectorELNS0_4arch9wavefront6targetE0EEEvSP_
	.p2align	8
	.type	_ZN7rocprim17ROCPRIM_400000_NS6detail17trampoline_kernelINS0_14default_configENS1_29binary_search_config_selectorIfbEEZNS1_14transform_implILb0ES3_S5_N6thrust23THRUST_200600_302600_NS6detail15normal_iteratorINS8_10device_ptrIfEEEENSA_INSB_IbEEEEZNS1_13binary_searchIS3_S5_SD_SD_SF_NS1_16binary_search_opENS9_16wrapped_functionINS0_4lessIvEEbEEEE10hipError_tPvRmT1_T2_T3_mmT4_T5_P12ihipStream_tbEUlRKfE_EESM_SQ_SR_mSS_SV_bEUlT_E_NS1_11comp_targetILNS1_3genE10ELNS1_11target_archE1201ELNS1_3gpuE5ELNS1_3repE0EEENS1_30default_config_static_selectorELNS0_4arch9wavefront6targetE0EEEvSP_,@function
_ZN7rocprim17ROCPRIM_400000_NS6detail17trampoline_kernelINS0_14default_configENS1_29binary_search_config_selectorIfbEEZNS1_14transform_implILb0ES3_S5_N6thrust23THRUST_200600_302600_NS6detail15normal_iteratorINS8_10device_ptrIfEEEENSA_INSB_IbEEEEZNS1_13binary_searchIS3_S5_SD_SD_SF_NS1_16binary_search_opENS9_16wrapped_functionINS0_4lessIvEEbEEEE10hipError_tPvRmT1_T2_T3_mmT4_T5_P12ihipStream_tbEUlRKfE_EESM_SQ_SR_mSS_SV_bEUlT_E_NS1_11comp_targetILNS1_3genE10ELNS1_11target_archE1201ELNS1_3gpuE5ELNS1_3repE0EEENS1_30default_config_static_selectorELNS0_4arch9wavefront6targetE0EEEvSP_: ; @_ZN7rocprim17ROCPRIM_400000_NS6detail17trampoline_kernelINS0_14default_configENS1_29binary_search_config_selectorIfbEEZNS1_14transform_implILb0ES3_S5_N6thrust23THRUST_200600_302600_NS6detail15normal_iteratorINS8_10device_ptrIfEEEENSA_INSB_IbEEEEZNS1_13binary_searchIS3_S5_SD_SD_SF_NS1_16binary_search_opENS9_16wrapped_functionINS0_4lessIvEEbEEEE10hipError_tPvRmT1_T2_T3_mmT4_T5_P12ihipStream_tbEUlRKfE_EESM_SQ_SR_mSS_SV_bEUlT_E_NS1_11comp_targetILNS1_3genE10ELNS1_11target_archE1201ELNS1_3gpuE5ELNS1_3repE0EEENS1_30default_config_static_selectorELNS0_4arch9wavefront6targetE0EEEvSP_
; %bb.0:
	.section	.rodata,"a",@progbits
	.p2align	6, 0x0
	.amdhsa_kernel _ZN7rocprim17ROCPRIM_400000_NS6detail17trampoline_kernelINS0_14default_configENS1_29binary_search_config_selectorIfbEEZNS1_14transform_implILb0ES3_S5_N6thrust23THRUST_200600_302600_NS6detail15normal_iteratorINS8_10device_ptrIfEEEENSA_INSB_IbEEEEZNS1_13binary_searchIS3_S5_SD_SD_SF_NS1_16binary_search_opENS9_16wrapped_functionINS0_4lessIvEEbEEEE10hipError_tPvRmT1_T2_T3_mmT4_T5_P12ihipStream_tbEUlRKfE_EESM_SQ_SR_mSS_SV_bEUlT_E_NS1_11comp_targetILNS1_3genE10ELNS1_11target_archE1201ELNS1_3gpuE5ELNS1_3repE0EEENS1_30default_config_static_selectorELNS0_4arch9wavefront6targetE0EEEvSP_
		.amdhsa_group_segment_fixed_size 0
		.amdhsa_private_segment_fixed_size 0
		.amdhsa_kernarg_size 56
		.amdhsa_user_sgpr_count 15
		.amdhsa_user_sgpr_dispatch_ptr 0
		.amdhsa_user_sgpr_queue_ptr 0
		.amdhsa_user_sgpr_kernarg_segment_ptr 1
		.amdhsa_user_sgpr_dispatch_id 0
		.amdhsa_user_sgpr_private_segment_size 0
		.amdhsa_wavefront_size32 1
		.amdhsa_uses_dynamic_stack 0
		.amdhsa_enable_private_segment 0
		.amdhsa_system_sgpr_workgroup_id_x 1
		.amdhsa_system_sgpr_workgroup_id_y 0
		.amdhsa_system_sgpr_workgroup_id_z 0
		.amdhsa_system_sgpr_workgroup_info 0
		.amdhsa_system_vgpr_workitem_id 0
		.amdhsa_next_free_vgpr 1
		.amdhsa_next_free_sgpr 1
		.amdhsa_reserve_vcc 0
		.amdhsa_float_round_mode_32 0
		.amdhsa_float_round_mode_16_64 0
		.amdhsa_float_denorm_mode_32 3
		.amdhsa_float_denorm_mode_16_64 3
		.amdhsa_dx10_clamp 1
		.amdhsa_ieee_mode 1
		.amdhsa_fp16_overflow 0
		.amdhsa_workgroup_processor_mode 1
		.amdhsa_memory_ordered 1
		.amdhsa_forward_progress 0
		.amdhsa_shared_vgpr_count 0
		.amdhsa_exception_fp_ieee_invalid_op 0
		.amdhsa_exception_fp_denorm_src 0
		.amdhsa_exception_fp_ieee_div_zero 0
		.amdhsa_exception_fp_ieee_overflow 0
		.amdhsa_exception_fp_ieee_underflow 0
		.amdhsa_exception_fp_ieee_inexact 0
		.amdhsa_exception_int_div_zero 0
	.end_amdhsa_kernel
	.section	.text._ZN7rocprim17ROCPRIM_400000_NS6detail17trampoline_kernelINS0_14default_configENS1_29binary_search_config_selectorIfbEEZNS1_14transform_implILb0ES3_S5_N6thrust23THRUST_200600_302600_NS6detail15normal_iteratorINS8_10device_ptrIfEEEENSA_INSB_IbEEEEZNS1_13binary_searchIS3_S5_SD_SD_SF_NS1_16binary_search_opENS9_16wrapped_functionINS0_4lessIvEEbEEEE10hipError_tPvRmT1_T2_T3_mmT4_T5_P12ihipStream_tbEUlRKfE_EESM_SQ_SR_mSS_SV_bEUlT_E_NS1_11comp_targetILNS1_3genE10ELNS1_11target_archE1201ELNS1_3gpuE5ELNS1_3repE0EEENS1_30default_config_static_selectorELNS0_4arch9wavefront6targetE0EEEvSP_,"axG",@progbits,_ZN7rocprim17ROCPRIM_400000_NS6detail17trampoline_kernelINS0_14default_configENS1_29binary_search_config_selectorIfbEEZNS1_14transform_implILb0ES3_S5_N6thrust23THRUST_200600_302600_NS6detail15normal_iteratorINS8_10device_ptrIfEEEENSA_INSB_IbEEEEZNS1_13binary_searchIS3_S5_SD_SD_SF_NS1_16binary_search_opENS9_16wrapped_functionINS0_4lessIvEEbEEEE10hipError_tPvRmT1_T2_T3_mmT4_T5_P12ihipStream_tbEUlRKfE_EESM_SQ_SR_mSS_SV_bEUlT_E_NS1_11comp_targetILNS1_3genE10ELNS1_11target_archE1201ELNS1_3gpuE5ELNS1_3repE0EEENS1_30default_config_static_selectorELNS0_4arch9wavefront6targetE0EEEvSP_,comdat
.Lfunc_end425:
	.size	_ZN7rocprim17ROCPRIM_400000_NS6detail17trampoline_kernelINS0_14default_configENS1_29binary_search_config_selectorIfbEEZNS1_14transform_implILb0ES3_S5_N6thrust23THRUST_200600_302600_NS6detail15normal_iteratorINS8_10device_ptrIfEEEENSA_INSB_IbEEEEZNS1_13binary_searchIS3_S5_SD_SD_SF_NS1_16binary_search_opENS9_16wrapped_functionINS0_4lessIvEEbEEEE10hipError_tPvRmT1_T2_T3_mmT4_T5_P12ihipStream_tbEUlRKfE_EESM_SQ_SR_mSS_SV_bEUlT_E_NS1_11comp_targetILNS1_3genE10ELNS1_11target_archE1201ELNS1_3gpuE5ELNS1_3repE0EEENS1_30default_config_static_selectorELNS0_4arch9wavefront6targetE0EEEvSP_, .Lfunc_end425-_ZN7rocprim17ROCPRIM_400000_NS6detail17trampoline_kernelINS0_14default_configENS1_29binary_search_config_selectorIfbEEZNS1_14transform_implILb0ES3_S5_N6thrust23THRUST_200600_302600_NS6detail15normal_iteratorINS8_10device_ptrIfEEEENSA_INSB_IbEEEEZNS1_13binary_searchIS3_S5_SD_SD_SF_NS1_16binary_search_opENS9_16wrapped_functionINS0_4lessIvEEbEEEE10hipError_tPvRmT1_T2_T3_mmT4_T5_P12ihipStream_tbEUlRKfE_EESM_SQ_SR_mSS_SV_bEUlT_E_NS1_11comp_targetILNS1_3genE10ELNS1_11target_archE1201ELNS1_3gpuE5ELNS1_3repE0EEENS1_30default_config_static_selectorELNS0_4arch9wavefront6targetE0EEEvSP_
                                        ; -- End function
	.section	.AMDGPU.csdata,"",@progbits
; Kernel info:
; codeLenInByte = 0
; NumSgprs: 0
; NumVgprs: 0
; ScratchSize: 0
; MemoryBound: 0
; FloatMode: 240
; IeeeMode: 1
; LDSByteSize: 0 bytes/workgroup (compile time only)
; SGPRBlocks: 0
; VGPRBlocks: 0
; NumSGPRsForWavesPerEU: 1
; NumVGPRsForWavesPerEU: 1
; Occupancy: 16
; WaveLimiterHint : 0
; COMPUTE_PGM_RSRC2:SCRATCH_EN: 0
; COMPUTE_PGM_RSRC2:USER_SGPR: 15
; COMPUTE_PGM_RSRC2:TRAP_HANDLER: 0
; COMPUTE_PGM_RSRC2:TGID_X_EN: 1
; COMPUTE_PGM_RSRC2:TGID_Y_EN: 0
; COMPUTE_PGM_RSRC2:TGID_Z_EN: 0
; COMPUTE_PGM_RSRC2:TIDIG_COMP_CNT: 0
	.section	.text._ZN7rocprim17ROCPRIM_400000_NS6detail17trampoline_kernelINS0_14default_configENS1_29binary_search_config_selectorIfbEEZNS1_14transform_implILb0ES3_S5_N6thrust23THRUST_200600_302600_NS6detail15normal_iteratorINS8_10device_ptrIfEEEENSA_INSB_IbEEEEZNS1_13binary_searchIS3_S5_SD_SD_SF_NS1_16binary_search_opENS9_16wrapped_functionINS0_4lessIvEEbEEEE10hipError_tPvRmT1_T2_T3_mmT4_T5_P12ihipStream_tbEUlRKfE_EESM_SQ_SR_mSS_SV_bEUlT_E_NS1_11comp_targetILNS1_3genE10ELNS1_11target_archE1200ELNS1_3gpuE4ELNS1_3repE0EEENS1_30default_config_static_selectorELNS0_4arch9wavefront6targetE0EEEvSP_,"axG",@progbits,_ZN7rocprim17ROCPRIM_400000_NS6detail17trampoline_kernelINS0_14default_configENS1_29binary_search_config_selectorIfbEEZNS1_14transform_implILb0ES3_S5_N6thrust23THRUST_200600_302600_NS6detail15normal_iteratorINS8_10device_ptrIfEEEENSA_INSB_IbEEEEZNS1_13binary_searchIS3_S5_SD_SD_SF_NS1_16binary_search_opENS9_16wrapped_functionINS0_4lessIvEEbEEEE10hipError_tPvRmT1_T2_T3_mmT4_T5_P12ihipStream_tbEUlRKfE_EESM_SQ_SR_mSS_SV_bEUlT_E_NS1_11comp_targetILNS1_3genE10ELNS1_11target_archE1200ELNS1_3gpuE4ELNS1_3repE0EEENS1_30default_config_static_selectorELNS0_4arch9wavefront6targetE0EEEvSP_,comdat
	.protected	_ZN7rocprim17ROCPRIM_400000_NS6detail17trampoline_kernelINS0_14default_configENS1_29binary_search_config_selectorIfbEEZNS1_14transform_implILb0ES3_S5_N6thrust23THRUST_200600_302600_NS6detail15normal_iteratorINS8_10device_ptrIfEEEENSA_INSB_IbEEEEZNS1_13binary_searchIS3_S5_SD_SD_SF_NS1_16binary_search_opENS9_16wrapped_functionINS0_4lessIvEEbEEEE10hipError_tPvRmT1_T2_T3_mmT4_T5_P12ihipStream_tbEUlRKfE_EESM_SQ_SR_mSS_SV_bEUlT_E_NS1_11comp_targetILNS1_3genE10ELNS1_11target_archE1200ELNS1_3gpuE4ELNS1_3repE0EEENS1_30default_config_static_selectorELNS0_4arch9wavefront6targetE0EEEvSP_ ; -- Begin function _ZN7rocprim17ROCPRIM_400000_NS6detail17trampoline_kernelINS0_14default_configENS1_29binary_search_config_selectorIfbEEZNS1_14transform_implILb0ES3_S5_N6thrust23THRUST_200600_302600_NS6detail15normal_iteratorINS8_10device_ptrIfEEEENSA_INSB_IbEEEEZNS1_13binary_searchIS3_S5_SD_SD_SF_NS1_16binary_search_opENS9_16wrapped_functionINS0_4lessIvEEbEEEE10hipError_tPvRmT1_T2_T3_mmT4_T5_P12ihipStream_tbEUlRKfE_EESM_SQ_SR_mSS_SV_bEUlT_E_NS1_11comp_targetILNS1_3genE10ELNS1_11target_archE1200ELNS1_3gpuE4ELNS1_3repE0EEENS1_30default_config_static_selectorELNS0_4arch9wavefront6targetE0EEEvSP_
	.globl	_ZN7rocprim17ROCPRIM_400000_NS6detail17trampoline_kernelINS0_14default_configENS1_29binary_search_config_selectorIfbEEZNS1_14transform_implILb0ES3_S5_N6thrust23THRUST_200600_302600_NS6detail15normal_iteratorINS8_10device_ptrIfEEEENSA_INSB_IbEEEEZNS1_13binary_searchIS3_S5_SD_SD_SF_NS1_16binary_search_opENS9_16wrapped_functionINS0_4lessIvEEbEEEE10hipError_tPvRmT1_T2_T3_mmT4_T5_P12ihipStream_tbEUlRKfE_EESM_SQ_SR_mSS_SV_bEUlT_E_NS1_11comp_targetILNS1_3genE10ELNS1_11target_archE1200ELNS1_3gpuE4ELNS1_3repE0EEENS1_30default_config_static_selectorELNS0_4arch9wavefront6targetE0EEEvSP_
	.p2align	8
	.type	_ZN7rocprim17ROCPRIM_400000_NS6detail17trampoline_kernelINS0_14default_configENS1_29binary_search_config_selectorIfbEEZNS1_14transform_implILb0ES3_S5_N6thrust23THRUST_200600_302600_NS6detail15normal_iteratorINS8_10device_ptrIfEEEENSA_INSB_IbEEEEZNS1_13binary_searchIS3_S5_SD_SD_SF_NS1_16binary_search_opENS9_16wrapped_functionINS0_4lessIvEEbEEEE10hipError_tPvRmT1_T2_T3_mmT4_T5_P12ihipStream_tbEUlRKfE_EESM_SQ_SR_mSS_SV_bEUlT_E_NS1_11comp_targetILNS1_3genE10ELNS1_11target_archE1200ELNS1_3gpuE4ELNS1_3repE0EEENS1_30default_config_static_selectorELNS0_4arch9wavefront6targetE0EEEvSP_,@function
_ZN7rocprim17ROCPRIM_400000_NS6detail17trampoline_kernelINS0_14default_configENS1_29binary_search_config_selectorIfbEEZNS1_14transform_implILb0ES3_S5_N6thrust23THRUST_200600_302600_NS6detail15normal_iteratorINS8_10device_ptrIfEEEENSA_INSB_IbEEEEZNS1_13binary_searchIS3_S5_SD_SD_SF_NS1_16binary_search_opENS9_16wrapped_functionINS0_4lessIvEEbEEEE10hipError_tPvRmT1_T2_T3_mmT4_T5_P12ihipStream_tbEUlRKfE_EESM_SQ_SR_mSS_SV_bEUlT_E_NS1_11comp_targetILNS1_3genE10ELNS1_11target_archE1200ELNS1_3gpuE4ELNS1_3repE0EEENS1_30default_config_static_selectorELNS0_4arch9wavefront6targetE0EEEvSP_: ; @_ZN7rocprim17ROCPRIM_400000_NS6detail17trampoline_kernelINS0_14default_configENS1_29binary_search_config_selectorIfbEEZNS1_14transform_implILb0ES3_S5_N6thrust23THRUST_200600_302600_NS6detail15normal_iteratorINS8_10device_ptrIfEEEENSA_INSB_IbEEEEZNS1_13binary_searchIS3_S5_SD_SD_SF_NS1_16binary_search_opENS9_16wrapped_functionINS0_4lessIvEEbEEEE10hipError_tPvRmT1_T2_T3_mmT4_T5_P12ihipStream_tbEUlRKfE_EESM_SQ_SR_mSS_SV_bEUlT_E_NS1_11comp_targetILNS1_3genE10ELNS1_11target_archE1200ELNS1_3gpuE4ELNS1_3repE0EEENS1_30default_config_static_selectorELNS0_4arch9wavefront6targetE0EEEvSP_
; %bb.0:
	.section	.rodata,"a",@progbits
	.p2align	6, 0x0
	.amdhsa_kernel _ZN7rocprim17ROCPRIM_400000_NS6detail17trampoline_kernelINS0_14default_configENS1_29binary_search_config_selectorIfbEEZNS1_14transform_implILb0ES3_S5_N6thrust23THRUST_200600_302600_NS6detail15normal_iteratorINS8_10device_ptrIfEEEENSA_INSB_IbEEEEZNS1_13binary_searchIS3_S5_SD_SD_SF_NS1_16binary_search_opENS9_16wrapped_functionINS0_4lessIvEEbEEEE10hipError_tPvRmT1_T2_T3_mmT4_T5_P12ihipStream_tbEUlRKfE_EESM_SQ_SR_mSS_SV_bEUlT_E_NS1_11comp_targetILNS1_3genE10ELNS1_11target_archE1200ELNS1_3gpuE4ELNS1_3repE0EEENS1_30default_config_static_selectorELNS0_4arch9wavefront6targetE0EEEvSP_
		.amdhsa_group_segment_fixed_size 0
		.amdhsa_private_segment_fixed_size 0
		.amdhsa_kernarg_size 56
		.amdhsa_user_sgpr_count 15
		.amdhsa_user_sgpr_dispatch_ptr 0
		.amdhsa_user_sgpr_queue_ptr 0
		.amdhsa_user_sgpr_kernarg_segment_ptr 1
		.amdhsa_user_sgpr_dispatch_id 0
		.amdhsa_user_sgpr_private_segment_size 0
		.amdhsa_wavefront_size32 1
		.amdhsa_uses_dynamic_stack 0
		.amdhsa_enable_private_segment 0
		.amdhsa_system_sgpr_workgroup_id_x 1
		.amdhsa_system_sgpr_workgroup_id_y 0
		.amdhsa_system_sgpr_workgroup_id_z 0
		.amdhsa_system_sgpr_workgroup_info 0
		.amdhsa_system_vgpr_workitem_id 0
		.amdhsa_next_free_vgpr 1
		.amdhsa_next_free_sgpr 1
		.amdhsa_reserve_vcc 0
		.amdhsa_float_round_mode_32 0
		.amdhsa_float_round_mode_16_64 0
		.amdhsa_float_denorm_mode_32 3
		.amdhsa_float_denorm_mode_16_64 3
		.amdhsa_dx10_clamp 1
		.amdhsa_ieee_mode 1
		.amdhsa_fp16_overflow 0
		.amdhsa_workgroup_processor_mode 1
		.amdhsa_memory_ordered 1
		.amdhsa_forward_progress 0
		.amdhsa_shared_vgpr_count 0
		.amdhsa_exception_fp_ieee_invalid_op 0
		.amdhsa_exception_fp_denorm_src 0
		.amdhsa_exception_fp_ieee_div_zero 0
		.amdhsa_exception_fp_ieee_overflow 0
		.amdhsa_exception_fp_ieee_underflow 0
		.amdhsa_exception_fp_ieee_inexact 0
		.amdhsa_exception_int_div_zero 0
	.end_amdhsa_kernel
	.section	.text._ZN7rocprim17ROCPRIM_400000_NS6detail17trampoline_kernelINS0_14default_configENS1_29binary_search_config_selectorIfbEEZNS1_14transform_implILb0ES3_S5_N6thrust23THRUST_200600_302600_NS6detail15normal_iteratorINS8_10device_ptrIfEEEENSA_INSB_IbEEEEZNS1_13binary_searchIS3_S5_SD_SD_SF_NS1_16binary_search_opENS9_16wrapped_functionINS0_4lessIvEEbEEEE10hipError_tPvRmT1_T2_T3_mmT4_T5_P12ihipStream_tbEUlRKfE_EESM_SQ_SR_mSS_SV_bEUlT_E_NS1_11comp_targetILNS1_3genE10ELNS1_11target_archE1200ELNS1_3gpuE4ELNS1_3repE0EEENS1_30default_config_static_selectorELNS0_4arch9wavefront6targetE0EEEvSP_,"axG",@progbits,_ZN7rocprim17ROCPRIM_400000_NS6detail17trampoline_kernelINS0_14default_configENS1_29binary_search_config_selectorIfbEEZNS1_14transform_implILb0ES3_S5_N6thrust23THRUST_200600_302600_NS6detail15normal_iteratorINS8_10device_ptrIfEEEENSA_INSB_IbEEEEZNS1_13binary_searchIS3_S5_SD_SD_SF_NS1_16binary_search_opENS9_16wrapped_functionINS0_4lessIvEEbEEEE10hipError_tPvRmT1_T2_T3_mmT4_T5_P12ihipStream_tbEUlRKfE_EESM_SQ_SR_mSS_SV_bEUlT_E_NS1_11comp_targetILNS1_3genE10ELNS1_11target_archE1200ELNS1_3gpuE4ELNS1_3repE0EEENS1_30default_config_static_selectorELNS0_4arch9wavefront6targetE0EEEvSP_,comdat
.Lfunc_end426:
	.size	_ZN7rocprim17ROCPRIM_400000_NS6detail17trampoline_kernelINS0_14default_configENS1_29binary_search_config_selectorIfbEEZNS1_14transform_implILb0ES3_S5_N6thrust23THRUST_200600_302600_NS6detail15normal_iteratorINS8_10device_ptrIfEEEENSA_INSB_IbEEEEZNS1_13binary_searchIS3_S5_SD_SD_SF_NS1_16binary_search_opENS9_16wrapped_functionINS0_4lessIvEEbEEEE10hipError_tPvRmT1_T2_T3_mmT4_T5_P12ihipStream_tbEUlRKfE_EESM_SQ_SR_mSS_SV_bEUlT_E_NS1_11comp_targetILNS1_3genE10ELNS1_11target_archE1200ELNS1_3gpuE4ELNS1_3repE0EEENS1_30default_config_static_selectorELNS0_4arch9wavefront6targetE0EEEvSP_, .Lfunc_end426-_ZN7rocprim17ROCPRIM_400000_NS6detail17trampoline_kernelINS0_14default_configENS1_29binary_search_config_selectorIfbEEZNS1_14transform_implILb0ES3_S5_N6thrust23THRUST_200600_302600_NS6detail15normal_iteratorINS8_10device_ptrIfEEEENSA_INSB_IbEEEEZNS1_13binary_searchIS3_S5_SD_SD_SF_NS1_16binary_search_opENS9_16wrapped_functionINS0_4lessIvEEbEEEE10hipError_tPvRmT1_T2_T3_mmT4_T5_P12ihipStream_tbEUlRKfE_EESM_SQ_SR_mSS_SV_bEUlT_E_NS1_11comp_targetILNS1_3genE10ELNS1_11target_archE1200ELNS1_3gpuE4ELNS1_3repE0EEENS1_30default_config_static_selectorELNS0_4arch9wavefront6targetE0EEEvSP_
                                        ; -- End function
	.section	.AMDGPU.csdata,"",@progbits
; Kernel info:
; codeLenInByte = 0
; NumSgprs: 0
; NumVgprs: 0
; ScratchSize: 0
; MemoryBound: 0
; FloatMode: 240
; IeeeMode: 1
; LDSByteSize: 0 bytes/workgroup (compile time only)
; SGPRBlocks: 0
; VGPRBlocks: 0
; NumSGPRsForWavesPerEU: 1
; NumVGPRsForWavesPerEU: 1
; Occupancy: 16
; WaveLimiterHint : 0
; COMPUTE_PGM_RSRC2:SCRATCH_EN: 0
; COMPUTE_PGM_RSRC2:USER_SGPR: 15
; COMPUTE_PGM_RSRC2:TRAP_HANDLER: 0
; COMPUTE_PGM_RSRC2:TGID_X_EN: 1
; COMPUTE_PGM_RSRC2:TGID_Y_EN: 0
; COMPUTE_PGM_RSRC2:TGID_Z_EN: 0
; COMPUTE_PGM_RSRC2:TIDIG_COMP_CNT: 0
	.section	.text._ZN7rocprim17ROCPRIM_400000_NS6detail17trampoline_kernelINS0_14default_configENS1_29binary_search_config_selectorIfbEEZNS1_14transform_implILb0ES3_S5_N6thrust23THRUST_200600_302600_NS6detail15normal_iteratorINS8_10device_ptrIfEEEENSA_INSB_IbEEEEZNS1_13binary_searchIS3_S5_SD_SD_SF_NS1_16binary_search_opENS9_16wrapped_functionINS0_4lessIvEEbEEEE10hipError_tPvRmT1_T2_T3_mmT4_T5_P12ihipStream_tbEUlRKfE_EESM_SQ_SR_mSS_SV_bEUlT_E_NS1_11comp_targetILNS1_3genE9ELNS1_11target_archE1100ELNS1_3gpuE3ELNS1_3repE0EEENS1_30default_config_static_selectorELNS0_4arch9wavefront6targetE0EEEvSP_,"axG",@progbits,_ZN7rocprim17ROCPRIM_400000_NS6detail17trampoline_kernelINS0_14default_configENS1_29binary_search_config_selectorIfbEEZNS1_14transform_implILb0ES3_S5_N6thrust23THRUST_200600_302600_NS6detail15normal_iteratorINS8_10device_ptrIfEEEENSA_INSB_IbEEEEZNS1_13binary_searchIS3_S5_SD_SD_SF_NS1_16binary_search_opENS9_16wrapped_functionINS0_4lessIvEEbEEEE10hipError_tPvRmT1_T2_T3_mmT4_T5_P12ihipStream_tbEUlRKfE_EESM_SQ_SR_mSS_SV_bEUlT_E_NS1_11comp_targetILNS1_3genE9ELNS1_11target_archE1100ELNS1_3gpuE3ELNS1_3repE0EEENS1_30default_config_static_selectorELNS0_4arch9wavefront6targetE0EEEvSP_,comdat
	.protected	_ZN7rocprim17ROCPRIM_400000_NS6detail17trampoline_kernelINS0_14default_configENS1_29binary_search_config_selectorIfbEEZNS1_14transform_implILb0ES3_S5_N6thrust23THRUST_200600_302600_NS6detail15normal_iteratorINS8_10device_ptrIfEEEENSA_INSB_IbEEEEZNS1_13binary_searchIS3_S5_SD_SD_SF_NS1_16binary_search_opENS9_16wrapped_functionINS0_4lessIvEEbEEEE10hipError_tPvRmT1_T2_T3_mmT4_T5_P12ihipStream_tbEUlRKfE_EESM_SQ_SR_mSS_SV_bEUlT_E_NS1_11comp_targetILNS1_3genE9ELNS1_11target_archE1100ELNS1_3gpuE3ELNS1_3repE0EEENS1_30default_config_static_selectorELNS0_4arch9wavefront6targetE0EEEvSP_ ; -- Begin function _ZN7rocprim17ROCPRIM_400000_NS6detail17trampoline_kernelINS0_14default_configENS1_29binary_search_config_selectorIfbEEZNS1_14transform_implILb0ES3_S5_N6thrust23THRUST_200600_302600_NS6detail15normal_iteratorINS8_10device_ptrIfEEEENSA_INSB_IbEEEEZNS1_13binary_searchIS3_S5_SD_SD_SF_NS1_16binary_search_opENS9_16wrapped_functionINS0_4lessIvEEbEEEE10hipError_tPvRmT1_T2_T3_mmT4_T5_P12ihipStream_tbEUlRKfE_EESM_SQ_SR_mSS_SV_bEUlT_E_NS1_11comp_targetILNS1_3genE9ELNS1_11target_archE1100ELNS1_3gpuE3ELNS1_3repE0EEENS1_30default_config_static_selectorELNS0_4arch9wavefront6targetE0EEEvSP_
	.globl	_ZN7rocprim17ROCPRIM_400000_NS6detail17trampoline_kernelINS0_14default_configENS1_29binary_search_config_selectorIfbEEZNS1_14transform_implILb0ES3_S5_N6thrust23THRUST_200600_302600_NS6detail15normal_iteratorINS8_10device_ptrIfEEEENSA_INSB_IbEEEEZNS1_13binary_searchIS3_S5_SD_SD_SF_NS1_16binary_search_opENS9_16wrapped_functionINS0_4lessIvEEbEEEE10hipError_tPvRmT1_T2_T3_mmT4_T5_P12ihipStream_tbEUlRKfE_EESM_SQ_SR_mSS_SV_bEUlT_E_NS1_11comp_targetILNS1_3genE9ELNS1_11target_archE1100ELNS1_3gpuE3ELNS1_3repE0EEENS1_30default_config_static_selectorELNS0_4arch9wavefront6targetE0EEEvSP_
	.p2align	8
	.type	_ZN7rocprim17ROCPRIM_400000_NS6detail17trampoline_kernelINS0_14default_configENS1_29binary_search_config_selectorIfbEEZNS1_14transform_implILb0ES3_S5_N6thrust23THRUST_200600_302600_NS6detail15normal_iteratorINS8_10device_ptrIfEEEENSA_INSB_IbEEEEZNS1_13binary_searchIS3_S5_SD_SD_SF_NS1_16binary_search_opENS9_16wrapped_functionINS0_4lessIvEEbEEEE10hipError_tPvRmT1_T2_T3_mmT4_T5_P12ihipStream_tbEUlRKfE_EESM_SQ_SR_mSS_SV_bEUlT_E_NS1_11comp_targetILNS1_3genE9ELNS1_11target_archE1100ELNS1_3gpuE3ELNS1_3repE0EEENS1_30default_config_static_selectorELNS0_4arch9wavefront6targetE0EEEvSP_,@function
_ZN7rocprim17ROCPRIM_400000_NS6detail17trampoline_kernelINS0_14default_configENS1_29binary_search_config_selectorIfbEEZNS1_14transform_implILb0ES3_S5_N6thrust23THRUST_200600_302600_NS6detail15normal_iteratorINS8_10device_ptrIfEEEENSA_INSB_IbEEEEZNS1_13binary_searchIS3_S5_SD_SD_SF_NS1_16binary_search_opENS9_16wrapped_functionINS0_4lessIvEEbEEEE10hipError_tPvRmT1_T2_T3_mmT4_T5_P12ihipStream_tbEUlRKfE_EESM_SQ_SR_mSS_SV_bEUlT_E_NS1_11comp_targetILNS1_3genE9ELNS1_11target_archE1100ELNS1_3gpuE3ELNS1_3repE0EEENS1_30default_config_static_selectorELNS0_4arch9wavefront6targetE0EEEvSP_: ; @_ZN7rocprim17ROCPRIM_400000_NS6detail17trampoline_kernelINS0_14default_configENS1_29binary_search_config_selectorIfbEEZNS1_14transform_implILb0ES3_S5_N6thrust23THRUST_200600_302600_NS6detail15normal_iteratorINS8_10device_ptrIfEEEENSA_INSB_IbEEEEZNS1_13binary_searchIS3_S5_SD_SD_SF_NS1_16binary_search_opENS9_16wrapped_functionINS0_4lessIvEEbEEEE10hipError_tPvRmT1_T2_T3_mmT4_T5_P12ihipStream_tbEUlRKfE_EESM_SQ_SR_mSS_SV_bEUlT_E_NS1_11comp_targetILNS1_3genE9ELNS1_11target_archE1100ELNS1_3gpuE3ELNS1_3repE0EEENS1_30default_config_static_selectorELNS0_4arch9wavefront6targetE0EEEvSP_
; %bb.0:
	s_clause 0x3
	s_load_b128 s[16:19], s[0:1], 0x0
	s_load_b128 s[4:7], s[0:1], 0x18
	s_load_b32 s12, s[0:1], 0x38
	s_load_b64 s[8:9], s[0:1], 0x28
	s_waitcnt lgkmcnt(0)
	s_lshl_b64 s[2:3], s[18:19], 2
	s_delay_alu instid0(SALU_CYCLE_1)
	s_add_u32 s10, s16, s2
	s_addc_u32 s11, s17, s3
	s_add_u32 s4, s4, s18
	s_addc_u32 s5, s5, s19
	s_add_i32 s12, s12, -1
	s_lshl_b32 s2, s15, 8
	s_mov_b32 s3, 0
	s_cmp_lg_u32 s15, s12
	s_mov_b32 s12, -1
	s_cbranch_scc0 .LBB427_8
; %bb.1:
	v_lshlrev_b32_e32 v1, 2, v0
	s_lshl_b64 s[12:13], s[2:3], 2
	s_delay_alu instid0(SALU_CYCLE_1) | instskip(SKIP_1) | instid1(VALU_DEP_1)
	s_add_u32 s12, s10, s12
	s_addc_u32 s13, s11, s13
	v_add_co_u32 v1, s12, s12, v1
	s_delay_alu instid0(VALU_DEP_1)
	v_add_co_ci_u32_e64 v2, null, s13, 0, s12
	s_cmp_eq_u64 s[8:9], 0
	flat_load_b32 v5, v[1:2]
	v_mov_b32_e32 v1, 0
	v_mov_b32_e32 v2, 0
	s_cbranch_scc1 .LBB427_5
; %bb.2:
	v_mov_b32_e32 v1, 0
	v_dual_mov_b32 v2, 0 :: v_dual_mov_b32 v3, s8
	v_mov_b32_e32 v4, s9
	s_mov_b32 s12, s3
	.p2align	6
.LBB427_3:                              ; =>This Inner Loop Header: Depth=1
	s_delay_alu instid0(VALU_DEP_2) | instskip(NEXT) | instid1(VALU_DEP_2)
	v_sub_co_u32 v6, vcc_lo, v3, v1
	v_sub_co_ci_u32_e32 v7, vcc_lo, v4, v2, vcc_lo
	s_delay_alu instid0(VALU_DEP_1) | instskip(SKIP_1) | instid1(VALU_DEP_2)
	v_lshrrev_b64 v[8:9], 1, v[6:7]
	v_lshrrev_b64 v[6:7], 6, v[6:7]
	v_add_co_u32 v8, vcc_lo, v8, v1
	s_delay_alu instid0(VALU_DEP_3) | instskip(NEXT) | instid1(VALU_DEP_2)
	v_add_co_ci_u32_e32 v9, vcc_lo, v9, v2, vcc_lo
	v_add_co_u32 v6, vcc_lo, v8, v6
	s_delay_alu instid0(VALU_DEP_2) | instskip(NEXT) | instid1(VALU_DEP_1)
	v_add_co_ci_u32_e32 v7, vcc_lo, v9, v7, vcc_lo
	v_lshlrev_b64 v[8:9], 2, v[6:7]
	s_delay_alu instid0(VALU_DEP_1) | instskip(NEXT) | instid1(VALU_DEP_2)
	v_add_co_u32 v8, vcc_lo, s6, v8
	v_add_co_ci_u32_e32 v9, vcc_lo, s7, v9, vcc_lo
	global_load_b32 v8, v[8:9], off
	v_add_co_u32 v9, vcc_lo, v6, 1
	v_add_co_ci_u32_e32 v10, vcc_lo, 0, v7, vcc_lo
	s_waitcnt vmcnt(0) lgkmcnt(0)
	v_cmp_lt_f32_e32 vcc_lo, v8, v5
	v_dual_cndmask_b32 v4, v7, v4 :: v_dual_cndmask_b32 v3, v6, v3
	s_delay_alu instid0(VALU_DEP_3) | instskip(NEXT) | instid1(VALU_DEP_1)
	v_dual_cndmask_b32 v2, v2, v10 :: v_dual_cndmask_b32 v1, v1, v9
	v_cmp_ge_u64_e32 vcc_lo, v[1:2], v[3:4]
	s_or_b32 s12, vcc_lo, s12
	s_delay_alu instid0(SALU_CYCLE_1)
	s_and_not1_b32 exec_lo, exec_lo, s12
	s_cbranch_execnz .LBB427_3
; %bb.4:
	s_or_b32 exec_lo, exec_lo, s12
.LBB427_5:
	s_mov_b32 s12, 0
	s_mov_b32 s14, 0
	s_mov_b32 s13, exec_lo
	v_cmpx_ne_u64_e64 s[8:9], v[1:2]
	s_cbranch_execz .LBB427_7
; %bb.6:
	v_lshlrev_b64 v[1:2], 2, v[1:2]
	s_delay_alu instid0(VALU_DEP_1) | instskip(NEXT) | instid1(VALU_DEP_2)
	v_add_co_u32 v1, vcc_lo, s6, v1
	v_add_co_ci_u32_e32 v2, vcc_lo, s7, v2, vcc_lo
	global_load_b32 v1, v[1:2], off
	s_waitcnt vmcnt(0) lgkmcnt(0)
	v_cmp_ngt_f32_e32 vcc_lo, v1, v5
	s_and_b32 s14, vcc_lo, exec_lo
.LBB427_7:
	s_or_b32 exec_lo, exec_lo, s13
	s_add_u32 s13, s4, s2
	v_cndmask_b32_e64 v3, 0, 1, s14
	s_addc_u32 s14, s5, 0
	v_add_co_u32 v1, s13, s13, v0
	s_delay_alu instid0(VALU_DEP_1)
	v_add_co_ci_u32_e64 v2, null, s14, 0, s13
	flat_store_b8 v[1:2], v3
.LBB427_8:
	s_and_b32 vcc_lo, exec_lo, s12
	s_cbranch_vccz .LBB427_13
; %bb.9:
	s_load_b32 s0, s[0:1], 0x10
                                        ; implicit-def: $vgpr5
	s_waitcnt lgkmcnt(0)
	s_sub_i32 s0, s0, s2
	s_delay_alu instid0(SALU_CYCLE_1)
	v_cmp_gt_u32_e32 vcc_lo, s0, v0
	s_and_saveexec_b32 s0, vcc_lo
	s_cbranch_execnz .LBB427_14
; %bb.10:
	s_or_b32 exec_lo, exec_lo, s0
                                        ; implicit-def: $vgpr1
	s_and_saveexec_b32 s1, vcc_lo
	s_cbranch_execnz .LBB427_15
.LBB427_11:
	s_or_b32 exec_lo, exec_lo, s1
	s_and_saveexec_b32 s0, vcc_lo
	s_cbranch_execz .LBB427_13
.LBB427_12:
	s_add_u32 s0, s4, s2
	s_addc_u32 s1, s5, 0
	v_add_co_u32 v2, s0, s0, v0
	s_delay_alu instid0(VALU_DEP_1)
	v_add_co_ci_u32_e64 v3, null, s1, 0, s0
	flat_store_b8 v[2:3], v1
.LBB427_13:
	s_endpgm
.LBB427_14:
	v_lshlrev_b32_e32 v1, 2, v0
	s_lshl_b64 s[12:13], s[2:3], 2
	s_delay_alu instid0(SALU_CYCLE_1) | instskip(SKIP_1) | instid1(VALU_DEP_1)
	s_add_u32 s1, s10, s12
	s_addc_u32 s3, s11, s13
	v_add_co_u32 v1, s1, s1, v1
	s_delay_alu instid0(VALU_DEP_1)
	v_add_co_ci_u32_e64 v2, null, s3, 0, s1
	s_waitcnt vmcnt(0)
	flat_load_b32 v5, v[1:2]
	s_or_b32 exec_lo, exec_lo, s0
                                        ; implicit-def: $vgpr1
	s_and_saveexec_b32 s1, vcc_lo
	s_cbranch_execz .LBB427_11
.LBB427_15:
	v_mov_b32_e32 v1, 0
	v_mov_b32_e32 v2, 0
	s_cmp_eq_u64 s[8:9], 0
	s_cbranch_scc1 .LBB427_19
; %bb.16:
	v_mov_b32_e32 v1, 0
	v_dual_mov_b32 v2, 0 :: v_dual_mov_b32 v3, s8
	v_mov_b32_e32 v4, s9
	s_mov_b32 s3, 0
	s_set_inst_prefetch_distance 0x1
	.p2align	6
.LBB427_17:                             ; =>This Inner Loop Header: Depth=1
	s_delay_alu instid0(VALU_DEP_2) | instskip(NEXT) | instid1(VALU_DEP_1)
	v_sub_co_u32 v6, s0, v3, v1
	v_sub_co_ci_u32_e64 v7, s0, v4, v2, s0
	s_delay_alu instid0(VALU_DEP_1) | instskip(SKIP_1) | instid1(VALU_DEP_2)
	v_lshrrev_b64 v[8:9], 1, v[6:7]
	v_lshrrev_b64 v[6:7], 6, v[6:7]
	v_add_co_u32 v8, s0, v8, v1
	s_delay_alu instid0(VALU_DEP_1) | instskip(NEXT) | instid1(VALU_DEP_2)
	v_add_co_ci_u32_e64 v9, s0, v9, v2, s0
	v_add_co_u32 v6, s0, v8, v6
	s_delay_alu instid0(VALU_DEP_1) | instskip(NEXT) | instid1(VALU_DEP_1)
	v_add_co_ci_u32_e64 v7, s0, v9, v7, s0
	v_lshlrev_b64 v[8:9], 2, v[6:7]
	s_delay_alu instid0(VALU_DEP_1) | instskip(NEXT) | instid1(VALU_DEP_1)
	v_add_co_u32 v8, s0, s6, v8
	v_add_co_ci_u32_e64 v9, s0, s7, v9, s0
	global_load_b32 v8, v[8:9], off
	v_add_co_u32 v9, s0, v6, 1
	s_delay_alu instid0(VALU_DEP_1) | instskip(SKIP_2) | instid1(VALU_DEP_1)
	v_add_co_ci_u32_e64 v10, s0, 0, v7, s0
	s_waitcnt vmcnt(0) lgkmcnt(0)
	v_cmp_lt_f32_e64 s0, v8, v5
	v_cndmask_b32_e64 v4, v7, v4, s0
	v_cndmask_b32_e64 v3, v6, v3, s0
	v_cndmask_b32_e64 v2, v2, v10, s0
	v_cndmask_b32_e64 v1, v1, v9, s0
	s_delay_alu instid0(VALU_DEP_1) | instskip(NEXT) | instid1(VALU_DEP_1)
	v_cmp_ge_u64_e64 s0, v[1:2], v[3:4]
	s_or_b32 s3, s0, s3
	s_delay_alu instid0(SALU_CYCLE_1)
	s_and_not1_b32 exec_lo, exec_lo, s3
	s_cbranch_execnz .LBB427_17
; %bb.18:
	s_set_inst_prefetch_distance 0x2
	s_or_b32 exec_lo, exec_lo, s3
.LBB427_19:
	s_delay_alu instid0(VALU_DEP_1) | instskip(SKIP_1) | instid1(VALU_DEP_1)
	v_cmp_ne_u64_e64 s0, s[8:9], v[1:2]
	s_mov_b32 s8, 0
	s_and_saveexec_b32 s3, s0
	s_cbranch_execz .LBB427_21
; %bb.20:
	v_lshlrev_b64 v[1:2], 2, v[1:2]
	s_delay_alu instid0(VALU_DEP_1) | instskip(NEXT) | instid1(VALU_DEP_1)
	v_add_co_u32 v1, s0, s6, v1
	v_add_co_ci_u32_e64 v2, s0, s7, v2, s0
	global_load_b32 v1, v[1:2], off
	s_waitcnt vmcnt(0) lgkmcnt(0)
	v_cmp_ngt_f32_e64 s0, v1, v5
	s_delay_alu instid0(VALU_DEP_1)
	s_and_b32 s8, s0, exec_lo
.LBB427_21:
	s_or_b32 exec_lo, exec_lo, s3
	v_cndmask_b32_e64 v1, 0, 1, s8
	s_or_b32 exec_lo, exec_lo, s1
	s_and_saveexec_b32 s0, vcc_lo
	s_cbranch_execnz .LBB427_12
	s_branch .LBB427_13
	.section	.rodata,"a",@progbits
	.p2align	6, 0x0
	.amdhsa_kernel _ZN7rocprim17ROCPRIM_400000_NS6detail17trampoline_kernelINS0_14default_configENS1_29binary_search_config_selectorIfbEEZNS1_14transform_implILb0ES3_S5_N6thrust23THRUST_200600_302600_NS6detail15normal_iteratorINS8_10device_ptrIfEEEENSA_INSB_IbEEEEZNS1_13binary_searchIS3_S5_SD_SD_SF_NS1_16binary_search_opENS9_16wrapped_functionINS0_4lessIvEEbEEEE10hipError_tPvRmT1_T2_T3_mmT4_T5_P12ihipStream_tbEUlRKfE_EESM_SQ_SR_mSS_SV_bEUlT_E_NS1_11comp_targetILNS1_3genE9ELNS1_11target_archE1100ELNS1_3gpuE3ELNS1_3repE0EEENS1_30default_config_static_selectorELNS0_4arch9wavefront6targetE0EEEvSP_
		.amdhsa_group_segment_fixed_size 0
		.amdhsa_private_segment_fixed_size 0
		.amdhsa_kernarg_size 312
		.amdhsa_user_sgpr_count 15
		.amdhsa_user_sgpr_dispatch_ptr 0
		.amdhsa_user_sgpr_queue_ptr 0
		.amdhsa_user_sgpr_kernarg_segment_ptr 1
		.amdhsa_user_sgpr_dispatch_id 0
		.amdhsa_user_sgpr_private_segment_size 0
		.amdhsa_wavefront_size32 1
		.amdhsa_uses_dynamic_stack 0
		.amdhsa_enable_private_segment 0
		.amdhsa_system_sgpr_workgroup_id_x 1
		.amdhsa_system_sgpr_workgroup_id_y 0
		.amdhsa_system_sgpr_workgroup_id_z 0
		.amdhsa_system_sgpr_workgroup_info 0
		.amdhsa_system_vgpr_workitem_id 0
		.amdhsa_next_free_vgpr 11
		.amdhsa_next_free_sgpr 20
		.amdhsa_reserve_vcc 1
		.amdhsa_float_round_mode_32 0
		.amdhsa_float_round_mode_16_64 0
		.amdhsa_float_denorm_mode_32 3
		.amdhsa_float_denorm_mode_16_64 3
		.amdhsa_dx10_clamp 1
		.amdhsa_ieee_mode 1
		.amdhsa_fp16_overflow 0
		.amdhsa_workgroup_processor_mode 1
		.amdhsa_memory_ordered 1
		.amdhsa_forward_progress 0
		.amdhsa_shared_vgpr_count 0
		.amdhsa_exception_fp_ieee_invalid_op 0
		.amdhsa_exception_fp_denorm_src 0
		.amdhsa_exception_fp_ieee_div_zero 0
		.amdhsa_exception_fp_ieee_overflow 0
		.amdhsa_exception_fp_ieee_underflow 0
		.amdhsa_exception_fp_ieee_inexact 0
		.amdhsa_exception_int_div_zero 0
	.end_amdhsa_kernel
	.section	.text._ZN7rocprim17ROCPRIM_400000_NS6detail17trampoline_kernelINS0_14default_configENS1_29binary_search_config_selectorIfbEEZNS1_14transform_implILb0ES3_S5_N6thrust23THRUST_200600_302600_NS6detail15normal_iteratorINS8_10device_ptrIfEEEENSA_INSB_IbEEEEZNS1_13binary_searchIS3_S5_SD_SD_SF_NS1_16binary_search_opENS9_16wrapped_functionINS0_4lessIvEEbEEEE10hipError_tPvRmT1_T2_T3_mmT4_T5_P12ihipStream_tbEUlRKfE_EESM_SQ_SR_mSS_SV_bEUlT_E_NS1_11comp_targetILNS1_3genE9ELNS1_11target_archE1100ELNS1_3gpuE3ELNS1_3repE0EEENS1_30default_config_static_selectorELNS0_4arch9wavefront6targetE0EEEvSP_,"axG",@progbits,_ZN7rocprim17ROCPRIM_400000_NS6detail17trampoline_kernelINS0_14default_configENS1_29binary_search_config_selectorIfbEEZNS1_14transform_implILb0ES3_S5_N6thrust23THRUST_200600_302600_NS6detail15normal_iteratorINS8_10device_ptrIfEEEENSA_INSB_IbEEEEZNS1_13binary_searchIS3_S5_SD_SD_SF_NS1_16binary_search_opENS9_16wrapped_functionINS0_4lessIvEEbEEEE10hipError_tPvRmT1_T2_T3_mmT4_T5_P12ihipStream_tbEUlRKfE_EESM_SQ_SR_mSS_SV_bEUlT_E_NS1_11comp_targetILNS1_3genE9ELNS1_11target_archE1100ELNS1_3gpuE3ELNS1_3repE0EEENS1_30default_config_static_selectorELNS0_4arch9wavefront6targetE0EEEvSP_,comdat
.Lfunc_end427:
	.size	_ZN7rocprim17ROCPRIM_400000_NS6detail17trampoline_kernelINS0_14default_configENS1_29binary_search_config_selectorIfbEEZNS1_14transform_implILb0ES3_S5_N6thrust23THRUST_200600_302600_NS6detail15normal_iteratorINS8_10device_ptrIfEEEENSA_INSB_IbEEEEZNS1_13binary_searchIS3_S5_SD_SD_SF_NS1_16binary_search_opENS9_16wrapped_functionINS0_4lessIvEEbEEEE10hipError_tPvRmT1_T2_T3_mmT4_T5_P12ihipStream_tbEUlRKfE_EESM_SQ_SR_mSS_SV_bEUlT_E_NS1_11comp_targetILNS1_3genE9ELNS1_11target_archE1100ELNS1_3gpuE3ELNS1_3repE0EEENS1_30default_config_static_selectorELNS0_4arch9wavefront6targetE0EEEvSP_, .Lfunc_end427-_ZN7rocprim17ROCPRIM_400000_NS6detail17trampoline_kernelINS0_14default_configENS1_29binary_search_config_selectorIfbEEZNS1_14transform_implILb0ES3_S5_N6thrust23THRUST_200600_302600_NS6detail15normal_iteratorINS8_10device_ptrIfEEEENSA_INSB_IbEEEEZNS1_13binary_searchIS3_S5_SD_SD_SF_NS1_16binary_search_opENS9_16wrapped_functionINS0_4lessIvEEbEEEE10hipError_tPvRmT1_T2_T3_mmT4_T5_P12ihipStream_tbEUlRKfE_EESM_SQ_SR_mSS_SV_bEUlT_E_NS1_11comp_targetILNS1_3genE9ELNS1_11target_archE1100ELNS1_3gpuE3ELNS1_3repE0EEENS1_30default_config_static_selectorELNS0_4arch9wavefront6targetE0EEEvSP_
                                        ; -- End function
	.section	.AMDGPU.csdata,"",@progbits
; Kernel info:
; codeLenInByte = 984
; NumSgprs: 22
; NumVgprs: 11
; ScratchSize: 0
; MemoryBound: 0
; FloatMode: 240
; IeeeMode: 1
; LDSByteSize: 0 bytes/workgroup (compile time only)
; SGPRBlocks: 2
; VGPRBlocks: 1
; NumSGPRsForWavesPerEU: 22
; NumVGPRsForWavesPerEU: 11
; Occupancy: 16
; WaveLimiterHint : 0
; COMPUTE_PGM_RSRC2:SCRATCH_EN: 0
; COMPUTE_PGM_RSRC2:USER_SGPR: 15
; COMPUTE_PGM_RSRC2:TRAP_HANDLER: 0
; COMPUTE_PGM_RSRC2:TGID_X_EN: 1
; COMPUTE_PGM_RSRC2:TGID_Y_EN: 0
; COMPUTE_PGM_RSRC2:TGID_Z_EN: 0
; COMPUTE_PGM_RSRC2:TIDIG_COMP_CNT: 0
	.section	.text._ZN7rocprim17ROCPRIM_400000_NS6detail17trampoline_kernelINS0_14default_configENS1_29binary_search_config_selectorIfbEEZNS1_14transform_implILb0ES3_S5_N6thrust23THRUST_200600_302600_NS6detail15normal_iteratorINS8_10device_ptrIfEEEENSA_INSB_IbEEEEZNS1_13binary_searchIS3_S5_SD_SD_SF_NS1_16binary_search_opENS9_16wrapped_functionINS0_4lessIvEEbEEEE10hipError_tPvRmT1_T2_T3_mmT4_T5_P12ihipStream_tbEUlRKfE_EESM_SQ_SR_mSS_SV_bEUlT_E_NS1_11comp_targetILNS1_3genE8ELNS1_11target_archE1030ELNS1_3gpuE2ELNS1_3repE0EEENS1_30default_config_static_selectorELNS0_4arch9wavefront6targetE0EEEvSP_,"axG",@progbits,_ZN7rocprim17ROCPRIM_400000_NS6detail17trampoline_kernelINS0_14default_configENS1_29binary_search_config_selectorIfbEEZNS1_14transform_implILb0ES3_S5_N6thrust23THRUST_200600_302600_NS6detail15normal_iteratorINS8_10device_ptrIfEEEENSA_INSB_IbEEEEZNS1_13binary_searchIS3_S5_SD_SD_SF_NS1_16binary_search_opENS9_16wrapped_functionINS0_4lessIvEEbEEEE10hipError_tPvRmT1_T2_T3_mmT4_T5_P12ihipStream_tbEUlRKfE_EESM_SQ_SR_mSS_SV_bEUlT_E_NS1_11comp_targetILNS1_3genE8ELNS1_11target_archE1030ELNS1_3gpuE2ELNS1_3repE0EEENS1_30default_config_static_selectorELNS0_4arch9wavefront6targetE0EEEvSP_,comdat
	.protected	_ZN7rocprim17ROCPRIM_400000_NS6detail17trampoline_kernelINS0_14default_configENS1_29binary_search_config_selectorIfbEEZNS1_14transform_implILb0ES3_S5_N6thrust23THRUST_200600_302600_NS6detail15normal_iteratorINS8_10device_ptrIfEEEENSA_INSB_IbEEEEZNS1_13binary_searchIS3_S5_SD_SD_SF_NS1_16binary_search_opENS9_16wrapped_functionINS0_4lessIvEEbEEEE10hipError_tPvRmT1_T2_T3_mmT4_T5_P12ihipStream_tbEUlRKfE_EESM_SQ_SR_mSS_SV_bEUlT_E_NS1_11comp_targetILNS1_3genE8ELNS1_11target_archE1030ELNS1_3gpuE2ELNS1_3repE0EEENS1_30default_config_static_selectorELNS0_4arch9wavefront6targetE0EEEvSP_ ; -- Begin function _ZN7rocprim17ROCPRIM_400000_NS6detail17trampoline_kernelINS0_14default_configENS1_29binary_search_config_selectorIfbEEZNS1_14transform_implILb0ES3_S5_N6thrust23THRUST_200600_302600_NS6detail15normal_iteratorINS8_10device_ptrIfEEEENSA_INSB_IbEEEEZNS1_13binary_searchIS3_S5_SD_SD_SF_NS1_16binary_search_opENS9_16wrapped_functionINS0_4lessIvEEbEEEE10hipError_tPvRmT1_T2_T3_mmT4_T5_P12ihipStream_tbEUlRKfE_EESM_SQ_SR_mSS_SV_bEUlT_E_NS1_11comp_targetILNS1_3genE8ELNS1_11target_archE1030ELNS1_3gpuE2ELNS1_3repE0EEENS1_30default_config_static_selectorELNS0_4arch9wavefront6targetE0EEEvSP_
	.globl	_ZN7rocprim17ROCPRIM_400000_NS6detail17trampoline_kernelINS0_14default_configENS1_29binary_search_config_selectorIfbEEZNS1_14transform_implILb0ES3_S5_N6thrust23THRUST_200600_302600_NS6detail15normal_iteratorINS8_10device_ptrIfEEEENSA_INSB_IbEEEEZNS1_13binary_searchIS3_S5_SD_SD_SF_NS1_16binary_search_opENS9_16wrapped_functionINS0_4lessIvEEbEEEE10hipError_tPvRmT1_T2_T3_mmT4_T5_P12ihipStream_tbEUlRKfE_EESM_SQ_SR_mSS_SV_bEUlT_E_NS1_11comp_targetILNS1_3genE8ELNS1_11target_archE1030ELNS1_3gpuE2ELNS1_3repE0EEENS1_30default_config_static_selectorELNS0_4arch9wavefront6targetE0EEEvSP_
	.p2align	8
	.type	_ZN7rocprim17ROCPRIM_400000_NS6detail17trampoline_kernelINS0_14default_configENS1_29binary_search_config_selectorIfbEEZNS1_14transform_implILb0ES3_S5_N6thrust23THRUST_200600_302600_NS6detail15normal_iteratorINS8_10device_ptrIfEEEENSA_INSB_IbEEEEZNS1_13binary_searchIS3_S5_SD_SD_SF_NS1_16binary_search_opENS9_16wrapped_functionINS0_4lessIvEEbEEEE10hipError_tPvRmT1_T2_T3_mmT4_T5_P12ihipStream_tbEUlRKfE_EESM_SQ_SR_mSS_SV_bEUlT_E_NS1_11comp_targetILNS1_3genE8ELNS1_11target_archE1030ELNS1_3gpuE2ELNS1_3repE0EEENS1_30default_config_static_selectorELNS0_4arch9wavefront6targetE0EEEvSP_,@function
_ZN7rocprim17ROCPRIM_400000_NS6detail17trampoline_kernelINS0_14default_configENS1_29binary_search_config_selectorIfbEEZNS1_14transform_implILb0ES3_S5_N6thrust23THRUST_200600_302600_NS6detail15normal_iteratorINS8_10device_ptrIfEEEENSA_INSB_IbEEEEZNS1_13binary_searchIS3_S5_SD_SD_SF_NS1_16binary_search_opENS9_16wrapped_functionINS0_4lessIvEEbEEEE10hipError_tPvRmT1_T2_T3_mmT4_T5_P12ihipStream_tbEUlRKfE_EESM_SQ_SR_mSS_SV_bEUlT_E_NS1_11comp_targetILNS1_3genE8ELNS1_11target_archE1030ELNS1_3gpuE2ELNS1_3repE0EEENS1_30default_config_static_selectorELNS0_4arch9wavefront6targetE0EEEvSP_: ; @_ZN7rocprim17ROCPRIM_400000_NS6detail17trampoline_kernelINS0_14default_configENS1_29binary_search_config_selectorIfbEEZNS1_14transform_implILb0ES3_S5_N6thrust23THRUST_200600_302600_NS6detail15normal_iteratorINS8_10device_ptrIfEEEENSA_INSB_IbEEEEZNS1_13binary_searchIS3_S5_SD_SD_SF_NS1_16binary_search_opENS9_16wrapped_functionINS0_4lessIvEEbEEEE10hipError_tPvRmT1_T2_T3_mmT4_T5_P12ihipStream_tbEUlRKfE_EESM_SQ_SR_mSS_SV_bEUlT_E_NS1_11comp_targetILNS1_3genE8ELNS1_11target_archE1030ELNS1_3gpuE2ELNS1_3repE0EEENS1_30default_config_static_selectorELNS0_4arch9wavefront6targetE0EEEvSP_
; %bb.0:
	.section	.rodata,"a",@progbits
	.p2align	6, 0x0
	.amdhsa_kernel _ZN7rocprim17ROCPRIM_400000_NS6detail17trampoline_kernelINS0_14default_configENS1_29binary_search_config_selectorIfbEEZNS1_14transform_implILb0ES3_S5_N6thrust23THRUST_200600_302600_NS6detail15normal_iteratorINS8_10device_ptrIfEEEENSA_INSB_IbEEEEZNS1_13binary_searchIS3_S5_SD_SD_SF_NS1_16binary_search_opENS9_16wrapped_functionINS0_4lessIvEEbEEEE10hipError_tPvRmT1_T2_T3_mmT4_T5_P12ihipStream_tbEUlRKfE_EESM_SQ_SR_mSS_SV_bEUlT_E_NS1_11comp_targetILNS1_3genE8ELNS1_11target_archE1030ELNS1_3gpuE2ELNS1_3repE0EEENS1_30default_config_static_selectorELNS0_4arch9wavefront6targetE0EEEvSP_
		.amdhsa_group_segment_fixed_size 0
		.amdhsa_private_segment_fixed_size 0
		.amdhsa_kernarg_size 56
		.amdhsa_user_sgpr_count 15
		.amdhsa_user_sgpr_dispatch_ptr 0
		.amdhsa_user_sgpr_queue_ptr 0
		.amdhsa_user_sgpr_kernarg_segment_ptr 1
		.amdhsa_user_sgpr_dispatch_id 0
		.amdhsa_user_sgpr_private_segment_size 0
		.amdhsa_wavefront_size32 1
		.amdhsa_uses_dynamic_stack 0
		.amdhsa_enable_private_segment 0
		.amdhsa_system_sgpr_workgroup_id_x 1
		.amdhsa_system_sgpr_workgroup_id_y 0
		.amdhsa_system_sgpr_workgroup_id_z 0
		.amdhsa_system_sgpr_workgroup_info 0
		.amdhsa_system_vgpr_workitem_id 0
		.amdhsa_next_free_vgpr 1
		.amdhsa_next_free_sgpr 1
		.amdhsa_reserve_vcc 0
		.amdhsa_float_round_mode_32 0
		.amdhsa_float_round_mode_16_64 0
		.amdhsa_float_denorm_mode_32 3
		.amdhsa_float_denorm_mode_16_64 3
		.amdhsa_dx10_clamp 1
		.amdhsa_ieee_mode 1
		.amdhsa_fp16_overflow 0
		.amdhsa_workgroup_processor_mode 1
		.amdhsa_memory_ordered 1
		.amdhsa_forward_progress 0
		.amdhsa_shared_vgpr_count 0
		.amdhsa_exception_fp_ieee_invalid_op 0
		.amdhsa_exception_fp_denorm_src 0
		.amdhsa_exception_fp_ieee_div_zero 0
		.amdhsa_exception_fp_ieee_overflow 0
		.amdhsa_exception_fp_ieee_underflow 0
		.amdhsa_exception_fp_ieee_inexact 0
		.amdhsa_exception_int_div_zero 0
	.end_amdhsa_kernel
	.section	.text._ZN7rocprim17ROCPRIM_400000_NS6detail17trampoline_kernelINS0_14default_configENS1_29binary_search_config_selectorIfbEEZNS1_14transform_implILb0ES3_S5_N6thrust23THRUST_200600_302600_NS6detail15normal_iteratorINS8_10device_ptrIfEEEENSA_INSB_IbEEEEZNS1_13binary_searchIS3_S5_SD_SD_SF_NS1_16binary_search_opENS9_16wrapped_functionINS0_4lessIvEEbEEEE10hipError_tPvRmT1_T2_T3_mmT4_T5_P12ihipStream_tbEUlRKfE_EESM_SQ_SR_mSS_SV_bEUlT_E_NS1_11comp_targetILNS1_3genE8ELNS1_11target_archE1030ELNS1_3gpuE2ELNS1_3repE0EEENS1_30default_config_static_selectorELNS0_4arch9wavefront6targetE0EEEvSP_,"axG",@progbits,_ZN7rocprim17ROCPRIM_400000_NS6detail17trampoline_kernelINS0_14default_configENS1_29binary_search_config_selectorIfbEEZNS1_14transform_implILb0ES3_S5_N6thrust23THRUST_200600_302600_NS6detail15normal_iteratorINS8_10device_ptrIfEEEENSA_INSB_IbEEEEZNS1_13binary_searchIS3_S5_SD_SD_SF_NS1_16binary_search_opENS9_16wrapped_functionINS0_4lessIvEEbEEEE10hipError_tPvRmT1_T2_T3_mmT4_T5_P12ihipStream_tbEUlRKfE_EESM_SQ_SR_mSS_SV_bEUlT_E_NS1_11comp_targetILNS1_3genE8ELNS1_11target_archE1030ELNS1_3gpuE2ELNS1_3repE0EEENS1_30default_config_static_selectorELNS0_4arch9wavefront6targetE0EEEvSP_,comdat
.Lfunc_end428:
	.size	_ZN7rocprim17ROCPRIM_400000_NS6detail17trampoline_kernelINS0_14default_configENS1_29binary_search_config_selectorIfbEEZNS1_14transform_implILb0ES3_S5_N6thrust23THRUST_200600_302600_NS6detail15normal_iteratorINS8_10device_ptrIfEEEENSA_INSB_IbEEEEZNS1_13binary_searchIS3_S5_SD_SD_SF_NS1_16binary_search_opENS9_16wrapped_functionINS0_4lessIvEEbEEEE10hipError_tPvRmT1_T2_T3_mmT4_T5_P12ihipStream_tbEUlRKfE_EESM_SQ_SR_mSS_SV_bEUlT_E_NS1_11comp_targetILNS1_3genE8ELNS1_11target_archE1030ELNS1_3gpuE2ELNS1_3repE0EEENS1_30default_config_static_selectorELNS0_4arch9wavefront6targetE0EEEvSP_, .Lfunc_end428-_ZN7rocprim17ROCPRIM_400000_NS6detail17trampoline_kernelINS0_14default_configENS1_29binary_search_config_selectorIfbEEZNS1_14transform_implILb0ES3_S5_N6thrust23THRUST_200600_302600_NS6detail15normal_iteratorINS8_10device_ptrIfEEEENSA_INSB_IbEEEEZNS1_13binary_searchIS3_S5_SD_SD_SF_NS1_16binary_search_opENS9_16wrapped_functionINS0_4lessIvEEbEEEE10hipError_tPvRmT1_T2_T3_mmT4_T5_P12ihipStream_tbEUlRKfE_EESM_SQ_SR_mSS_SV_bEUlT_E_NS1_11comp_targetILNS1_3genE8ELNS1_11target_archE1030ELNS1_3gpuE2ELNS1_3repE0EEENS1_30default_config_static_selectorELNS0_4arch9wavefront6targetE0EEEvSP_
                                        ; -- End function
	.section	.AMDGPU.csdata,"",@progbits
; Kernel info:
; codeLenInByte = 0
; NumSgprs: 0
; NumVgprs: 0
; ScratchSize: 0
; MemoryBound: 0
; FloatMode: 240
; IeeeMode: 1
; LDSByteSize: 0 bytes/workgroup (compile time only)
; SGPRBlocks: 0
; VGPRBlocks: 0
; NumSGPRsForWavesPerEU: 1
; NumVGPRsForWavesPerEU: 1
; Occupancy: 16
; WaveLimiterHint : 0
; COMPUTE_PGM_RSRC2:SCRATCH_EN: 0
; COMPUTE_PGM_RSRC2:USER_SGPR: 15
; COMPUTE_PGM_RSRC2:TRAP_HANDLER: 0
; COMPUTE_PGM_RSRC2:TGID_X_EN: 1
; COMPUTE_PGM_RSRC2:TGID_Y_EN: 0
; COMPUTE_PGM_RSRC2:TGID_Z_EN: 0
; COMPUTE_PGM_RSRC2:TIDIG_COMP_CNT: 0
	.section	.text._ZN7rocprim17ROCPRIM_400000_NS6detail17trampoline_kernelINS0_14default_configENS1_29binary_search_config_selectorIfiEEZNS1_14transform_implILb0ES3_S5_N6thrust23THRUST_200600_302600_NS6detail15normal_iteratorINS8_10device_ptrIfEEEENSA_INSB_IiEEEEZNS1_13binary_searchIS3_S5_SD_SD_SF_NS1_16binary_search_opENS9_16wrapped_functionINS0_4lessIvEEbEEEE10hipError_tPvRmT1_T2_T3_mmT4_T5_P12ihipStream_tbEUlRKfE_EESM_SQ_SR_mSS_SV_bEUlT_E_NS1_11comp_targetILNS1_3genE0ELNS1_11target_archE4294967295ELNS1_3gpuE0ELNS1_3repE0EEENS1_30default_config_static_selectorELNS0_4arch9wavefront6targetE0EEEvSP_,"axG",@progbits,_ZN7rocprim17ROCPRIM_400000_NS6detail17trampoline_kernelINS0_14default_configENS1_29binary_search_config_selectorIfiEEZNS1_14transform_implILb0ES3_S5_N6thrust23THRUST_200600_302600_NS6detail15normal_iteratorINS8_10device_ptrIfEEEENSA_INSB_IiEEEEZNS1_13binary_searchIS3_S5_SD_SD_SF_NS1_16binary_search_opENS9_16wrapped_functionINS0_4lessIvEEbEEEE10hipError_tPvRmT1_T2_T3_mmT4_T5_P12ihipStream_tbEUlRKfE_EESM_SQ_SR_mSS_SV_bEUlT_E_NS1_11comp_targetILNS1_3genE0ELNS1_11target_archE4294967295ELNS1_3gpuE0ELNS1_3repE0EEENS1_30default_config_static_selectorELNS0_4arch9wavefront6targetE0EEEvSP_,comdat
	.protected	_ZN7rocprim17ROCPRIM_400000_NS6detail17trampoline_kernelINS0_14default_configENS1_29binary_search_config_selectorIfiEEZNS1_14transform_implILb0ES3_S5_N6thrust23THRUST_200600_302600_NS6detail15normal_iteratorINS8_10device_ptrIfEEEENSA_INSB_IiEEEEZNS1_13binary_searchIS3_S5_SD_SD_SF_NS1_16binary_search_opENS9_16wrapped_functionINS0_4lessIvEEbEEEE10hipError_tPvRmT1_T2_T3_mmT4_T5_P12ihipStream_tbEUlRKfE_EESM_SQ_SR_mSS_SV_bEUlT_E_NS1_11comp_targetILNS1_3genE0ELNS1_11target_archE4294967295ELNS1_3gpuE0ELNS1_3repE0EEENS1_30default_config_static_selectorELNS0_4arch9wavefront6targetE0EEEvSP_ ; -- Begin function _ZN7rocprim17ROCPRIM_400000_NS6detail17trampoline_kernelINS0_14default_configENS1_29binary_search_config_selectorIfiEEZNS1_14transform_implILb0ES3_S5_N6thrust23THRUST_200600_302600_NS6detail15normal_iteratorINS8_10device_ptrIfEEEENSA_INSB_IiEEEEZNS1_13binary_searchIS3_S5_SD_SD_SF_NS1_16binary_search_opENS9_16wrapped_functionINS0_4lessIvEEbEEEE10hipError_tPvRmT1_T2_T3_mmT4_T5_P12ihipStream_tbEUlRKfE_EESM_SQ_SR_mSS_SV_bEUlT_E_NS1_11comp_targetILNS1_3genE0ELNS1_11target_archE4294967295ELNS1_3gpuE0ELNS1_3repE0EEENS1_30default_config_static_selectorELNS0_4arch9wavefront6targetE0EEEvSP_
	.globl	_ZN7rocprim17ROCPRIM_400000_NS6detail17trampoline_kernelINS0_14default_configENS1_29binary_search_config_selectorIfiEEZNS1_14transform_implILb0ES3_S5_N6thrust23THRUST_200600_302600_NS6detail15normal_iteratorINS8_10device_ptrIfEEEENSA_INSB_IiEEEEZNS1_13binary_searchIS3_S5_SD_SD_SF_NS1_16binary_search_opENS9_16wrapped_functionINS0_4lessIvEEbEEEE10hipError_tPvRmT1_T2_T3_mmT4_T5_P12ihipStream_tbEUlRKfE_EESM_SQ_SR_mSS_SV_bEUlT_E_NS1_11comp_targetILNS1_3genE0ELNS1_11target_archE4294967295ELNS1_3gpuE0ELNS1_3repE0EEENS1_30default_config_static_selectorELNS0_4arch9wavefront6targetE0EEEvSP_
	.p2align	8
	.type	_ZN7rocprim17ROCPRIM_400000_NS6detail17trampoline_kernelINS0_14default_configENS1_29binary_search_config_selectorIfiEEZNS1_14transform_implILb0ES3_S5_N6thrust23THRUST_200600_302600_NS6detail15normal_iteratorINS8_10device_ptrIfEEEENSA_INSB_IiEEEEZNS1_13binary_searchIS3_S5_SD_SD_SF_NS1_16binary_search_opENS9_16wrapped_functionINS0_4lessIvEEbEEEE10hipError_tPvRmT1_T2_T3_mmT4_T5_P12ihipStream_tbEUlRKfE_EESM_SQ_SR_mSS_SV_bEUlT_E_NS1_11comp_targetILNS1_3genE0ELNS1_11target_archE4294967295ELNS1_3gpuE0ELNS1_3repE0EEENS1_30default_config_static_selectorELNS0_4arch9wavefront6targetE0EEEvSP_,@function
_ZN7rocprim17ROCPRIM_400000_NS6detail17trampoline_kernelINS0_14default_configENS1_29binary_search_config_selectorIfiEEZNS1_14transform_implILb0ES3_S5_N6thrust23THRUST_200600_302600_NS6detail15normal_iteratorINS8_10device_ptrIfEEEENSA_INSB_IiEEEEZNS1_13binary_searchIS3_S5_SD_SD_SF_NS1_16binary_search_opENS9_16wrapped_functionINS0_4lessIvEEbEEEE10hipError_tPvRmT1_T2_T3_mmT4_T5_P12ihipStream_tbEUlRKfE_EESM_SQ_SR_mSS_SV_bEUlT_E_NS1_11comp_targetILNS1_3genE0ELNS1_11target_archE4294967295ELNS1_3gpuE0ELNS1_3repE0EEENS1_30default_config_static_selectorELNS0_4arch9wavefront6targetE0EEEvSP_: ; @_ZN7rocprim17ROCPRIM_400000_NS6detail17trampoline_kernelINS0_14default_configENS1_29binary_search_config_selectorIfiEEZNS1_14transform_implILb0ES3_S5_N6thrust23THRUST_200600_302600_NS6detail15normal_iteratorINS8_10device_ptrIfEEEENSA_INSB_IiEEEEZNS1_13binary_searchIS3_S5_SD_SD_SF_NS1_16binary_search_opENS9_16wrapped_functionINS0_4lessIvEEbEEEE10hipError_tPvRmT1_T2_T3_mmT4_T5_P12ihipStream_tbEUlRKfE_EESM_SQ_SR_mSS_SV_bEUlT_E_NS1_11comp_targetILNS1_3genE0ELNS1_11target_archE4294967295ELNS1_3gpuE0ELNS1_3repE0EEENS1_30default_config_static_selectorELNS0_4arch9wavefront6targetE0EEEvSP_
; %bb.0:
	.section	.rodata,"a",@progbits
	.p2align	6, 0x0
	.amdhsa_kernel _ZN7rocprim17ROCPRIM_400000_NS6detail17trampoline_kernelINS0_14default_configENS1_29binary_search_config_selectorIfiEEZNS1_14transform_implILb0ES3_S5_N6thrust23THRUST_200600_302600_NS6detail15normal_iteratorINS8_10device_ptrIfEEEENSA_INSB_IiEEEEZNS1_13binary_searchIS3_S5_SD_SD_SF_NS1_16binary_search_opENS9_16wrapped_functionINS0_4lessIvEEbEEEE10hipError_tPvRmT1_T2_T3_mmT4_T5_P12ihipStream_tbEUlRKfE_EESM_SQ_SR_mSS_SV_bEUlT_E_NS1_11comp_targetILNS1_3genE0ELNS1_11target_archE4294967295ELNS1_3gpuE0ELNS1_3repE0EEENS1_30default_config_static_selectorELNS0_4arch9wavefront6targetE0EEEvSP_
		.amdhsa_group_segment_fixed_size 0
		.amdhsa_private_segment_fixed_size 0
		.amdhsa_kernarg_size 56
		.amdhsa_user_sgpr_count 15
		.amdhsa_user_sgpr_dispatch_ptr 0
		.amdhsa_user_sgpr_queue_ptr 0
		.amdhsa_user_sgpr_kernarg_segment_ptr 1
		.amdhsa_user_sgpr_dispatch_id 0
		.amdhsa_user_sgpr_private_segment_size 0
		.amdhsa_wavefront_size32 1
		.amdhsa_uses_dynamic_stack 0
		.amdhsa_enable_private_segment 0
		.amdhsa_system_sgpr_workgroup_id_x 1
		.amdhsa_system_sgpr_workgroup_id_y 0
		.amdhsa_system_sgpr_workgroup_id_z 0
		.amdhsa_system_sgpr_workgroup_info 0
		.amdhsa_system_vgpr_workitem_id 0
		.amdhsa_next_free_vgpr 1
		.amdhsa_next_free_sgpr 1
		.amdhsa_reserve_vcc 0
		.amdhsa_float_round_mode_32 0
		.amdhsa_float_round_mode_16_64 0
		.amdhsa_float_denorm_mode_32 3
		.amdhsa_float_denorm_mode_16_64 3
		.amdhsa_dx10_clamp 1
		.amdhsa_ieee_mode 1
		.amdhsa_fp16_overflow 0
		.amdhsa_workgroup_processor_mode 1
		.amdhsa_memory_ordered 1
		.amdhsa_forward_progress 0
		.amdhsa_shared_vgpr_count 0
		.amdhsa_exception_fp_ieee_invalid_op 0
		.amdhsa_exception_fp_denorm_src 0
		.amdhsa_exception_fp_ieee_div_zero 0
		.amdhsa_exception_fp_ieee_overflow 0
		.amdhsa_exception_fp_ieee_underflow 0
		.amdhsa_exception_fp_ieee_inexact 0
		.amdhsa_exception_int_div_zero 0
	.end_amdhsa_kernel
	.section	.text._ZN7rocprim17ROCPRIM_400000_NS6detail17trampoline_kernelINS0_14default_configENS1_29binary_search_config_selectorIfiEEZNS1_14transform_implILb0ES3_S5_N6thrust23THRUST_200600_302600_NS6detail15normal_iteratorINS8_10device_ptrIfEEEENSA_INSB_IiEEEEZNS1_13binary_searchIS3_S5_SD_SD_SF_NS1_16binary_search_opENS9_16wrapped_functionINS0_4lessIvEEbEEEE10hipError_tPvRmT1_T2_T3_mmT4_T5_P12ihipStream_tbEUlRKfE_EESM_SQ_SR_mSS_SV_bEUlT_E_NS1_11comp_targetILNS1_3genE0ELNS1_11target_archE4294967295ELNS1_3gpuE0ELNS1_3repE0EEENS1_30default_config_static_selectorELNS0_4arch9wavefront6targetE0EEEvSP_,"axG",@progbits,_ZN7rocprim17ROCPRIM_400000_NS6detail17trampoline_kernelINS0_14default_configENS1_29binary_search_config_selectorIfiEEZNS1_14transform_implILb0ES3_S5_N6thrust23THRUST_200600_302600_NS6detail15normal_iteratorINS8_10device_ptrIfEEEENSA_INSB_IiEEEEZNS1_13binary_searchIS3_S5_SD_SD_SF_NS1_16binary_search_opENS9_16wrapped_functionINS0_4lessIvEEbEEEE10hipError_tPvRmT1_T2_T3_mmT4_T5_P12ihipStream_tbEUlRKfE_EESM_SQ_SR_mSS_SV_bEUlT_E_NS1_11comp_targetILNS1_3genE0ELNS1_11target_archE4294967295ELNS1_3gpuE0ELNS1_3repE0EEENS1_30default_config_static_selectorELNS0_4arch9wavefront6targetE0EEEvSP_,comdat
.Lfunc_end429:
	.size	_ZN7rocprim17ROCPRIM_400000_NS6detail17trampoline_kernelINS0_14default_configENS1_29binary_search_config_selectorIfiEEZNS1_14transform_implILb0ES3_S5_N6thrust23THRUST_200600_302600_NS6detail15normal_iteratorINS8_10device_ptrIfEEEENSA_INSB_IiEEEEZNS1_13binary_searchIS3_S5_SD_SD_SF_NS1_16binary_search_opENS9_16wrapped_functionINS0_4lessIvEEbEEEE10hipError_tPvRmT1_T2_T3_mmT4_T5_P12ihipStream_tbEUlRKfE_EESM_SQ_SR_mSS_SV_bEUlT_E_NS1_11comp_targetILNS1_3genE0ELNS1_11target_archE4294967295ELNS1_3gpuE0ELNS1_3repE0EEENS1_30default_config_static_selectorELNS0_4arch9wavefront6targetE0EEEvSP_, .Lfunc_end429-_ZN7rocprim17ROCPRIM_400000_NS6detail17trampoline_kernelINS0_14default_configENS1_29binary_search_config_selectorIfiEEZNS1_14transform_implILb0ES3_S5_N6thrust23THRUST_200600_302600_NS6detail15normal_iteratorINS8_10device_ptrIfEEEENSA_INSB_IiEEEEZNS1_13binary_searchIS3_S5_SD_SD_SF_NS1_16binary_search_opENS9_16wrapped_functionINS0_4lessIvEEbEEEE10hipError_tPvRmT1_T2_T3_mmT4_T5_P12ihipStream_tbEUlRKfE_EESM_SQ_SR_mSS_SV_bEUlT_E_NS1_11comp_targetILNS1_3genE0ELNS1_11target_archE4294967295ELNS1_3gpuE0ELNS1_3repE0EEENS1_30default_config_static_selectorELNS0_4arch9wavefront6targetE0EEEvSP_
                                        ; -- End function
	.section	.AMDGPU.csdata,"",@progbits
; Kernel info:
; codeLenInByte = 0
; NumSgprs: 0
; NumVgprs: 0
; ScratchSize: 0
; MemoryBound: 0
; FloatMode: 240
; IeeeMode: 1
; LDSByteSize: 0 bytes/workgroup (compile time only)
; SGPRBlocks: 0
; VGPRBlocks: 0
; NumSGPRsForWavesPerEU: 1
; NumVGPRsForWavesPerEU: 1
; Occupancy: 16
; WaveLimiterHint : 0
; COMPUTE_PGM_RSRC2:SCRATCH_EN: 0
; COMPUTE_PGM_RSRC2:USER_SGPR: 15
; COMPUTE_PGM_RSRC2:TRAP_HANDLER: 0
; COMPUTE_PGM_RSRC2:TGID_X_EN: 1
; COMPUTE_PGM_RSRC2:TGID_Y_EN: 0
; COMPUTE_PGM_RSRC2:TGID_Z_EN: 0
; COMPUTE_PGM_RSRC2:TIDIG_COMP_CNT: 0
	.section	.text._ZN7rocprim17ROCPRIM_400000_NS6detail17trampoline_kernelINS0_14default_configENS1_29binary_search_config_selectorIfiEEZNS1_14transform_implILb0ES3_S5_N6thrust23THRUST_200600_302600_NS6detail15normal_iteratorINS8_10device_ptrIfEEEENSA_INSB_IiEEEEZNS1_13binary_searchIS3_S5_SD_SD_SF_NS1_16binary_search_opENS9_16wrapped_functionINS0_4lessIvEEbEEEE10hipError_tPvRmT1_T2_T3_mmT4_T5_P12ihipStream_tbEUlRKfE_EESM_SQ_SR_mSS_SV_bEUlT_E_NS1_11comp_targetILNS1_3genE5ELNS1_11target_archE942ELNS1_3gpuE9ELNS1_3repE0EEENS1_30default_config_static_selectorELNS0_4arch9wavefront6targetE0EEEvSP_,"axG",@progbits,_ZN7rocprim17ROCPRIM_400000_NS6detail17trampoline_kernelINS0_14default_configENS1_29binary_search_config_selectorIfiEEZNS1_14transform_implILb0ES3_S5_N6thrust23THRUST_200600_302600_NS6detail15normal_iteratorINS8_10device_ptrIfEEEENSA_INSB_IiEEEEZNS1_13binary_searchIS3_S5_SD_SD_SF_NS1_16binary_search_opENS9_16wrapped_functionINS0_4lessIvEEbEEEE10hipError_tPvRmT1_T2_T3_mmT4_T5_P12ihipStream_tbEUlRKfE_EESM_SQ_SR_mSS_SV_bEUlT_E_NS1_11comp_targetILNS1_3genE5ELNS1_11target_archE942ELNS1_3gpuE9ELNS1_3repE0EEENS1_30default_config_static_selectorELNS0_4arch9wavefront6targetE0EEEvSP_,comdat
	.protected	_ZN7rocprim17ROCPRIM_400000_NS6detail17trampoline_kernelINS0_14default_configENS1_29binary_search_config_selectorIfiEEZNS1_14transform_implILb0ES3_S5_N6thrust23THRUST_200600_302600_NS6detail15normal_iteratorINS8_10device_ptrIfEEEENSA_INSB_IiEEEEZNS1_13binary_searchIS3_S5_SD_SD_SF_NS1_16binary_search_opENS9_16wrapped_functionINS0_4lessIvEEbEEEE10hipError_tPvRmT1_T2_T3_mmT4_T5_P12ihipStream_tbEUlRKfE_EESM_SQ_SR_mSS_SV_bEUlT_E_NS1_11comp_targetILNS1_3genE5ELNS1_11target_archE942ELNS1_3gpuE9ELNS1_3repE0EEENS1_30default_config_static_selectorELNS0_4arch9wavefront6targetE0EEEvSP_ ; -- Begin function _ZN7rocprim17ROCPRIM_400000_NS6detail17trampoline_kernelINS0_14default_configENS1_29binary_search_config_selectorIfiEEZNS1_14transform_implILb0ES3_S5_N6thrust23THRUST_200600_302600_NS6detail15normal_iteratorINS8_10device_ptrIfEEEENSA_INSB_IiEEEEZNS1_13binary_searchIS3_S5_SD_SD_SF_NS1_16binary_search_opENS9_16wrapped_functionINS0_4lessIvEEbEEEE10hipError_tPvRmT1_T2_T3_mmT4_T5_P12ihipStream_tbEUlRKfE_EESM_SQ_SR_mSS_SV_bEUlT_E_NS1_11comp_targetILNS1_3genE5ELNS1_11target_archE942ELNS1_3gpuE9ELNS1_3repE0EEENS1_30default_config_static_selectorELNS0_4arch9wavefront6targetE0EEEvSP_
	.globl	_ZN7rocprim17ROCPRIM_400000_NS6detail17trampoline_kernelINS0_14default_configENS1_29binary_search_config_selectorIfiEEZNS1_14transform_implILb0ES3_S5_N6thrust23THRUST_200600_302600_NS6detail15normal_iteratorINS8_10device_ptrIfEEEENSA_INSB_IiEEEEZNS1_13binary_searchIS3_S5_SD_SD_SF_NS1_16binary_search_opENS9_16wrapped_functionINS0_4lessIvEEbEEEE10hipError_tPvRmT1_T2_T3_mmT4_T5_P12ihipStream_tbEUlRKfE_EESM_SQ_SR_mSS_SV_bEUlT_E_NS1_11comp_targetILNS1_3genE5ELNS1_11target_archE942ELNS1_3gpuE9ELNS1_3repE0EEENS1_30default_config_static_selectorELNS0_4arch9wavefront6targetE0EEEvSP_
	.p2align	8
	.type	_ZN7rocprim17ROCPRIM_400000_NS6detail17trampoline_kernelINS0_14default_configENS1_29binary_search_config_selectorIfiEEZNS1_14transform_implILb0ES3_S5_N6thrust23THRUST_200600_302600_NS6detail15normal_iteratorINS8_10device_ptrIfEEEENSA_INSB_IiEEEEZNS1_13binary_searchIS3_S5_SD_SD_SF_NS1_16binary_search_opENS9_16wrapped_functionINS0_4lessIvEEbEEEE10hipError_tPvRmT1_T2_T3_mmT4_T5_P12ihipStream_tbEUlRKfE_EESM_SQ_SR_mSS_SV_bEUlT_E_NS1_11comp_targetILNS1_3genE5ELNS1_11target_archE942ELNS1_3gpuE9ELNS1_3repE0EEENS1_30default_config_static_selectorELNS0_4arch9wavefront6targetE0EEEvSP_,@function
_ZN7rocprim17ROCPRIM_400000_NS6detail17trampoline_kernelINS0_14default_configENS1_29binary_search_config_selectorIfiEEZNS1_14transform_implILb0ES3_S5_N6thrust23THRUST_200600_302600_NS6detail15normal_iteratorINS8_10device_ptrIfEEEENSA_INSB_IiEEEEZNS1_13binary_searchIS3_S5_SD_SD_SF_NS1_16binary_search_opENS9_16wrapped_functionINS0_4lessIvEEbEEEE10hipError_tPvRmT1_T2_T3_mmT4_T5_P12ihipStream_tbEUlRKfE_EESM_SQ_SR_mSS_SV_bEUlT_E_NS1_11comp_targetILNS1_3genE5ELNS1_11target_archE942ELNS1_3gpuE9ELNS1_3repE0EEENS1_30default_config_static_selectorELNS0_4arch9wavefront6targetE0EEEvSP_: ; @_ZN7rocprim17ROCPRIM_400000_NS6detail17trampoline_kernelINS0_14default_configENS1_29binary_search_config_selectorIfiEEZNS1_14transform_implILb0ES3_S5_N6thrust23THRUST_200600_302600_NS6detail15normal_iteratorINS8_10device_ptrIfEEEENSA_INSB_IiEEEEZNS1_13binary_searchIS3_S5_SD_SD_SF_NS1_16binary_search_opENS9_16wrapped_functionINS0_4lessIvEEbEEEE10hipError_tPvRmT1_T2_T3_mmT4_T5_P12ihipStream_tbEUlRKfE_EESM_SQ_SR_mSS_SV_bEUlT_E_NS1_11comp_targetILNS1_3genE5ELNS1_11target_archE942ELNS1_3gpuE9ELNS1_3repE0EEENS1_30default_config_static_selectorELNS0_4arch9wavefront6targetE0EEEvSP_
; %bb.0:
	.section	.rodata,"a",@progbits
	.p2align	6, 0x0
	.amdhsa_kernel _ZN7rocprim17ROCPRIM_400000_NS6detail17trampoline_kernelINS0_14default_configENS1_29binary_search_config_selectorIfiEEZNS1_14transform_implILb0ES3_S5_N6thrust23THRUST_200600_302600_NS6detail15normal_iteratorINS8_10device_ptrIfEEEENSA_INSB_IiEEEEZNS1_13binary_searchIS3_S5_SD_SD_SF_NS1_16binary_search_opENS9_16wrapped_functionINS0_4lessIvEEbEEEE10hipError_tPvRmT1_T2_T3_mmT4_T5_P12ihipStream_tbEUlRKfE_EESM_SQ_SR_mSS_SV_bEUlT_E_NS1_11comp_targetILNS1_3genE5ELNS1_11target_archE942ELNS1_3gpuE9ELNS1_3repE0EEENS1_30default_config_static_selectorELNS0_4arch9wavefront6targetE0EEEvSP_
		.amdhsa_group_segment_fixed_size 0
		.amdhsa_private_segment_fixed_size 0
		.amdhsa_kernarg_size 56
		.amdhsa_user_sgpr_count 15
		.amdhsa_user_sgpr_dispatch_ptr 0
		.amdhsa_user_sgpr_queue_ptr 0
		.amdhsa_user_sgpr_kernarg_segment_ptr 1
		.amdhsa_user_sgpr_dispatch_id 0
		.amdhsa_user_sgpr_private_segment_size 0
		.amdhsa_wavefront_size32 1
		.amdhsa_uses_dynamic_stack 0
		.amdhsa_enable_private_segment 0
		.amdhsa_system_sgpr_workgroup_id_x 1
		.amdhsa_system_sgpr_workgroup_id_y 0
		.amdhsa_system_sgpr_workgroup_id_z 0
		.amdhsa_system_sgpr_workgroup_info 0
		.amdhsa_system_vgpr_workitem_id 0
		.amdhsa_next_free_vgpr 1
		.amdhsa_next_free_sgpr 1
		.amdhsa_reserve_vcc 0
		.amdhsa_float_round_mode_32 0
		.amdhsa_float_round_mode_16_64 0
		.amdhsa_float_denorm_mode_32 3
		.amdhsa_float_denorm_mode_16_64 3
		.amdhsa_dx10_clamp 1
		.amdhsa_ieee_mode 1
		.amdhsa_fp16_overflow 0
		.amdhsa_workgroup_processor_mode 1
		.amdhsa_memory_ordered 1
		.amdhsa_forward_progress 0
		.amdhsa_shared_vgpr_count 0
		.amdhsa_exception_fp_ieee_invalid_op 0
		.amdhsa_exception_fp_denorm_src 0
		.amdhsa_exception_fp_ieee_div_zero 0
		.amdhsa_exception_fp_ieee_overflow 0
		.amdhsa_exception_fp_ieee_underflow 0
		.amdhsa_exception_fp_ieee_inexact 0
		.amdhsa_exception_int_div_zero 0
	.end_amdhsa_kernel
	.section	.text._ZN7rocprim17ROCPRIM_400000_NS6detail17trampoline_kernelINS0_14default_configENS1_29binary_search_config_selectorIfiEEZNS1_14transform_implILb0ES3_S5_N6thrust23THRUST_200600_302600_NS6detail15normal_iteratorINS8_10device_ptrIfEEEENSA_INSB_IiEEEEZNS1_13binary_searchIS3_S5_SD_SD_SF_NS1_16binary_search_opENS9_16wrapped_functionINS0_4lessIvEEbEEEE10hipError_tPvRmT1_T2_T3_mmT4_T5_P12ihipStream_tbEUlRKfE_EESM_SQ_SR_mSS_SV_bEUlT_E_NS1_11comp_targetILNS1_3genE5ELNS1_11target_archE942ELNS1_3gpuE9ELNS1_3repE0EEENS1_30default_config_static_selectorELNS0_4arch9wavefront6targetE0EEEvSP_,"axG",@progbits,_ZN7rocprim17ROCPRIM_400000_NS6detail17trampoline_kernelINS0_14default_configENS1_29binary_search_config_selectorIfiEEZNS1_14transform_implILb0ES3_S5_N6thrust23THRUST_200600_302600_NS6detail15normal_iteratorINS8_10device_ptrIfEEEENSA_INSB_IiEEEEZNS1_13binary_searchIS3_S5_SD_SD_SF_NS1_16binary_search_opENS9_16wrapped_functionINS0_4lessIvEEbEEEE10hipError_tPvRmT1_T2_T3_mmT4_T5_P12ihipStream_tbEUlRKfE_EESM_SQ_SR_mSS_SV_bEUlT_E_NS1_11comp_targetILNS1_3genE5ELNS1_11target_archE942ELNS1_3gpuE9ELNS1_3repE0EEENS1_30default_config_static_selectorELNS0_4arch9wavefront6targetE0EEEvSP_,comdat
.Lfunc_end430:
	.size	_ZN7rocprim17ROCPRIM_400000_NS6detail17trampoline_kernelINS0_14default_configENS1_29binary_search_config_selectorIfiEEZNS1_14transform_implILb0ES3_S5_N6thrust23THRUST_200600_302600_NS6detail15normal_iteratorINS8_10device_ptrIfEEEENSA_INSB_IiEEEEZNS1_13binary_searchIS3_S5_SD_SD_SF_NS1_16binary_search_opENS9_16wrapped_functionINS0_4lessIvEEbEEEE10hipError_tPvRmT1_T2_T3_mmT4_T5_P12ihipStream_tbEUlRKfE_EESM_SQ_SR_mSS_SV_bEUlT_E_NS1_11comp_targetILNS1_3genE5ELNS1_11target_archE942ELNS1_3gpuE9ELNS1_3repE0EEENS1_30default_config_static_selectorELNS0_4arch9wavefront6targetE0EEEvSP_, .Lfunc_end430-_ZN7rocprim17ROCPRIM_400000_NS6detail17trampoline_kernelINS0_14default_configENS1_29binary_search_config_selectorIfiEEZNS1_14transform_implILb0ES3_S5_N6thrust23THRUST_200600_302600_NS6detail15normal_iteratorINS8_10device_ptrIfEEEENSA_INSB_IiEEEEZNS1_13binary_searchIS3_S5_SD_SD_SF_NS1_16binary_search_opENS9_16wrapped_functionINS0_4lessIvEEbEEEE10hipError_tPvRmT1_T2_T3_mmT4_T5_P12ihipStream_tbEUlRKfE_EESM_SQ_SR_mSS_SV_bEUlT_E_NS1_11comp_targetILNS1_3genE5ELNS1_11target_archE942ELNS1_3gpuE9ELNS1_3repE0EEENS1_30default_config_static_selectorELNS0_4arch9wavefront6targetE0EEEvSP_
                                        ; -- End function
	.section	.AMDGPU.csdata,"",@progbits
; Kernel info:
; codeLenInByte = 0
; NumSgprs: 0
; NumVgprs: 0
; ScratchSize: 0
; MemoryBound: 0
; FloatMode: 240
; IeeeMode: 1
; LDSByteSize: 0 bytes/workgroup (compile time only)
; SGPRBlocks: 0
; VGPRBlocks: 0
; NumSGPRsForWavesPerEU: 1
; NumVGPRsForWavesPerEU: 1
; Occupancy: 16
; WaveLimiterHint : 0
; COMPUTE_PGM_RSRC2:SCRATCH_EN: 0
; COMPUTE_PGM_RSRC2:USER_SGPR: 15
; COMPUTE_PGM_RSRC2:TRAP_HANDLER: 0
; COMPUTE_PGM_RSRC2:TGID_X_EN: 1
; COMPUTE_PGM_RSRC2:TGID_Y_EN: 0
; COMPUTE_PGM_RSRC2:TGID_Z_EN: 0
; COMPUTE_PGM_RSRC2:TIDIG_COMP_CNT: 0
	.section	.text._ZN7rocprim17ROCPRIM_400000_NS6detail17trampoline_kernelINS0_14default_configENS1_29binary_search_config_selectorIfiEEZNS1_14transform_implILb0ES3_S5_N6thrust23THRUST_200600_302600_NS6detail15normal_iteratorINS8_10device_ptrIfEEEENSA_INSB_IiEEEEZNS1_13binary_searchIS3_S5_SD_SD_SF_NS1_16binary_search_opENS9_16wrapped_functionINS0_4lessIvEEbEEEE10hipError_tPvRmT1_T2_T3_mmT4_T5_P12ihipStream_tbEUlRKfE_EESM_SQ_SR_mSS_SV_bEUlT_E_NS1_11comp_targetILNS1_3genE4ELNS1_11target_archE910ELNS1_3gpuE8ELNS1_3repE0EEENS1_30default_config_static_selectorELNS0_4arch9wavefront6targetE0EEEvSP_,"axG",@progbits,_ZN7rocprim17ROCPRIM_400000_NS6detail17trampoline_kernelINS0_14default_configENS1_29binary_search_config_selectorIfiEEZNS1_14transform_implILb0ES3_S5_N6thrust23THRUST_200600_302600_NS6detail15normal_iteratorINS8_10device_ptrIfEEEENSA_INSB_IiEEEEZNS1_13binary_searchIS3_S5_SD_SD_SF_NS1_16binary_search_opENS9_16wrapped_functionINS0_4lessIvEEbEEEE10hipError_tPvRmT1_T2_T3_mmT4_T5_P12ihipStream_tbEUlRKfE_EESM_SQ_SR_mSS_SV_bEUlT_E_NS1_11comp_targetILNS1_3genE4ELNS1_11target_archE910ELNS1_3gpuE8ELNS1_3repE0EEENS1_30default_config_static_selectorELNS0_4arch9wavefront6targetE0EEEvSP_,comdat
	.protected	_ZN7rocprim17ROCPRIM_400000_NS6detail17trampoline_kernelINS0_14default_configENS1_29binary_search_config_selectorIfiEEZNS1_14transform_implILb0ES3_S5_N6thrust23THRUST_200600_302600_NS6detail15normal_iteratorINS8_10device_ptrIfEEEENSA_INSB_IiEEEEZNS1_13binary_searchIS3_S5_SD_SD_SF_NS1_16binary_search_opENS9_16wrapped_functionINS0_4lessIvEEbEEEE10hipError_tPvRmT1_T2_T3_mmT4_T5_P12ihipStream_tbEUlRKfE_EESM_SQ_SR_mSS_SV_bEUlT_E_NS1_11comp_targetILNS1_3genE4ELNS1_11target_archE910ELNS1_3gpuE8ELNS1_3repE0EEENS1_30default_config_static_selectorELNS0_4arch9wavefront6targetE0EEEvSP_ ; -- Begin function _ZN7rocprim17ROCPRIM_400000_NS6detail17trampoline_kernelINS0_14default_configENS1_29binary_search_config_selectorIfiEEZNS1_14transform_implILb0ES3_S5_N6thrust23THRUST_200600_302600_NS6detail15normal_iteratorINS8_10device_ptrIfEEEENSA_INSB_IiEEEEZNS1_13binary_searchIS3_S5_SD_SD_SF_NS1_16binary_search_opENS9_16wrapped_functionINS0_4lessIvEEbEEEE10hipError_tPvRmT1_T2_T3_mmT4_T5_P12ihipStream_tbEUlRKfE_EESM_SQ_SR_mSS_SV_bEUlT_E_NS1_11comp_targetILNS1_3genE4ELNS1_11target_archE910ELNS1_3gpuE8ELNS1_3repE0EEENS1_30default_config_static_selectorELNS0_4arch9wavefront6targetE0EEEvSP_
	.globl	_ZN7rocprim17ROCPRIM_400000_NS6detail17trampoline_kernelINS0_14default_configENS1_29binary_search_config_selectorIfiEEZNS1_14transform_implILb0ES3_S5_N6thrust23THRUST_200600_302600_NS6detail15normal_iteratorINS8_10device_ptrIfEEEENSA_INSB_IiEEEEZNS1_13binary_searchIS3_S5_SD_SD_SF_NS1_16binary_search_opENS9_16wrapped_functionINS0_4lessIvEEbEEEE10hipError_tPvRmT1_T2_T3_mmT4_T5_P12ihipStream_tbEUlRKfE_EESM_SQ_SR_mSS_SV_bEUlT_E_NS1_11comp_targetILNS1_3genE4ELNS1_11target_archE910ELNS1_3gpuE8ELNS1_3repE0EEENS1_30default_config_static_selectorELNS0_4arch9wavefront6targetE0EEEvSP_
	.p2align	8
	.type	_ZN7rocprim17ROCPRIM_400000_NS6detail17trampoline_kernelINS0_14default_configENS1_29binary_search_config_selectorIfiEEZNS1_14transform_implILb0ES3_S5_N6thrust23THRUST_200600_302600_NS6detail15normal_iteratorINS8_10device_ptrIfEEEENSA_INSB_IiEEEEZNS1_13binary_searchIS3_S5_SD_SD_SF_NS1_16binary_search_opENS9_16wrapped_functionINS0_4lessIvEEbEEEE10hipError_tPvRmT1_T2_T3_mmT4_T5_P12ihipStream_tbEUlRKfE_EESM_SQ_SR_mSS_SV_bEUlT_E_NS1_11comp_targetILNS1_3genE4ELNS1_11target_archE910ELNS1_3gpuE8ELNS1_3repE0EEENS1_30default_config_static_selectorELNS0_4arch9wavefront6targetE0EEEvSP_,@function
_ZN7rocprim17ROCPRIM_400000_NS6detail17trampoline_kernelINS0_14default_configENS1_29binary_search_config_selectorIfiEEZNS1_14transform_implILb0ES3_S5_N6thrust23THRUST_200600_302600_NS6detail15normal_iteratorINS8_10device_ptrIfEEEENSA_INSB_IiEEEEZNS1_13binary_searchIS3_S5_SD_SD_SF_NS1_16binary_search_opENS9_16wrapped_functionINS0_4lessIvEEbEEEE10hipError_tPvRmT1_T2_T3_mmT4_T5_P12ihipStream_tbEUlRKfE_EESM_SQ_SR_mSS_SV_bEUlT_E_NS1_11comp_targetILNS1_3genE4ELNS1_11target_archE910ELNS1_3gpuE8ELNS1_3repE0EEENS1_30default_config_static_selectorELNS0_4arch9wavefront6targetE0EEEvSP_: ; @_ZN7rocprim17ROCPRIM_400000_NS6detail17trampoline_kernelINS0_14default_configENS1_29binary_search_config_selectorIfiEEZNS1_14transform_implILb0ES3_S5_N6thrust23THRUST_200600_302600_NS6detail15normal_iteratorINS8_10device_ptrIfEEEENSA_INSB_IiEEEEZNS1_13binary_searchIS3_S5_SD_SD_SF_NS1_16binary_search_opENS9_16wrapped_functionINS0_4lessIvEEbEEEE10hipError_tPvRmT1_T2_T3_mmT4_T5_P12ihipStream_tbEUlRKfE_EESM_SQ_SR_mSS_SV_bEUlT_E_NS1_11comp_targetILNS1_3genE4ELNS1_11target_archE910ELNS1_3gpuE8ELNS1_3repE0EEENS1_30default_config_static_selectorELNS0_4arch9wavefront6targetE0EEEvSP_
; %bb.0:
	.section	.rodata,"a",@progbits
	.p2align	6, 0x0
	.amdhsa_kernel _ZN7rocprim17ROCPRIM_400000_NS6detail17trampoline_kernelINS0_14default_configENS1_29binary_search_config_selectorIfiEEZNS1_14transform_implILb0ES3_S5_N6thrust23THRUST_200600_302600_NS6detail15normal_iteratorINS8_10device_ptrIfEEEENSA_INSB_IiEEEEZNS1_13binary_searchIS3_S5_SD_SD_SF_NS1_16binary_search_opENS9_16wrapped_functionINS0_4lessIvEEbEEEE10hipError_tPvRmT1_T2_T3_mmT4_T5_P12ihipStream_tbEUlRKfE_EESM_SQ_SR_mSS_SV_bEUlT_E_NS1_11comp_targetILNS1_3genE4ELNS1_11target_archE910ELNS1_3gpuE8ELNS1_3repE0EEENS1_30default_config_static_selectorELNS0_4arch9wavefront6targetE0EEEvSP_
		.amdhsa_group_segment_fixed_size 0
		.amdhsa_private_segment_fixed_size 0
		.amdhsa_kernarg_size 56
		.amdhsa_user_sgpr_count 15
		.amdhsa_user_sgpr_dispatch_ptr 0
		.amdhsa_user_sgpr_queue_ptr 0
		.amdhsa_user_sgpr_kernarg_segment_ptr 1
		.amdhsa_user_sgpr_dispatch_id 0
		.amdhsa_user_sgpr_private_segment_size 0
		.amdhsa_wavefront_size32 1
		.amdhsa_uses_dynamic_stack 0
		.amdhsa_enable_private_segment 0
		.amdhsa_system_sgpr_workgroup_id_x 1
		.amdhsa_system_sgpr_workgroup_id_y 0
		.amdhsa_system_sgpr_workgroup_id_z 0
		.amdhsa_system_sgpr_workgroup_info 0
		.amdhsa_system_vgpr_workitem_id 0
		.amdhsa_next_free_vgpr 1
		.amdhsa_next_free_sgpr 1
		.amdhsa_reserve_vcc 0
		.amdhsa_float_round_mode_32 0
		.amdhsa_float_round_mode_16_64 0
		.amdhsa_float_denorm_mode_32 3
		.amdhsa_float_denorm_mode_16_64 3
		.amdhsa_dx10_clamp 1
		.amdhsa_ieee_mode 1
		.amdhsa_fp16_overflow 0
		.amdhsa_workgroup_processor_mode 1
		.amdhsa_memory_ordered 1
		.amdhsa_forward_progress 0
		.amdhsa_shared_vgpr_count 0
		.amdhsa_exception_fp_ieee_invalid_op 0
		.amdhsa_exception_fp_denorm_src 0
		.amdhsa_exception_fp_ieee_div_zero 0
		.amdhsa_exception_fp_ieee_overflow 0
		.amdhsa_exception_fp_ieee_underflow 0
		.amdhsa_exception_fp_ieee_inexact 0
		.amdhsa_exception_int_div_zero 0
	.end_amdhsa_kernel
	.section	.text._ZN7rocprim17ROCPRIM_400000_NS6detail17trampoline_kernelINS0_14default_configENS1_29binary_search_config_selectorIfiEEZNS1_14transform_implILb0ES3_S5_N6thrust23THRUST_200600_302600_NS6detail15normal_iteratorINS8_10device_ptrIfEEEENSA_INSB_IiEEEEZNS1_13binary_searchIS3_S5_SD_SD_SF_NS1_16binary_search_opENS9_16wrapped_functionINS0_4lessIvEEbEEEE10hipError_tPvRmT1_T2_T3_mmT4_T5_P12ihipStream_tbEUlRKfE_EESM_SQ_SR_mSS_SV_bEUlT_E_NS1_11comp_targetILNS1_3genE4ELNS1_11target_archE910ELNS1_3gpuE8ELNS1_3repE0EEENS1_30default_config_static_selectorELNS0_4arch9wavefront6targetE0EEEvSP_,"axG",@progbits,_ZN7rocprim17ROCPRIM_400000_NS6detail17trampoline_kernelINS0_14default_configENS1_29binary_search_config_selectorIfiEEZNS1_14transform_implILb0ES3_S5_N6thrust23THRUST_200600_302600_NS6detail15normal_iteratorINS8_10device_ptrIfEEEENSA_INSB_IiEEEEZNS1_13binary_searchIS3_S5_SD_SD_SF_NS1_16binary_search_opENS9_16wrapped_functionINS0_4lessIvEEbEEEE10hipError_tPvRmT1_T2_T3_mmT4_T5_P12ihipStream_tbEUlRKfE_EESM_SQ_SR_mSS_SV_bEUlT_E_NS1_11comp_targetILNS1_3genE4ELNS1_11target_archE910ELNS1_3gpuE8ELNS1_3repE0EEENS1_30default_config_static_selectorELNS0_4arch9wavefront6targetE0EEEvSP_,comdat
.Lfunc_end431:
	.size	_ZN7rocprim17ROCPRIM_400000_NS6detail17trampoline_kernelINS0_14default_configENS1_29binary_search_config_selectorIfiEEZNS1_14transform_implILb0ES3_S5_N6thrust23THRUST_200600_302600_NS6detail15normal_iteratorINS8_10device_ptrIfEEEENSA_INSB_IiEEEEZNS1_13binary_searchIS3_S5_SD_SD_SF_NS1_16binary_search_opENS9_16wrapped_functionINS0_4lessIvEEbEEEE10hipError_tPvRmT1_T2_T3_mmT4_T5_P12ihipStream_tbEUlRKfE_EESM_SQ_SR_mSS_SV_bEUlT_E_NS1_11comp_targetILNS1_3genE4ELNS1_11target_archE910ELNS1_3gpuE8ELNS1_3repE0EEENS1_30default_config_static_selectorELNS0_4arch9wavefront6targetE0EEEvSP_, .Lfunc_end431-_ZN7rocprim17ROCPRIM_400000_NS6detail17trampoline_kernelINS0_14default_configENS1_29binary_search_config_selectorIfiEEZNS1_14transform_implILb0ES3_S5_N6thrust23THRUST_200600_302600_NS6detail15normal_iteratorINS8_10device_ptrIfEEEENSA_INSB_IiEEEEZNS1_13binary_searchIS3_S5_SD_SD_SF_NS1_16binary_search_opENS9_16wrapped_functionINS0_4lessIvEEbEEEE10hipError_tPvRmT1_T2_T3_mmT4_T5_P12ihipStream_tbEUlRKfE_EESM_SQ_SR_mSS_SV_bEUlT_E_NS1_11comp_targetILNS1_3genE4ELNS1_11target_archE910ELNS1_3gpuE8ELNS1_3repE0EEENS1_30default_config_static_selectorELNS0_4arch9wavefront6targetE0EEEvSP_
                                        ; -- End function
	.section	.AMDGPU.csdata,"",@progbits
; Kernel info:
; codeLenInByte = 0
; NumSgprs: 0
; NumVgprs: 0
; ScratchSize: 0
; MemoryBound: 0
; FloatMode: 240
; IeeeMode: 1
; LDSByteSize: 0 bytes/workgroup (compile time only)
; SGPRBlocks: 0
; VGPRBlocks: 0
; NumSGPRsForWavesPerEU: 1
; NumVGPRsForWavesPerEU: 1
; Occupancy: 16
; WaveLimiterHint : 0
; COMPUTE_PGM_RSRC2:SCRATCH_EN: 0
; COMPUTE_PGM_RSRC2:USER_SGPR: 15
; COMPUTE_PGM_RSRC2:TRAP_HANDLER: 0
; COMPUTE_PGM_RSRC2:TGID_X_EN: 1
; COMPUTE_PGM_RSRC2:TGID_Y_EN: 0
; COMPUTE_PGM_RSRC2:TGID_Z_EN: 0
; COMPUTE_PGM_RSRC2:TIDIG_COMP_CNT: 0
	.section	.text._ZN7rocprim17ROCPRIM_400000_NS6detail17trampoline_kernelINS0_14default_configENS1_29binary_search_config_selectorIfiEEZNS1_14transform_implILb0ES3_S5_N6thrust23THRUST_200600_302600_NS6detail15normal_iteratorINS8_10device_ptrIfEEEENSA_INSB_IiEEEEZNS1_13binary_searchIS3_S5_SD_SD_SF_NS1_16binary_search_opENS9_16wrapped_functionINS0_4lessIvEEbEEEE10hipError_tPvRmT1_T2_T3_mmT4_T5_P12ihipStream_tbEUlRKfE_EESM_SQ_SR_mSS_SV_bEUlT_E_NS1_11comp_targetILNS1_3genE3ELNS1_11target_archE908ELNS1_3gpuE7ELNS1_3repE0EEENS1_30default_config_static_selectorELNS0_4arch9wavefront6targetE0EEEvSP_,"axG",@progbits,_ZN7rocprim17ROCPRIM_400000_NS6detail17trampoline_kernelINS0_14default_configENS1_29binary_search_config_selectorIfiEEZNS1_14transform_implILb0ES3_S5_N6thrust23THRUST_200600_302600_NS6detail15normal_iteratorINS8_10device_ptrIfEEEENSA_INSB_IiEEEEZNS1_13binary_searchIS3_S5_SD_SD_SF_NS1_16binary_search_opENS9_16wrapped_functionINS0_4lessIvEEbEEEE10hipError_tPvRmT1_T2_T3_mmT4_T5_P12ihipStream_tbEUlRKfE_EESM_SQ_SR_mSS_SV_bEUlT_E_NS1_11comp_targetILNS1_3genE3ELNS1_11target_archE908ELNS1_3gpuE7ELNS1_3repE0EEENS1_30default_config_static_selectorELNS0_4arch9wavefront6targetE0EEEvSP_,comdat
	.protected	_ZN7rocprim17ROCPRIM_400000_NS6detail17trampoline_kernelINS0_14default_configENS1_29binary_search_config_selectorIfiEEZNS1_14transform_implILb0ES3_S5_N6thrust23THRUST_200600_302600_NS6detail15normal_iteratorINS8_10device_ptrIfEEEENSA_INSB_IiEEEEZNS1_13binary_searchIS3_S5_SD_SD_SF_NS1_16binary_search_opENS9_16wrapped_functionINS0_4lessIvEEbEEEE10hipError_tPvRmT1_T2_T3_mmT4_T5_P12ihipStream_tbEUlRKfE_EESM_SQ_SR_mSS_SV_bEUlT_E_NS1_11comp_targetILNS1_3genE3ELNS1_11target_archE908ELNS1_3gpuE7ELNS1_3repE0EEENS1_30default_config_static_selectorELNS0_4arch9wavefront6targetE0EEEvSP_ ; -- Begin function _ZN7rocprim17ROCPRIM_400000_NS6detail17trampoline_kernelINS0_14default_configENS1_29binary_search_config_selectorIfiEEZNS1_14transform_implILb0ES3_S5_N6thrust23THRUST_200600_302600_NS6detail15normal_iteratorINS8_10device_ptrIfEEEENSA_INSB_IiEEEEZNS1_13binary_searchIS3_S5_SD_SD_SF_NS1_16binary_search_opENS9_16wrapped_functionINS0_4lessIvEEbEEEE10hipError_tPvRmT1_T2_T3_mmT4_T5_P12ihipStream_tbEUlRKfE_EESM_SQ_SR_mSS_SV_bEUlT_E_NS1_11comp_targetILNS1_3genE3ELNS1_11target_archE908ELNS1_3gpuE7ELNS1_3repE0EEENS1_30default_config_static_selectorELNS0_4arch9wavefront6targetE0EEEvSP_
	.globl	_ZN7rocprim17ROCPRIM_400000_NS6detail17trampoline_kernelINS0_14default_configENS1_29binary_search_config_selectorIfiEEZNS1_14transform_implILb0ES3_S5_N6thrust23THRUST_200600_302600_NS6detail15normal_iteratorINS8_10device_ptrIfEEEENSA_INSB_IiEEEEZNS1_13binary_searchIS3_S5_SD_SD_SF_NS1_16binary_search_opENS9_16wrapped_functionINS0_4lessIvEEbEEEE10hipError_tPvRmT1_T2_T3_mmT4_T5_P12ihipStream_tbEUlRKfE_EESM_SQ_SR_mSS_SV_bEUlT_E_NS1_11comp_targetILNS1_3genE3ELNS1_11target_archE908ELNS1_3gpuE7ELNS1_3repE0EEENS1_30default_config_static_selectorELNS0_4arch9wavefront6targetE0EEEvSP_
	.p2align	8
	.type	_ZN7rocprim17ROCPRIM_400000_NS6detail17trampoline_kernelINS0_14default_configENS1_29binary_search_config_selectorIfiEEZNS1_14transform_implILb0ES3_S5_N6thrust23THRUST_200600_302600_NS6detail15normal_iteratorINS8_10device_ptrIfEEEENSA_INSB_IiEEEEZNS1_13binary_searchIS3_S5_SD_SD_SF_NS1_16binary_search_opENS9_16wrapped_functionINS0_4lessIvEEbEEEE10hipError_tPvRmT1_T2_T3_mmT4_T5_P12ihipStream_tbEUlRKfE_EESM_SQ_SR_mSS_SV_bEUlT_E_NS1_11comp_targetILNS1_3genE3ELNS1_11target_archE908ELNS1_3gpuE7ELNS1_3repE0EEENS1_30default_config_static_selectorELNS0_4arch9wavefront6targetE0EEEvSP_,@function
_ZN7rocprim17ROCPRIM_400000_NS6detail17trampoline_kernelINS0_14default_configENS1_29binary_search_config_selectorIfiEEZNS1_14transform_implILb0ES3_S5_N6thrust23THRUST_200600_302600_NS6detail15normal_iteratorINS8_10device_ptrIfEEEENSA_INSB_IiEEEEZNS1_13binary_searchIS3_S5_SD_SD_SF_NS1_16binary_search_opENS9_16wrapped_functionINS0_4lessIvEEbEEEE10hipError_tPvRmT1_T2_T3_mmT4_T5_P12ihipStream_tbEUlRKfE_EESM_SQ_SR_mSS_SV_bEUlT_E_NS1_11comp_targetILNS1_3genE3ELNS1_11target_archE908ELNS1_3gpuE7ELNS1_3repE0EEENS1_30default_config_static_selectorELNS0_4arch9wavefront6targetE0EEEvSP_: ; @_ZN7rocprim17ROCPRIM_400000_NS6detail17trampoline_kernelINS0_14default_configENS1_29binary_search_config_selectorIfiEEZNS1_14transform_implILb0ES3_S5_N6thrust23THRUST_200600_302600_NS6detail15normal_iteratorINS8_10device_ptrIfEEEENSA_INSB_IiEEEEZNS1_13binary_searchIS3_S5_SD_SD_SF_NS1_16binary_search_opENS9_16wrapped_functionINS0_4lessIvEEbEEEE10hipError_tPvRmT1_T2_T3_mmT4_T5_P12ihipStream_tbEUlRKfE_EESM_SQ_SR_mSS_SV_bEUlT_E_NS1_11comp_targetILNS1_3genE3ELNS1_11target_archE908ELNS1_3gpuE7ELNS1_3repE0EEENS1_30default_config_static_selectorELNS0_4arch9wavefront6targetE0EEEvSP_
; %bb.0:
	.section	.rodata,"a",@progbits
	.p2align	6, 0x0
	.amdhsa_kernel _ZN7rocprim17ROCPRIM_400000_NS6detail17trampoline_kernelINS0_14default_configENS1_29binary_search_config_selectorIfiEEZNS1_14transform_implILb0ES3_S5_N6thrust23THRUST_200600_302600_NS6detail15normal_iteratorINS8_10device_ptrIfEEEENSA_INSB_IiEEEEZNS1_13binary_searchIS3_S5_SD_SD_SF_NS1_16binary_search_opENS9_16wrapped_functionINS0_4lessIvEEbEEEE10hipError_tPvRmT1_T2_T3_mmT4_T5_P12ihipStream_tbEUlRKfE_EESM_SQ_SR_mSS_SV_bEUlT_E_NS1_11comp_targetILNS1_3genE3ELNS1_11target_archE908ELNS1_3gpuE7ELNS1_3repE0EEENS1_30default_config_static_selectorELNS0_4arch9wavefront6targetE0EEEvSP_
		.amdhsa_group_segment_fixed_size 0
		.amdhsa_private_segment_fixed_size 0
		.amdhsa_kernarg_size 56
		.amdhsa_user_sgpr_count 15
		.amdhsa_user_sgpr_dispatch_ptr 0
		.amdhsa_user_sgpr_queue_ptr 0
		.amdhsa_user_sgpr_kernarg_segment_ptr 1
		.amdhsa_user_sgpr_dispatch_id 0
		.amdhsa_user_sgpr_private_segment_size 0
		.amdhsa_wavefront_size32 1
		.amdhsa_uses_dynamic_stack 0
		.amdhsa_enable_private_segment 0
		.amdhsa_system_sgpr_workgroup_id_x 1
		.amdhsa_system_sgpr_workgroup_id_y 0
		.amdhsa_system_sgpr_workgroup_id_z 0
		.amdhsa_system_sgpr_workgroup_info 0
		.amdhsa_system_vgpr_workitem_id 0
		.amdhsa_next_free_vgpr 1
		.amdhsa_next_free_sgpr 1
		.amdhsa_reserve_vcc 0
		.amdhsa_float_round_mode_32 0
		.amdhsa_float_round_mode_16_64 0
		.amdhsa_float_denorm_mode_32 3
		.amdhsa_float_denorm_mode_16_64 3
		.amdhsa_dx10_clamp 1
		.amdhsa_ieee_mode 1
		.amdhsa_fp16_overflow 0
		.amdhsa_workgroup_processor_mode 1
		.amdhsa_memory_ordered 1
		.amdhsa_forward_progress 0
		.amdhsa_shared_vgpr_count 0
		.amdhsa_exception_fp_ieee_invalid_op 0
		.amdhsa_exception_fp_denorm_src 0
		.amdhsa_exception_fp_ieee_div_zero 0
		.amdhsa_exception_fp_ieee_overflow 0
		.amdhsa_exception_fp_ieee_underflow 0
		.amdhsa_exception_fp_ieee_inexact 0
		.amdhsa_exception_int_div_zero 0
	.end_amdhsa_kernel
	.section	.text._ZN7rocprim17ROCPRIM_400000_NS6detail17trampoline_kernelINS0_14default_configENS1_29binary_search_config_selectorIfiEEZNS1_14transform_implILb0ES3_S5_N6thrust23THRUST_200600_302600_NS6detail15normal_iteratorINS8_10device_ptrIfEEEENSA_INSB_IiEEEEZNS1_13binary_searchIS3_S5_SD_SD_SF_NS1_16binary_search_opENS9_16wrapped_functionINS0_4lessIvEEbEEEE10hipError_tPvRmT1_T2_T3_mmT4_T5_P12ihipStream_tbEUlRKfE_EESM_SQ_SR_mSS_SV_bEUlT_E_NS1_11comp_targetILNS1_3genE3ELNS1_11target_archE908ELNS1_3gpuE7ELNS1_3repE0EEENS1_30default_config_static_selectorELNS0_4arch9wavefront6targetE0EEEvSP_,"axG",@progbits,_ZN7rocprim17ROCPRIM_400000_NS6detail17trampoline_kernelINS0_14default_configENS1_29binary_search_config_selectorIfiEEZNS1_14transform_implILb0ES3_S5_N6thrust23THRUST_200600_302600_NS6detail15normal_iteratorINS8_10device_ptrIfEEEENSA_INSB_IiEEEEZNS1_13binary_searchIS3_S5_SD_SD_SF_NS1_16binary_search_opENS9_16wrapped_functionINS0_4lessIvEEbEEEE10hipError_tPvRmT1_T2_T3_mmT4_T5_P12ihipStream_tbEUlRKfE_EESM_SQ_SR_mSS_SV_bEUlT_E_NS1_11comp_targetILNS1_3genE3ELNS1_11target_archE908ELNS1_3gpuE7ELNS1_3repE0EEENS1_30default_config_static_selectorELNS0_4arch9wavefront6targetE0EEEvSP_,comdat
.Lfunc_end432:
	.size	_ZN7rocprim17ROCPRIM_400000_NS6detail17trampoline_kernelINS0_14default_configENS1_29binary_search_config_selectorIfiEEZNS1_14transform_implILb0ES3_S5_N6thrust23THRUST_200600_302600_NS6detail15normal_iteratorINS8_10device_ptrIfEEEENSA_INSB_IiEEEEZNS1_13binary_searchIS3_S5_SD_SD_SF_NS1_16binary_search_opENS9_16wrapped_functionINS0_4lessIvEEbEEEE10hipError_tPvRmT1_T2_T3_mmT4_T5_P12ihipStream_tbEUlRKfE_EESM_SQ_SR_mSS_SV_bEUlT_E_NS1_11comp_targetILNS1_3genE3ELNS1_11target_archE908ELNS1_3gpuE7ELNS1_3repE0EEENS1_30default_config_static_selectorELNS0_4arch9wavefront6targetE0EEEvSP_, .Lfunc_end432-_ZN7rocprim17ROCPRIM_400000_NS6detail17trampoline_kernelINS0_14default_configENS1_29binary_search_config_selectorIfiEEZNS1_14transform_implILb0ES3_S5_N6thrust23THRUST_200600_302600_NS6detail15normal_iteratorINS8_10device_ptrIfEEEENSA_INSB_IiEEEEZNS1_13binary_searchIS3_S5_SD_SD_SF_NS1_16binary_search_opENS9_16wrapped_functionINS0_4lessIvEEbEEEE10hipError_tPvRmT1_T2_T3_mmT4_T5_P12ihipStream_tbEUlRKfE_EESM_SQ_SR_mSS_SV_bEUlT_E_NS1_11comp_targetILNS1_3genE3ELNS1_11target_archE908ELNS1_3gpuE7ELNS1_3repE0EEENS1_30default_config_static_selectorELNS0_4arch9wavefront6targetE0EEEvSP_
                                        ; -- End function
	.section	.AMDGPU.csdata,"",@progbits
; Kernel info:
; codeLenInByte = 0
; NumSgprs: 0
; NumVgprs: 0
; ScratchSize: 0
; MemoryBound: 0
; FloatMode: 240
; IeeeMode: 1
; LDSByteSize: 0 bytes/workgroup (compile time only)
; SGPRBlocks: 0
; VGPRBlocks: 0
; NumSGPRsForWavesPerEU: 1
; NumVGPRsForWavesPerEU: 1
; Occupancy: 16
; WaveLimiterHint : 0
; COMPUTE_PGM_RSRC2:SCRATCH_EN: 0
; COMPUTE_PGM_RSRC2:USER_SGPR: 15
; COMPUTE_PGM_RSRC2:TRAP_HANDLER: 0
; COMPUTE_PGM_RSRC2:TGID_X_EN: 1
; COMPUTE_PGM_RSRC2:TGID_Y_EN: 0
; COMPUTE_PGM_RSRC2:TGID_Z_EN: 0
; COMPUTE_PGM_RSRC2:TIDIG_COMP_CNT: 0
	.section	.text._ZN7rocprim17ROCPRIM_400000_NS6detail17trampoline_kernelINS0_14default_configENS1_29binary_search_config_selectorIfiEEZNS1_14transform_implILb0ES3_S5_N6thrust23THRUST_200600_302600_NS6detail15normal_iteratorINS8_10device_ptrIfEEEENSA_INSB_IiEEEEZNS1_13binary_searchIS3_S5_SD_SD_SF_NS1_16binary_search_opENS9_16wrapped_functionINS0_4lessIvEEbEEEE10hipError_tPvRmT1_T2_T3_mmT4_T5_P12ihipStream_tbEUlRKfE_EESM_SQ_SR_mSS_SV_bEUlT_E_NS1_11comp_targetILNS1_3genE2ELNS1_11target_archE906ELNS1_3gpuE6ELNS1_3repE0EEENS1_30default_config_static_selectorELNS0_4arch9wavefront6targetE0EEEvSP_,"axG",@progbits,_ZN7rocprim17ROCPRIM_400000_NS6detail17trampoline_kernelINS0_14default_configENS1_29binary_search_config_selectorIfiEEZNS1_14transform_implILb0ES3_S5_N6thrust23THRUST_200600_302600_NS6detail15normal_iteratorINS8_10device_ptrIfEEEENSA_INSB_IiEEEEZNS1_13binary_searchIS3_S5_SD_SD_SF_NS1_16binary_search_opENS9_16wrapped_functionINS0_4lessIvEEbEEEE10hipError_tPvRmT1_T2_T3_mmT4_T5_P12ihipStream_tbEUlRKfE_EESM_SQ_SR_mSS_SV_bEUlT_E_NS1_11comp_targetILNS1_3genE2ELNS1_11target_archE906ELNS1_3gpuE6ELNS1_3repE0EEENS1_30default_config_static_selectorELNS0_4arch9wavefront6targetE0EEEvSP_,comdat
	.protected	_ZN7rocprim17ROCPRIM_400000_NS6detail17trampoline_kernelINS0_14default_configENS1_29binary_search_config_selectorIfiEEZNS1_14transform_implILb0ES3_S5_N6thrust23THRUST_200600_302600_NS6detail15normal_iteratorINS8_10device_ptrIfEEEENSA_INSB_IiEEEEZNS1_13binary_searchIS3_S5_SD_SD_SF_NS1_16binary_search_opENS9_16wrapped_functionINS0_4lessIvEEbEEEE10hipError_tPvRmT1_T2_T3_mmT4_T5_P12ihipStream_tbEUlRKfE_EESM_SQ_SR_mSS_SV_bEUlT_E_NS1_11comp_targetILNS1_3genE2ELNS1_11target_archE906ELNS1_3gpuE6ELNS1_3repE0EEENS1_30default_config_static_selectorELNS0_4arch9wavefront6targetE0EEEvSP_ ; -- Begin function _ZN7rocprim17ROCPRIM_400000_NS6detail17trampoline_kernelINS0_14default_configENS1_29binary_search_config_selectorIfiEEZNS1_14transform_implILb0ES3_S5_N6thrust23THRUST_200600_302600_NS6detail15normal_iteratorINS8_10device_ptrIfEEEENSA_INSB_IiEEEEZNS1_13binary_searchIS3_S5_SD_SD_SF_NS1_16binary_search_opENS9_16wrapped_functionINS0_4lessIvEEbEEEE10hipError_tPvRmT1_T2_T3_mmT4_T5_P12ihipStream_tbEUlRKfE_EESM_SQ_SR_mSS_SV_bEUlT_E_NS1_11comp_targetILNS1_3genE2ELNS1_11target_archE906ELNS1_3gpuE6ELNS1_3repE0EEENS1_30default_config_static_selectorELNS0_4arch9wavefront6targetE0EEEvSP_
	.globl	_ZN7rocprim17ROCPRIM_400000_NS6detail17trampoline_kernelINS0_14default_configENS1_29binary_search_config_selectorIfiEEZNS1_14transform_implILb0ES3_S5_N6thrust23THRUST_200600_302600_NS6detail15normal_iteratorINS8_10device_ptrIfEEEENSA_INSB_IiEEEEZNS1_13binary_searchIS3_S5_SD_SD_SF_NS1_16binary_search_opENS9_16wrapped_functionINS0_4lessIvEEbEEEE10hipError_tPvRmT1_T2_T3_mmT4_T5_P12ihipStream_tbEUlRKfE_EESM_SQ_SR_mSS_SV_bEUlT_E_NS1_11comp_targetILNS1_3genE2ELNS1_11target_archE906ELNS1_3gpuE6ELNS1_3repE0EEENS1_30default_config_static_selectorELNS0_4arch9wavefront6targetE0EEEvSP_
	.p2align	8
	.type	_ZN7rocprim17ROCPRIM_400000_NS6detail17trampoline_kernelINS0_14default_configENS1_29binary_search_config_selectorIfiEEZNS1_14transform_implILb0ES3_S5_N6thrust23THRUST_200600_302600_NS6detail15normal_iteratorINS8_10device_ptrIfEEEENSA_INSB_IiEEEEZNS1_13binary_searchIS3_S5_SD_SD_SF_NS1_16binary_search_opENS9_16wrapped_functionINS0_4lessIvEEbEEEE10hipError_tPvRmT1_T2_T3_mmT4_T5_P12ihipStream_tbEUlRKfE_EESM_SQ_SR_mSS_SV_bEUlT_E_NS1_11comp_targetILNS1_3genE2ELNS1_11target_archE906ELNS1_3gpuE6ELNS1_3repE0EEENS1_30default_config_static_selectorELNS0_4arch9wavefront6targetE0EEEvSP_,@function
_ZN7rocprim17ROCPRIM_400000_NS6detail17trampoline_kernelINS0_14default_configENS1_29binary_search_config_selectorIfiEEZNS1_14transform_implILb0ES3_S5_N6thrust23THRUST_200600_302600_NS6detail15normal_iteratorINS8_10device_ptrIfEEEENSA_INSB_IiEEEEZNS1_13binary_searchIS3_S5_SD_SD_SF_NS1_16binary_search_opENS9_16wrapped_functionINS0_4lessIvEEbEEEE10hipError_tPvRmT1_T2_T3_mmT4_T5_P12ihipStream_tbEUlRKfE_EESM_SQ_SR_mSS_SV_bEUlT_E_NS1_11comp_targetILNS1_3genE2ELNS1_11target_archE906ELNS1_3gpuE6ELNS1_3repE0EEENS1_30default_config_static_selectorELNS0_4arch9wavefront6targetE0EEEvSP_: ; @_ZN7rocprim17ROCPRIM_400000_NS6detail17trampoline_kernelINS0_14default_configENS1_29binary_search_config_selectorIfiEEZNS1_14transform_implILb0ES3_S5_N6thrust23THRUST_200600_302600_NS6detail15normal_iteratorINS8_10device_ptrIfEEEENSA_INSB_IiEEEEZNS1_13binary_searchIS3_S5_SD_SD_SF_NS1_16binary_search_opENS9_16wrapped_functionINS0_4lessIvEEbEEEE10hipError_tPvRmT1_T2_T3_mmT4_T5_P12ihipStream_tbEUlRKfE_EESM_SQ_SR_mSS_SV_bEUlT_E_NS1_11comp_targetILNS1_3genE2ELNS1_11target_archE906ELNS1_3gpuE6ELNS1_3repE0EEENS1_30default_config_static_selectorELNS0_4arch9wavefront6targetE0EEEvSP_
; %bb.0:
	.section	.rodata,"a",@progbits
	.p2align	6, 0x0
	.amdhsa_kernel _ZN7rocprim17ROCPRIM_400000_NS6detail17trampoline_kernelINS0_14default_configENS1_29binary_search_config_selectorIfiEEZNS1_14transform_implILb0ES3_S5_N6thrust23THRUST_200600_302600_NS6detail15normal_iteratorINS8_10device_ptrIfEEEENSA_INSB_IiEEEEZNS1_13binary_searchIS3_S5_SD_SD_SF_NS1_16binary_search_opENS9_16wrapped_functionINS0_4lessIvEEbEEEE10hipError_tPvRmT1_T2_T3_mmT4_T5_P12ihipStream_tbEUlRKfE_EESM_SQ_SR_mSS_SV_bEUlT_E_NS1_11comp_targetILNS1_3genE2ELNS1_11target_archE906ELNS1_3gpuE6ELNS1_3repE0EEENS1_30default_config_static_selectorELNS0_4arch9wavefront6targetE0EEEvSP_
		.amdhsa_group_segment_fixed_size 0
		.amdhsa_private_segment_fixed_size 0
		.amdhsa_kernarg_size 56
		.amdhsa_user_sgpr_count 15
		.amdhsa_user_sgpr_dispatch_ptr 0
		.amdhsa_user_sgpr_queue_ptr 0
		.amdhsa_user_sgpr_kernarg_segment_ptr 1
		.amdhsa_user_sgpr_dispatch_id 0
		.amdhsa_user_sgpr_private_segment_size 0
		.amdhsa_wavefront_size32 1
		.amdhsa_uses_dynamic_stack 0
		.amdhsa_enable_private_segment 0
		.amdhsa_system_sgpr_workgroup_id_x 1
		.amdhsa_system_sgpr_workgroup_id_y 0
		.amdhsa_system_sgpr_workgroup_id_z 0
		.amdhsa_system_sgpr_workgroup_info 0
		.amdhsa_system_vgpr_workitem_id 0
		.amdhsa_next_free_vgpr 1
		.amdhsa_next_free_sgpr 1
		.amdhsa_reserve_vcc 0
		.amdhsa_float_round_mode_32 0
		.amdhsa_float_round_mode_16_64 0
		.amdhsa_float_denorm_mode_32 3
		.amdhsa_float_denorm_mode_16_64 3
		.amdhsa_dx10_clamp 1
		.amdhsa_ieee_mode 1
		.amdhsa_fp16_overflow 0
		.amdhsa_workgroup_processor_mode 1
		.amdhsa_memory_ordered 1
		.amdhsa_forward_progress 0
		.amdhsa_shared_vgpr_count 0
		.amdhsa_exception_fp_ieee_invalid_op 0
		.amdhsa_exception_fp_denorm_src 0
		.amdhsa_exception_fp_ieee_div_zero 0
		.amdhsa_exception_fp_ieee_overflow 0
		.amdhsa_exception_fp_ieee_underflow 0
		.amdhsa_exception_fp_ieee_inexact 0
		.amdhsa_exception_int_div_zero 0
	.end_amdhsa_kernel
	.section	.text._ZN7rocprim17ROCPRIM_400000_NS6detail17trampoline_kernelINS0_14default_configENS1_29binary_search_config_selectorIfiEEZNS1_14transform_implILb0ES3_S5_N6thrust23THRUST_200600_302600_NS6detail15normal_iteratorINS8_10device_ptrIfEEEENSA_INSB_IiEEEEZNS1_13binary_searchIS3_S5_SD_SD_SF_NS1_16binary_search_opENS9_16wrapped_functionINS0_4lessIvEEbEEEE10hipError_tPvRmT1_T2_T3_mmT4_T5_P12ihipStream_tbEUlRKfE_EESM_SQ_SR_mSS_SV_bEUlT_E_NS1_11comp_targetILNS1_3genE2ELNS1_11target_archE906ELNS1_3gpuE6ELNS1_3repE0EEENS1_30default_config_static_selectorELNS0_4arch9wavefront6targetE0EEEvSP_,"axG",@progbits,_ZN7rocprim17ROCPRIM_400000_NS6detail17trampoline_kernelINS0_14default_configENS1_29binary_search_config_selectorIfiEEZNS1_14transform_implILb0ES3_S5_N6thrust23THRUST_200600_302600_NS6detail15normal_iteratorINS8_10device_ptrIfEEEENSA_INSB_IiEEEEZNS1_13binary_searchIS3_S5_SD_SD_SF_NS1_16binary_search_opENS9_16wrapped_functionINS0_4lessIvEEbEEEE10hipError_tPvRmT1_T2_T3_mmT4_T5_P12ihipStream_tbEUlRKfE_EESM_SQ_SR_mSS_SV_bEUlT_E_NS1_11comp_targetILNS1_3genE2ELNS1_11target_archE906ELNS1_3gpuE6ELNS1_3repE0EEENS1_30default_config_static_selectorELNS0_4arch9wavefront6targetE0EEEvSP_,comdat
.Lfunc_end433:
	.size	_ZN7rocprim17ROCPRIM_400000_NS6detail17trampoline_kernelINS0_14default_configENS1_29binary_search_config_selectorIfiEEZNS1_14transform_implILb0ES3_S5_N6thrust23THRUST_200600_302600_NS6detail15normal_iteratorINS8_10device_ptrIfEEEENSA_INSB_IiEEEEZNS1_13binary_searchIS3_S5_SD_SD_SF_NS1_16binary_search_opENS9_16wrapped_functionINS0_4lessIvEEbEEEE10hipError_tPvRmT1_T2_T3_mmT4_T5_P12ihipStream_tbEUlRKfE_EESM_SQ_SR_mSS_SV_bEUlT_E_NS1_11comp_targetILNS1_3genE2ELNS1_11target_archE906ELNS1_3gpuE6ELNS1_3repE0EEENS1_30default_config_static_selectorELNS0_4arch9wavefront6targetE0EEEvSP_, .Lfunc_end433-_ZN7rocprim17ROCPRIM_400000_NS6detail17trampoline_kernelINS0_14default_configENS1_29binary_search_config_selectorIfiEEZNS1_14transform_implILb0ES3_S5_N6thrust23THRUST_200600_302600_NS6detail15normal_iteratorINS8_10device_ptrIfEEEENSA_INSB_IiEEEEZNS1_13binary_searchIS3_S5_SD_SD_SF_NS1_16binary_search_opENS9_16wrapped_functionINS0_4lessIvEEbEEEE10hipError_tPvRmT1_T2_T3_mmT4_T5_P12ihipStream_tbEUlRKfE_EESM_SQ_SR_mSS_SV_bEUlT_E_NS1_11comp_targetILNS1_3genE2ELNS1_11target_archE906ELNS1_3gpuE6ELNS1_3repE0EEENS1_30default_config_static_selectorELNS0_4arch9wavefront6targetE0EEEvSP_
                                        ; -- End function
	.section	.AMDGPU.csdata,"",@progbits
; Kernel info:
; codeLenInByte = 0
; NumSgprs: 0
; NumVgprs: 0
; ScratchSize: 0
; MemoryBound: 0
; FloatMode: 240
; IeeeMode: 1
; LDSByteSize: 0 bytes/workgroup (compile time only)
; SGPRBlocks: 0
; VGPRBlocks: 0
; NumSGPRsForWavesPerEU: 1
; NumVGPRsForWavesPerEU: 1
; Occupancy: 16
; WaveLimiterHint : 0
; COMPUTE_PGM_RSRC2:SCRATCH_EN: 0
; COMPUTE_PGM_RSRC2:USER_SGPR: 15
; COMPUTE_PGM_RSRC2:TRAP_HANDLER: 0
; COMPUTE_PGM_RSRC2:TGID_X_EN: 1
; COMPUTE_PGM_RSRC2:TGID_Y_EN: 0
; COMPUTE_PGM_RSRC2:TGID_Z_EN: 0
; COMPUTE_PGM_RSRC2:TIDIG_COMP_CNT: 0
	.section	.text._ZN7rocprim17ROCPRIM_400000_NS6detail17trampoline_kernelINS0_14default_configENS1_29binary_search_config_selectorIfiEEZNS1_14transform_implILb0ES3_S5_N6thrust23THRUST_200600_302600_NS6detail15normal_iteratorINS8_10device_ptrIfEEEENSA_INSB_IiEEEEZNS1_13binary_searchIS3_S5_SD_SD_SF_NS1_16binary_search_opENS9_16wrapped_functionINS0_4lessIvEEbEEEE10hipError_tPvRmT1_T2_T3_mmT4_T5_P12ihipStream_tbEUlRKfE_EESM_SQ_SR_mSS_SV_bEUlT_E_NS1_11comp_targetILNS1_3genE10ELNS1_11target_archE1201ELNS1_3gpuE5ELNS1_3repE0EEENS1_30default_config_static_selectorELNS0_4arch9wavefront6targetE0EEEvSP_,"axG",@progbits,_ZN7rocprim17ROCPRIM_400000_NS6detail17trampoline_kernelINS0_14default_configENS1_29binary_search_config_selectorIfiEEZNS1_14transform_implILb0ES3_S5_N6thrust23THRUST_200600_302600_NS6detail15normal_iteratorINS8_10device_ptrIfEEEENSA_INSB_IiEEEEZNS1_13binary_searchIS3_S5_SD_SD_SF_NS1_16binary_search_opENS9_16wrapped_functionINS0_4lessIvEEbEEEE10hipError_tPvRmT1_T2_T3_mmT4_T5_P12ihipStream_tbEUlRKfE_EESM_SQ_SR_mSS_SV_bEUlT_E_NS1_11comp_targetILNS1_3genE10ELNS1_11target_archE1201ELNS1_3gpuE5ELNS1_3repE0EEENS1_30default_config_static_selectorELNS0_4arch9wavefront6targetE0EEEvSP_,comdat
	.protected	_ZN7rocprim17ROCPRIM_400000_NS6detail17trampoline_kernelINS0_14default_configENS1_29binary_search_config_selectorIfiEEZNS1_14transform_implILb0ES3_S5_N6thrust23THRUST_200600_302600_NS6detail15normal_iteratorINS8_10device_ptrIfEEEENSA_INSB_IiEEEEZNS1_13binary_searchIS3_S5_SD_SD_SF_NS1_16binary_search_opENS9_16wrapped_functionINS0_4lessIvEEbEEEE10hipError_tPvRmT1_T2_T3_mmT4_T5_P12ihipStream_tbEUlRKfE_EESM_SQ_SR_mSS_SV_bEUlT_E_NS1_11comp_targetILNS1_3genE10ELNS1_11target_archE1201ELNS1_3gpuE5ELNS1_3repE0EEENS1_30default_config_static_selectorELNS0_4arch9wavefront6targetE0EEEvSP_ ; -- Begin function _ZN7rocprim17ROCPRIM_400000_NS6detail17trampoline_kernelINS0_14default_configENS1_29binary_search_config_selectorIfiEEZNS1_14transform_implILb0ES3_S5_N6thrust23THRUST_200600_302600_NS6detail15normal_iteratorINS8_10device_ptrIfEEEENSA_INSB_IiEEEEZNS1_13binary_searchIS3_S5_SD_SD_SF_NS1_16binary_search_opENS9_16wrapped_functionINS0_4lessIvEEbEEEE10hipError_tPvRmT1_T2_T3_mmT4_T5_P12ihipStream_tbEUlRKfE_EESM_SQ_SR_mSS_SV_bEUlT_E_NS1_11comp_targetILNS1_3genE10ELNS1_11target_archE1201ELNS1_3gpuE5ELNS1_3repE0EEENS1_30default_config_static_selectorELNS0_4arch9wavefront6targetE0EEEvSP_
	.globl	_ZN7rocprim17ROCPRIM_400000_NS6detail17trampoline_kernelINS0_14default_configENS1_29binary_search_config_selectorIfiEEZNS1_14transform_implILb0ES3_S5_N6thrust23THRUST_200600_302600_NS6detail15normal_iteratorINS8_10device_ptrIfEEEENSA_INSB_IiEEEEZNS1_13binary_searchIS3_S5_SD_SD_SF_NS1_16binary_search_opENS9_16wrapped_functionINS0_4lessIvEEbEEEE10hipError_tPvRmT1_T2_T3_mmT4_T5_P12ihipStream_tbEUlRKfE_EESM_SQ_SR_mSS_SV_bEUlT_E_NS1_11comp_targetILNS1_3genE10ELNS1_11target_archE1201ELNS1_3gpuE5ELNS1_3repE0EEENS1_30default_config_static_selectorELNS0_4arch9wavefront6targetE0EEEvSP_
	.p2align	8
	.type	_ZN7rocprim17ROCPRIM_400000_NS6detail17trampoline_kernelINS0_14default_configENS1_29binary_search_config_selectorIfiEEZNS1_14transform_implILb0ES3_S5_N6thrust23THRUST_200600_302600_NS6detail15normal_iteratorINS8_10device_ptrIfEEEENSA_INSB_IiEEEEZNS1_13binary_searchIS3_S5_SD_SD_SF_NS1_16binary_search_opENS9_16wrapped_functionINS0_4lessIvEEbEEEE10hipError_tPvRmT1_T2_T3_mmT4_T5_P12ihipStream_tbEUlRKfE_EESM_SQ_SR_mSS_SV_bEUlT_E_NS1_11comp_targetILNS1_3genE10ELNS1_11target_archE1201ELNS1_3gpuE5ELNS1_3repE0EEENS1_30default_config_static_selectorELNS0_4arch9wavefront6targetE0EEEvSP_,@function
_ZN7rocprim17ROCPRIM_400000_NS6detail17trampoline_kernelINS0_14default_configENS1_29binary_search_config_selectorIfiEEZNS1_14transform_implILb0ES3_S5_N6thrust23THRUST_200600_302600_NS6detail15normal_iteratorINS8_10device_ptrIfEEEENSA_INSB_IiEEEEZNS1_13binary_searchIS3_S5_SD_SD_SF_NS1_16binary_search_opENS9_16wrapped_functionINS0_4lessIvEEbEEEE10hipError_tPvRmT1_T2_T3_mmT4_T5_P12ihipStream_tbEUlRKfE_EESM_SQ_SR_mSS_SV_bEUlT_E_NS1_11comp_targetILNS1_3genE10ELNS1_11target_archE1201ELNS1_3gpuE5ELNS1_3repE0EEENS1_30default_config_static_selectorELNS0_4arch9wavefront6targetE0EEEvSP_: ; @_ZN7rocprim17ROCPRIM_400000_NS6detail17trampoline_kernelINS0_14default_configENS1_29binary_search_config_selectorIfiEEZNS1_14transform_implILb0ES3_S5_N6thrust23THRUST_200600_302600_NS6detail15normal_iteratorINS8_10device_ptrIfEEEENSA_INSB_IiEEEEZNS1_13binary_searchIS3_S5_SD_SD_SF_NS1_16binary_search_opENS9_16wrapped_functionINS0_4lessIvEEbEEEE10hipError_tPvRmT1_T2_T3_mmT4_T5_P12ihipStream_tbEUlRKfE_EESM_SQ_SR_mSS_SV_bEUlT_E_NS1_11comp_targetILNS1_3genE10ELNS1_11target_archE1201ELNS1_3gpuE5ELNS1_3repE0EEENS1_30default_config_static_selectorELNS0_4arch9wavefront6targetE0EEEvSP_
; %bb.0:
	.section	.rodata,"a",@progbits
	.p2align	6, 0x0
	.amdhsa_kernel _ZN7rocprim17ROCPRIM_400000_NS6detail17trampoline_kernelINS0_14default_configENS1_29binary_search_config_selectorIfiEEZNS1_14transform_implILb0ES3_S5_N6thrust23THRUST_200600_302600_NS6detail15normal_iteratorINS8_10device_ptrIfEEEENSA_INSB_IiEEEEZNS1_13binary_searchIS3_S5_SD_SD_SF_NS1_16binary_search_opENS9_16wrapped_functionINS0_4lessIvEEbEEEE10hipError_tPvRmT1_T2_T3_mmT4_T5_P12ihipStream_tbEUlRKfE_EESM_SQ_SR_mSS_SV_bEUlT_E_NS1_11comp_targetILNS1_3genE10ELNS1_11target_archE1201ELNS1_3gpuE5ELNS1_3repE0EEENS1_30default_config_static_selectorELNS0_4arch9wavefront6targetE0EEEvSP_
		.amdhsa_group_segment_fixed_size 0
		.amdhsa_private_segment_fixed_size 0
		.amdhsa_kernarg_size 56
		.amdhsa_user_sgpr_count 15
		.amdhsa_user_sgpr_dispatch_ptr 0
		.amdhsa_user_sgpr_queue_ptr 0
		.amdhsa_user_sgpr_kernarg_segment_ptr 1
		.amdhsa_user_sgpr_dispatch_id 0
		.amdhsa_user_sgpr_private_segment_size 0
		.amdhsa_wavefront_size32 1
		.amdhsa_uses_dynamic_stack 0
		.amdhsa_enable_private_segment 0
		.amdhsa_system_sgpr_workgroup_id_x 1
		.amdhsa_system_sgpr_workgroup_id_y 0
		.amdhsa_system_sgpr_workgroup_id_z 0
		.amdhsa_system_sgpr_workgroup_info 0
		.amdhsa_system_vgpr_workitem_id 0
		.amdhsa_next_free_vgpr 1
		.amdhsa_next_free_sgpr 1
		.amdhsa_reserve_vcc 0
		.amdhsa_float_round_mode_32 0
		.amdhsa_float_round_mode_16_64 0
		.amdhsa_float_denorm_mode_32 3
		.amdhsa_float_denorm_mode_16_64 3
		.amdhsa_dx10_clamp 1
		.amdhsa_ieee_mode 1
		.amdhsa_fp16_overflow 0
		.amdhsa_workgroup_processor_mode 1
		.amdhsa_memory_ordered 1
		.amdhsa_forward_progress 0
		.amdhsa_shared_vgpr_count 0
		.amdhsa_exception_fp_ieee_invalid_op 0
		.amdhsa_exception_fp_denorm_src 0
		.amdhsa_exception_fp_ieee_div_zero 0
		.amdhsa_exception_fp_ieee_overflow 0
		.amdhsa_exception_fp_ieee_underflow 0
		.amdhsa_exception_fp_ieee_inexact 0
		.amdhsa_exception_int_div_zero 0
	.end_amdhsa_kernel
	.section	.text._ZN7rocprim17ROCPRIM_400000_NS6detail17trampoline_kernelINS0_14default_configENS1_29binary_search_config_selectorIfiEEZNS1_14transform_implILb0ES3_S5_N6thrust23THRUST_200600_302600_NS6detail15normal_iteratorINS8_10device_ptrIfEEEENSA_INSB_IiEEEEZNS1_13binary_searchIS3_S5_SD_SD_SF_NS1_16binary_search_opENS9_16wrapped_functionINS0_4lessIvEEbEEEE10hipError_tPvRmT1_T2_T3_mmT4_T5_P12ihipStream_tbEUlRKfE_EESM_SQ_SR_mSS_SV_bEUlT_E_NS1_11comp_targetILNS1_3genE10ELNS1_11target_archE1201ELNS1_3gpuE5ELNS1_3repE0EEENS1_30default_config_static_selectorELNS0_4arch9wavefront6targetE0EEEvSP_,"axG",@progbits,_ZN7rocprim17ROCPRIM_400000_NS6detail17trampoline_kernelINS0_14default_configENS1_29binary_search_config_selectorIfiEEZNS1_14transform_implILb0ES3_S5_N6thrust23THRUST_200600_302600_NS6detail15normal_iteratorINS8_10device_ptrIfEEEENSA_INSB_IiEEEEZNS1_13binary_searchIS3_S5_SD_SD_SF_NS1_16binary_search_opENS9_16wrapped_functionINS0_4lessIvEEbEEEE10hipError_tPvRmT1_T2_T3_mmT4_T5_P12ihipStream_tbEUlRKfE_EESM_SQ_SR_mSS_SV_bEUlT_E_NS1_11comp_targetILNS1_3genE10ELNS1_11target_archE1201ELNS1_3gpuE5ELNS1_3repE0EEENS1_30default_config_static_selectorELNS0_4arch9wavefront6targetE0EEEvSP_,comdat
.Lfunc_end434:
	.size	_ZN7rocprim17ROCPRIM_400000_NS6detail17trampoline_kernelINS0_14default_configENS1_29binary_search_config_selectorIfiEEZNS1_14transform_implILb0ES3_S5_N6thrust23THRUST_200600_302600_NS6detail15normal_iteratorINS8_10device_ptrIfEEEENSA_INSB_IiEEEEZNS1_13binary_searchIS3_S5_SD_SD_SF_NS1_16binary_search_opENS9_16wrapped_functionINS0_4lessIvEEbEEEE10hipError_tPvRmT1_T2_T3_mmT4_T5_P12ihipStream_tbEUlRKfE_EESM_SQ_SR_mSS_SV_bEUlT_E_NS1_11comp_targetILNS1_3genE10ELNS1_11target_archE1201ELNS1_3gpuE5ELNS1_3repE0EEENS1_30default_config_static_selectorELNS0_4arch9wavefront6targetE0EEEvSP_, .Lfunc_end434-_ZN7rocprim17ROCPRIM_400000_NS6detail17trampoline_kernelINS0_14default_configENS1_29binary_search_config_selectorIfiEEZNS1_14transform_implILb0ES3_S5_N6thrust23THRUST_200600_302600_NS6detail15normal_iteratorINS8_10device_ptrIfEEEENSA_INSB_IiEEEEZNS1_13binary_searchIS3_S5_SD_SD_SF_NS1_16binary_search_opENS9_16wrapped_functionINS0_4lessIvEEbEEEE10hipError_tPvRmT1_T2_T3_mmT4_T5_P12ihipStream_tbEUlRKfE_EESM_SQ_SR_mSS_SV_bEUlT_E_NS1_11comp_targetILNS1_3genE10ELNS1_11target_archE1201ELNS1_3gpuE5ELNS1_3repE0EEENS1_30default_config_static_selectorELNS0_4arch9wavefront6targetE0EEEvSP_
                                        ; -- End function
	.section	.AMDGPU.csdata,"",@progbits
; Kernel info:
; codeLenInByte = 0
; NumSgprs: 0
; NumVgprs: 0
; ScratchSize: 0
; MemoryBound: 0
; FloatMode: 240
; IeeeMode: 1
; LDSByteSize: 0 bytes/workgroup (compile time only)
; SGPRBlocks: 0
; VGPRBlocks: 0
; NumSGPRsForWavesPerEU: 1
; NumVGPRsForWavesPerEU: 1
; Occupancy: 16
; WaveLimiterHint : 0
; COMPUTE_PGM_RSRC2:SCRATCH_EN: 0
; COMPUTE_PGM_RSRC2:USER_SGPR: 15
; COMPUTE_PGM_RSRC2:TRAP_HANDLER: 0
; COMPUTE_PGM_RSRC2:TGID_X_EN: 1
; COMPUTE_PGM_RSRC2:TGID_Y_EN: 0
; COMPUTE_PGM_RSRC2:TGID_Z_EN: 0
; COMPUTE_PGM_RSRC2:TIDIG_COMP_CNT: 0
	.section	.text._ZN7rocprim17ROCPRIM_400000_NS6detail17trampoline_kernelINS0_14default_configENS1_29binary_search_config_selectorIfiEEZNS1_14transform_implILb0ES3_S5_N6thrust23THRUST_200600_302600_NS6detail15normal_iteratorINS8_10device_ptrIfEEEENSA_INSB_IiEEEEZNS1_13binary_searchIS3_S5_SD_SD_SF_NS1_16binary_search_opENS9_16wrapped_functionINS0_4lessIvEEbEEEE10hipError_tPvRmT1_T2_T3_mmT4_T5_P12ihipStream_tbEUlRKfE_EESM_SQ_SR_mSS_SV_bEUlT_E_NS1_11comp_targetILNS1_3genE10ELNS1_11target_archE1200ELNS1_3gpuE4ELNS1_3repE0EEENS1_30default_config_static_selectorELNS0_4arch9wavefront6targetE0EEEvSP_,"axG",@progbits,_ZN7rocprim17ROCPRIM_400000_NS6detail17trampoline_kernelINS0_14default_configENS1_29binary_search_config_selectorIfiEEZNS1_14transform_implILb0ES3_S5_N6thrust23THRUST_200600_302600_NS6detail15normal_iteratorINS8_10device_ptrIfEEEENSA_INSB_IiEEEEZNS1_13binary_searchIS3_S5_SD_SD_SF_NS1_16binary_search_opENS9_16wrapped_functionINS0_4lessIvEEbEEEE10hipError_tPvRmT1_T2_T3_mmT4_T5_P12ihipStream_tbEUlRKfE_EESM_SQ_SR_mSS_SV_bEUlT_E_NS1_11comp_targetILNS1_3genE10ELNS1_11target_archE1200ELNS1_3gpuE4ELNS1_3repE0EEENS1_30default_config_static_selectorELNS0_4arch9wavefront6targetE0EEEvSP_,comdat
	.protected	_ZN7rocprim17ROCPRIM_400000_NS6detail17trampoline_kernelINS0_14default_configENS1_29binary_search_config_selectorIfiEEZNS1_14transform_implILb0ES3_S5_N6thrust23THRUST_200600_302600_NS6detail15normal_iteratorINS8_10device_ptrIfEEEENSA_INSB_IiEEEEZNS1_13binary_searchIS3_S5_SD_SD_SF_NS1_16binary_search_opENS9_16wrapped_functionINS0_4lessIvEEbEEEE10hipError_tPvRmT1_T2_T3_mmT4_T5_P12ihipStream_tbEUlRKfE_EESM_SQ_SR_mSS_SV_bEUlT_E_NS1_11comp_targetILNS1_3genE10ELNS1_11target_archE1200ELNS1_3gpuE4ELNS1_3repE0EEENS1_30default_config_static_selectorELNS0_4arch9wavefront6targetE0EEEvSP_ ; -- Begin function _ZN7rocprim17ROCPRIM_400000_NS6detail17trampoline_kernelINS0_14default_configENS1_29binary_search_config_selectorIfiEEZNS1_14transform_implILb0ES3_S5_N6thrust23THRUST_200600_302600_NS6detail15normal_iteratorINS8_10device_ptrIfEEEENSA_INSB_IiEEEEZNS1_13binary_searchIS3_S5_SD_SD_SF_NS1_16binary_search_opENS9_16wrapped_functionINS0_4lessIvEEbEEEE10hipError_tPvRmT1_T2_T3_mmT4_T5_P12ihipStream_tbEUlRKfE_EESM_SQ_SR_mSS_SV_bEUlT_E_NS1_11comp_targetILNS1_3genE10ELNS1_11target_archE1200ELNS1_3gpuE4ELNS1_3repE0EEENS1_30default_config_static_selectorELNS0_4arch9wavefront6targetE0EEEvSP_
	.globl	_ZN7rocprim17ROCPRIM_400000_NS6detail17trampoline_kernelINS0_14default_configENS1_29binary_search_config_selectorIfiEEZNS1_14transform_implILb0ES3_S5_N6thrust23THRUST_200600_302600_NS6detail15normal_iteratorINS8_10device_ptrIfEEEENSA_INSB_IiEEEEZNS1_13binary_searchIS3_S5_SD_SD_SF_NS1_16binary_search_opENS9_16wrapped_functionINS0_4lessIvEEbEEEE10hipError_tPvRmT1_T2_T3_mmT4_T5_P12ihipStream_tbEUlRKfE_EESM_SQ_SR_mSS_SV_bEUlT_E_NS1_11comp_targetILNS1_3genE10ELNS1_11target_archE1200ELNS1_3gpuE4ELNS1_3repE0EEENS1_30default_config_static_selectorELNS0_4arch9wavefront6targetE0EEEvSP_
	.p2align	8
	.type	_ZN7rocprim17ROCPRIM_400000_NS6detail17trampoline_kernelINS0_14default_configENS1_29binary_search_config_selectorIfiEEZNS1_14transform_implILb0ES3_S5_N6thrust23THRUST_200600_302600_NS6detail15normal_iteratorINS8_10device_ptrIfEEEENSA_INSB_IiEEEEZNS1_13binary_searchIS3_S5_SD_SD_SF_NS1_16binary_search_opENS9_16wrapped_functionINS0_4lessIvEEbEEEE10hipError_tPvRmT1_T2_T3_mmT4_T5_P12ihipStream_tbEUlRKfE_EESM_SQ_SR_mSS_SV_bEUlT_E_NS1_11comp_targetILNS1_3genE10ELNS1_11target_archE1200ELNS1_3gpuE4ELNS1_3repE0EEENS1_30default_config_static_selectorELNS0_4arch9wavefront6targetE0EEEvSP_,@function
_ZN7rocprim17ROCPRIM_400000_NS6detail17trampoline_kernelINS0_14default_configENS1_29binary_search_config_selectorIfiEEZNS1_14transform_implILb0ES3_S5_N6thrust23THRUST_200600_302600_NS6detail15normal_iteratorINS8_10device_ptrIfEEEENSA_INSB_IiEEEEZNS1_13binary_searchIS3_S5_SD_SD_SF_NS1_16binary_search_opENS9_16wrapped_functionINS0_4lessIvEEbEEEE10hipError_tPvRmT1_T2_T3_mmT4_T5_P12ihipStream_tbEUlRKfE_EESM_SQ_SR_mSS_SV_bEUlT_E_NS1_11comp_targetILNS1_3genE10ELNS1_11target_archE1200ELNS1_3gpuE4ELNS1_3repE0EEENS1_30default_config_static_selectorELNS0_4arch9wavefront6targetE0EEEvSP_: ; @_ZN7rocprim17ROCPRIM_400000_NS6detail17trampoline_kernelINS0_14default_configENS1_29binary_search_config_selectorIfiEEZNS1_14transform_implILb0ES3_S5_N6thrust23THRUST_200600_302600_NS6detail15normal_iteratorINS8_10device_ptrIfEEEENSA_INSB_IiEEEEZNS1_13binary_searchIS3_S5_SD_SD_SF_NS1_16binary_search_opENS9_16wrapped_functionINS0_4lessIvEEbEEEE10hipError_tPvRmT1_T2_T3_mmT4_T5_P12ihipStream_tbEUlRKfE_EESM_SQ_SR_mSS_SV_bEUlT_E_NS1_11comp_targetILNS1_3genE10ELNS1_11target_archE1200ELNS1_3gpuE4ELNS1_3repE0EEENS1_30default_config_static_selectorELNS0_4arch9wavefront6targetE0EEEvSP_
; %bb.0:
	.section	.rodata,"a",@progbits
	.p2align	6, 0x0
	.amdhsa_kernel _ZN7rocprim17ROCPRIM_400000_NS6detail17trampoline_kernelINS0_14default_configENS1_29binary_search_config_selectorIfiEEZNS1_14transform_implILb0ES3_S5_N6thrust23THRUST_200600_302600_NS6detail15normal_iteratorINS8_10device_ptrIfEEEENSA_INSB_IiEEEEZNS1_13binary_searchIS3_S5_SD_SD_SF_NS1_16binary_search_opENS9_16wrapped_functionINS0_4lessIvEEbEEEE10hipError_tPvRmT1_T2_T3_mmT4_T5_P12ihipStream_tbEUlRKfE_EESM_SQ_SR_mSS_SV_bEUlT_E_NS1_11comp_targetILNS1_3genE10ELNS1_11target_archE1200ELNS1_3gpuE4ELNS1_3repE0EEENS1_30default_config_static_selectorELNS0_4arch9wavefront6targetE0EEEvSP_
		.amdhsa_group_segment_fixed_size 0
		.amdhsa_private_segment_fixed_size 0
		.amdhsa_kernarg_size 56
		.amdhsa_user_sgpr_count 15
		.amdhsa_user_sgpr_dispatch_ptr 0
		.amdhsa_user_sgpr_queue_ptr 0
		.amdhsa_user_sgpr_kernarg_segment_ptr 1
		.amdhsa_user_sgpr_dispatch_id 0
		.amdhsa_user_sgpr_private_segment_size 0
		.amdhsa_wavefront_size32 1
		.amdhsa_uses_dynamic_stack 0
		.amdhsa_enable_private_segment 0
		.amdhsa_system_sgpr_workgroup_id_x 1
		.amdhsa_system_sgpr_workgroup_id_y 0
		.amdhsa_system_sgpr_workgroup_id_z 0
		.amdhsa_system_sgpr_workgroup_info 0
		.amdhsa_system_vgpr_workitem_id 0
		.amdhsa_next_free_vgpr 1
		.amdhsa_next_free_sgpr 1
		.amdhsa_reserve_vcc 0
		.amdhsa_float_round_mode_32 0
		.amdhsa_float_round_mode_16_64 0
		.amdhsa_float_denorm_mode_32 3
		.amdhsa_float_denorm_mode_16_64 3
		.amdhsa_dx10_clamp 1
		.amdhsa_ieee_mode 1
		.amdhsa_fp16_overflow 0
		.amdhsa_workgroup_processor_mode 1
		.amdhsa_memory_ordered 1
		.amdhsa_forward_progress 0
		.amdhsa_shared_vgpr_count 0
		.amdhsa_exception_fp_ieee_invalid_op 0
		.amdhsa_exception_fp_denorm_src 0
		.amdhsa_exception_fp_ieee_div_zero 0
		.amdhsa_exception_fp_ieee_overflow 0
		.amdhsa_exception_fp_ieee_underflow 0
		.amdhsa_exception_fp_ieee_inexact 0
		.amdhsa_exception_int_div_zero 0
	.end_amdhsa_kernel
	.section	.text._ZN7rocprim17ROCPRIM_400000_NS6detail17trampoline_kernelINS0_14default_configENS1_29binary_search_config_selectorIfiEEZNS1_14transform_implILb0ES3_S5_N6thrust23THRUST_200600_302600_NS6detail15normal_iteratorINS8_10device_ptrIfEEEENSA_INSB_IiEEEEZNS1_13binary_searchIS3_S5_SD_SD_SF_NS1_16binary_search_opENS9_16wrapped_functionINS0_4lessIvEEbEEEE10hipError_tPvRmT1_T2_T3_mmT4_T5_P12ihipStream_tbEUlRKfE_EESM_SQ_SR_mSS_SV_bEUlT_E_NS1_11comp_targetILNS1_3genE10ELNS1_11target_archE1200ELNS1_3gpuE4ELNS1_3repE0EEENS1_30default_config_static_selectorELNS0_4arch9wavefront6targetE0EEEvSP_,"axG",@progbits,_ZN7rocprim17ROCPRIM_400000_NS6detail17trampoline_kernelINS0_14default_configENS1_29binary_search_config_selectorIfiEEZNS1_14transform_implILb0ES3_S5_N6thrust23THRUST_200600_302600_NS6detail15normal_iteratorINS8_10device_ptrIfEEEENSA_INSB_IiEEEEZNS1_13binary_searchIS3_S5_SD_SD_SF_NS1_16binary_search_opENS9_16wrapped_functionINS0_4lessIvEEbEEEE10hipError_tPvRmT1_T2_T3_mmT4_T5_P12ihipStream_tbEUlRKfE_EESM_SQ_SR_mSS_SV_bEUlT_E_NS1_11comp_targetILNS1_3genE10ELNS1_11target_archE1200ELNS1_3gpuE4ELNS1_3repE0EEENS1_30default_config_static_selectorELNS0_4arch9wavefront6targetE0EEEvSP_,comdat
.Lfunc_end435:
	.size	_ZN7rocprim17ROCPRIM_400000_NS6detail17trampoline_kernelINS0_14default_configENS1_29binary_search_config_selectorIfiEEZNS1_14transform_implILb0ES3_S5_N6thrust23THRUST_200600_302600_NS6detail15normal_iteratorINS8_10device_ptrIfEEEENSA_INSB_IiEEEEZNS1_13binary_searchIS3_S5_SD_SD_SF_NS1_16binary_search_opENS9_16wrapped_functionINS0_4lessIvEEbEEEE10hipError_tPvRmT1_T2_T3_mmT4_T5_P12ihipStream_tbEUlRKfE_EESM_SQ_SR_mSS_SV_bEUlT_E_NS1_11comp_targetILNS1_3genE10ELNS1_11target_archE1200ELNS1_3gpuE4ELNS1_3repE0EEENS1_30default_config_static_selectorELNS0_4arch9wavefront6targetE0EEEvSP_, .Lfunc_end435-_ZN7rocprim17ROCPRIM_400000_NS6detail17trampoline_kernelINS0_14default_configENS1_29binary_search_config_selectorIfiEEZNS1_14transform_implILb0ES3_S5_N6thrust23THRUST_200600_302600_NS6detail15normal_iteratorINS8_10device_ptrIfEEEENSA_INSB_IiEEEEZNS1_13binary_searchIS3_S5_SD_SD_SF_NS1_16binary_search_opENS9_16wrapped_functionINS0_4lessIvEEbEEEE10hipError_tPvRmT1_T2_T3_mmT4_T5_P12ihipStream_tbEUlRKfE_EESM_SQ_SR_mSS_SV_bEUlT_E_NS1_11comp_targetILNS1_3genE10ELNS1_11target_archE1200ELNS1_3gpuE4ELNS1_3repE0EEENS1_30default_config_static_selectorELNS0_4arch9wavefront6targetE0EEEvSP_
                                        ; -- End function
	.section	.AMDGPU.csdata,"",@progbits
; Kernel info:
; codeLenInByte = 0
; NumSgprs: 0
; NumVgprs: 0
; ScratchSize: 0
; MemoryBound: 0
; FloatMode: 240
; IeeeMode: 1
; LDSByteSize: 0 bytes/workgroup (compile time only)
; SGPRBlocks: 0
; VGPRBlocks: 0
; NumSGPRsForWavesPerEU: 1
; NumVGPRsForWavesPerEU: 1
; Occupancy: 16
; WaveLimiterHint : 0
; COMPUTE_PGM_RSRC2:SCRATCH_EN: 0
; COMPUTE_PGM_RSRC2:USER_SGPR: 15
; COMPUTE_PGM_RSRC2:TRAP_HANDLER: 0
; COMPUTE_PGM_RSRC2:TGID_X_EN: 1
; COMPUTE_PGM_RSRC2:TGID_Y_EN: 0
; COMPUTE_PGM_RSRC2:TGID_Z_EN: 0
; COMPUTE_PGM_RSRC2:TIDIG_COMP_CNT: 0
	.section	.text._ZN7rocprim17ROCPRIM_400000_NS6detail17trampoline_kernelINS0_14default_configENS1_29binary_search_config_selectorIfiEEZNS1_14transform_implILb0ES3_S5_N6thrust23THRUST_200600_302600_NS6detail15normal_iteratorINS8_10device_ptrIfEEEENSA_INSB_IiEEEEZNS1_13binary_searchIS3_S5_SD_SD_SF_NS1_16binary_search_opENS9_16wrapped_functionINS0_4lessIvEEbEEEE10hipError_tPvRmT1_T2_T3_mmT4_T5_P12ihipStream_tbEUlRKfE_EESM_SQ_SR_mSS_SV_bEUlT_E_NS1_11comp_targetILNS1_3genE9ELNS1_11target_archE1100ELNS1_3gpuE3ELNS1_3repE0EEENS1_30default_config_static_selectorELNS0_4arch9wavefront6targetE0EEEvSP_,"axG",@progbits,_ZN7rocprim17ROCPRIM_400000_NS6detail17trampoline_kernelINS0_14default_configENS1_29binary_search_config_selectorIfiEEZNS1_14transform_implILb0ES3_S5_N6thrust23THRUST_200600_302600_NS6detail15normal_iteratorINS8_10device_ptrIfEEEENSA_INSB_IiEEEEZNS1_13binary_searchIS3_S5_SD_SD_SF_NS1_16binary_search_opENS9_16wrapped_functionINS0_4lessIvEEbEEEE10hipError_tPvRmT1_T2_T3_mmT4_T5_P12ihipStream_tbEUlRKfE_EESM_SQ_SR_mSS_SV_bEUlT_E_NS1_11comp_targetILNS1_3genE9ELNS1_11target_archE1100ELNS1_3gpuE3ELNS1_3repE0EEENS1_30default_config_static_selectorELNS0_4arch9wavefront6targetE0EEEvSP_,comdat
	.protected	_ZN7rocprim17ROCPRIM_400000_NS6detail17trampoline_kernelINS0_14default_configENS1_29binary_search_config_selectorIfiEEZNS1_14transform_implILb0ES3_S5_N6thrust23THRUST_200600_302600_NS6detail15normal_iteratorINS8_10device_ptrIfEEEENSA_INSB_IiEEEEZNS1_13binary_searchIS3_S5_SD_SD_SF_NS1_16binary_search_opENS9_16wrapped_functionINS0_4lessIvEEbEEEE10hipError_tPvRmT1_T2_T3_mmT4_T5_P12ihipStream_tbEUlRKfE_EESM_SQ_SR_mSS_SV_bEUlT_E_NS1_11comp_targetILNS1_3genE9ELNS1_11target_archE1100ELNS1_3gpuE3ELNS1_3repE0EEENS1_30default_config_static_selectorELNS0_4arch9wavefront6targetE0EEEvSP_ ; -- Begin function _ZN7rocprim17ROCPRIM_400000_NS6detail17trampoline_kernelINS0_14default_configENS1_29binary_search_config_selectorIfiEEZNS1_14transform_implILb0ES3_S5_N6thrust23THRUST_200600_302600_NS6detail15normal_iteratorINS8_10device_ptrIfEEEENSA_INSB_IiEEEEZNS1_13binary_searchIS3_S5_SD_SD_SF_NS1_16binary_search_opENS9_16wrapped_functionINS0_4lessIvEEbEEEE10hipError_tPvRmT1_T2_T3_mmT4_T5_P12ihipStream_tbEUlRKfE_EESM_SQ_SR_mSS_SV_bEUlT_E_NS1_11comp_targetILNS1_3genE9ELNS1_11target_archE1100ELNS1_3gpuE3ELNS1_3repE0EEENS1_30default_config_static_selectorELNS0_4arch9wavefront6targetE0EEEvSP_
	.globl	_ZN7rocprim17ROCPRIM_400000_NS6detail17trampoline_kernelINS0_14default_configENS1_29binary_search_config_selectorIfiEEZNS1_14transform_implILb0ES3_S5_N6thrust23THRUST_200600_302600_NS6detail15normal_iteratorINS8_10device_ptrIfEEEENSA_INSB_IiEEEEZNS1_13binary_searchIS3_S5_SD_SD_SF_NS1_16binary_search_opENS9_16wrapped_functionINS0_4lessIvEEbEEEE10hipError_tPvRmT1_T2_T3_mmT4_T5_P12ihipStream_tbEUlRKfE_EESM_SQ_SR_mSS_SV_bEUlT_E_NS1_11comp_targetILNS1_3genE9ELNS1_11target_archE1100ELNS1_3gpuE3ELNS1_3repE0EEENS1_30default_config_static_selectorELNS0_4arch9wavefront6targetE0EEEvSP_
	.p2align	8
	.type	_ZN7rocprim17ROCPRIM_400000_NS6detail17trampoline_kernelINS0_14default_configENS1_29binary_search_config_selectorIfiEEZNS1_14transform_implILb0ES3_S5_N6thrust23THRUST_200600_302600_NS6detail15normal_iteratorINS8_10device_ptrIfEEEENSA_INSB_IiEEEEZNS1_13binary_searchIS3_S5_SD_SD_SF_NS1_16binary_search_opENS9_16wrapped_functionINS0_4lessIvEEbEEEE10hipError_tPvRmT1_T2_T3_mmT4_T5_P12ihipStream_tbEUlRKfE_EESM_SQ_SR_mSS_SV_bEUlT_E_NS1_11comp_targetILNS1_3genE9ELNS1_11target_archE1100ELNS1_3gpuE3ELNS1_3repE0EEENS1_30default_config_static_selectorELNS0_4arch9wavefront6targetE0EEEvSP_,@function
_ZN7rocprim17ROCPRIM_400000_NS6detail17trampoline_kernelINS0_14default_configENS1_29binary_search_config_selectorIfiEEZNS1_14transform_implILb0ES3_S5_N6thrust23THRUST_200600_302600_NS6detail15normal_iteratorINS8_10device_ptrIfEEEENSA_INSB_IiEEEEZNS1_13binary_searchIS3_S5_SD_SD_SF_NS1_16binary_search_opENS9_16wrapped_functionINS0_4lessIvEEbEEEE10hipError_tPvRmT1_T2_T3_mmT4_T5_P12ihipStream_tbEUlRKfE_EESM_SQ_SR_mSS_SV_bEUlT_E_NS1_11comp_targetILNS1_3genE9ELNS1_11target_archE1100ELNS1_3gpuE3ELNS1_3repE0EEENS1_30default_config_static_selectorELNS0_4arch9wavefront6targetE0EEEvSP_: ; @_ZN7rocprim17ROCPRIM_400000_NS6detail17trampoline_kernelINS0_14default_configENS1_29binary_search_config_selectorIfiEEZNS1_14transform_implILb0ES3_S5_N6thrust23THRUST_200600_302600_NS6detail15normal_iteratorINS8_10device_ptrIfEEEENSA_INSB_IiEEEEZNS1_13binary_searchIS3_S5_SD_SD_SF_NS1_16binary_search_opENS9_16wrapped_functionINS0_4lessIvEEbEEEE10hipError_tPvRmT1_T2_T3_mmT4_T5_P12ihipStream_tbEUlRKfE_EESM_SQ_SR_mSS_SV_bEUlT_E_NS1_11comp_targetILNS1_3genE9ELNS1_11target_archE1100ELNS1_3gpuE3ELNS1_3repE0EEENS1_30default_config_static_selectorELNS0_4arch9wavefront6targetE0EEEvSP_
; %bb.0:
	s_clause 0x3
	s_load_b128 s[16:19], s[0:1], 0x0
	s_load_b128 s[4:7], s[0:1], 0x18
	s_load_b32 s14, s[0:1], 0x38
	s_load_b64 s[8:9], s[0:1], 0x28
	s_waitcnt lgkmcnt(0)
	s_lshl_b64 s[2:3], s[18:19], 2
	s_delay_alu instid0(SALU_CYCLE_1)
	s_add_u32 s12, s16, s2
	s_addc_u32 s13, s17, s3
	s_add_u32 s10, s4, s2
	s_addc_u32 s11, s5, s3
	s_add_i32 s14, s14, -1
	s_lshl_b32 s2, s15, 8
	s_mov_b32 s3, 0
	s_cmp_lg_u32 s15, s14
	s_mov_b32 s4, -1
	s_cbranch_scc0 .LBB436_8
; %bb.1:
	v_lshlrev_b32_e32 v5, 2, v0
	s_lshl_b64 s[4:5], s[2:3], 2
	s_delay_alu instid0(SALU_CYCLE_1) | instskip(SKIP_1) | instid1(VALU_DEP_1)
	s_add_u32 s14, s12, s4
	s_addc_u32 s15, s13, s5
	v_add_co_u32 v1, s14, s14, v5
	s_delay_alu instid0(VALU_DEP_1)
	v_add_co_ci_u32_e64 v2, null, s15, 0, s14
	s_cmp_eq_u64 s[8:9], 0
	flat_load_b32 v6, v[1:2]
	v_mov_b32_e32 v1, 0
	v_mov_b32_e32 v2, 0
	s_cbranch_scc1 .LBB436_5
; %bb.2:
	v_mov_b32_e32 v1, 0
	v_dual_mov_b32 v2, 0 :: v_dual_mov_b32 v3, s8
	v_mov_b32_e32 v4, s9
	s_mov_b32 s14, s3
	.p2align	6
.LBB436_3:                              ; =>This Inner Loop Header: Depth=1
	s_delay_alu instid0(VALU_DEP_2) | instskip(NEXT) | instid1(VALU_DEP_2)
	v_sub_co_u32 v7, vcc_lo, v3, v1
	v_sub_co_ci_u32_e32 v8, vcc_lo, v4, v2, vcc_lo
	s_delay_alu instid0(VALU_DEP_1) | instskip(SKIP_1) | instid1(VALU_DEP_2)
	v_lshrrev_b64 v[9:10], 1, v[7:8]
	v_lshrrev_b64 v[7:8], 6, v[7:8]
	v_add_co_u32 v9, vcc_lo, v9, v1
	s_delay_alu instid0(VALU_DEP_3) | instskip(NEXT) | instid1(VALU_DEP_2)
	v_add_co_ci_u32_e32 v10, vcc_lo, v10, v2, vcc_lo
	v_add_co_u32 v7, vcc_lo, v9, v7
	s_delay_alu instid0(VALU_DEP_2) | instskip(NEXT) | instid1(VALU_DEP_1)
	v_add_co_ci_u32_e32 v8, vcc_lo, v10, v8, vcc_lo
	v_lshlrev_b64 v[9:10], 2, v[7:8]
	s_delay_alu instid0(VALU_DEP_1) | instskip(NEXT) | instid1(VALU_DEP_2)
	v_add_co_u32 v9, vcc_lo, s6, v9
	v_add_co_ci_u32_e32 v10, vcc_lo, s7, v10, vcc_lo
	global_load_b32 v9, v[9:10], off
	v_add_co_u32 v10, vcc_lo, v7, 1
	v_add_co_ci_u32_e32 v11, vcc_lo, 0, v8, vcc_lo
	s_waitcnt vmcnt(0) lgkmcnt(0)
	v_cmp_lt_f32_e32 vcc_lo, v9, v6
	v_dual_cndmask_b32 v4, v8, v4 :: v_dual_cndmask_b32 v3, v7, v3
	s_delay_alu instid0(VALU_DEP_3) | instskip(NEXT) | instid1(VALU_DEP_1)
	v_dual_cndmask_b32 v2, v2, v11 :: v_dual_cndmask_b32 v1, v1, v10
	v_cmp_ge_u64_e32 vcc_lo, v[1:2], v[3:4]
	s_or_b32 s14, vcc_lo, s14
	s_delay_alu instid0(SALU_CYCLE_1)
	s_and_not1_b32 exec_lo, exec_lo, s14
	s_cbranch_execnz .LBB436_3
; %bb.4:
	s_or_b32 exec_lo, exec_lo, s14
.LBB436_5:
	v_mov_b32_e32 v3, 0
	s_mov_b32 s14, exec_lo
	s_delay_alu instid0(VALU_DEP_2)
	v_cmpx_ne_u64_e64 s[8:9], v[1:2]
	s_cbranch_execz .LBB436_7
; %bb.6:
	v_lshlrev_b64 v[1:2], 2, v[1:2]
	s_delay_alu instid0(VALU_DEP_1) | instskip(NEXT) | instid1(VALU_DEP_2)
	v_add_co_u32 v1, vcc_lo, s6, v1
	v_add_co_ci_u32_e32 v2, vcc_lo, s7, v2, vcc_lo
	global_load_b32 v1, v[1:2], off
	s_waitcnt vmcnt(0) lgkmcnt(0)
	v_cmp_ngt_f32_e32 vcc_lo, v1, v6
	v_cndmask_b32_e64 v3, 0, 1, vcc_lo
.LBB436_7:
	s_or_b32 exec_lo, exec_lo, s14
	s_add_u32 s4, s10, s4
	s_addc_u32 s5, s11, s5
	v_add_co_u32 v1, s4, s4, v5
	s_delay_alu instid0(VALU_DEP_1)
	v_add_co_ci_u32_e64 v2, null, s5, 0, s4
	s_mov_b32 s4, 0
	flat_store_b32 v[1:2], v3
.LBB436_8:
	s_and_b32 vcc_lo, exec_lo, s4
	s_cbranch_vccz .LBB436_13
; %bb.9:
	s_load_b32 s0, s[0:1], 0x10
                                        ; implicit-def: $vgpr5
	s_waitcnt lgkmcnt(0)
	s_sub_i32 s0, s0, s2
	s_delay_alu instid0(SALU_CYCLE_1)
	v_cmp_gt_u32_e32 vcc_lo, s0, v0
	s_and_saveexec_b32 s0, vcc_lo
	s_cbranch_execnz .LBB436_14
; %bb.10:
	s_or_b32 exec_lo, exec_lo, s0
                                        ; implicit-def: $vgpr3
	s_and_saveexec_b32 s1, vcc_lo
	s_cbranch_execnz .LBB436_15
.LBB436_11:
	s_or_b32 exec_lo, exec_lo, s1
	s_and_saveexec_b32 s0, vcc_lo
	s_cbranch_execz .LBB436_13
.LBB436_12:
	v_lshlrev_b32_e32 v0, 2, v0
	s_lshl_b64 s[0:1], s[2:3], 2
	s_delay_alu instid0(SALU_CYCLE_1) | instskip(SKIP_1) | instid1(VALU_DEP_1)
	s_add_u32 s0, s10, s0
	s_addc_u32 s1, s11, s1
	v_add_co_u32 v0, s0, s0, v0
	s_delay_alu instid0(VALU_DEP_1)
	v_add_co_ci_u32_e64 v1, null, s1, 0, s0
	flat_store_b32 v[0:1], v3
.LBB436_13:
	s_endpgm
.LBB436_14:
	v_lshlrev_b32_e32 v1, 2, v0
	s_lshl_b64 s[4:5], s[2:3], 2
	s_delay_alu instid0(SALU_CYCLE_1) | instskip(SKIP_1) | instid1(VALU_DEP_1)
	s_add_u32 s1, s12, s4
	s_addc_u32 s4, s13, s5
	v_add_co_u32 v1, s1, s1, v1
	s_delay_alu instid0(VALU_DEP_1)
	v_add_co_ci_u32_e64 v2, null, s4, 0, s1
	flat_load_b32 v5, v[1:2]
	s_or_b32 exec_lo, exec_lo, s0
                                        ; implicit-def: $vgpr3
	s_and_saveexec_b32 s1, vcc_lo
	s_cbranch_execz .LBB436_11
.LBB436_15:
	v_mov_b32_e32 v1, 0
	v_mov_b32_e32 v2, 0
	s_cmp_eq_u64 s[8:9], 0
	s_cbranch_scc1 .LBB436_19
; %bb.16:
	v_mov_b32_e32 v1, 0
	v_dual_mov_b32 v2, 0 :: v_dual_mov_b32 v3, s8
	v_mov_b32_e32 v4, s9
	s_mov_b32 s4, 0
	s_set_inst_prefetch_distance 0x1
	.p2align	6
.LBB436_17:                             ; =>This Inner Loop Header: Depth=1
	s_waitcnt vmcnt(0)
	v_sub_co_u32 v6, s0, v3, v1
	s_delay_alu instid0(VALU_DEP_1) | instskip(NEXT) | instid1(VALU_DEP_1)
	v_sub_co_ci_u32_e64 v7, s0, v4, v2, s0
	v_lshrrev_b64 v[8:9], 1, v[6:7]
	v_lshrrev_b64 v[6:7], 6, v[6:7]
	s_delay_alu instid0(VALU_DEP_2) | instskip(NEXT) | instid1(VALU_DEP_1)
	v_add_co_u32 v8, s0, v8, v1
	v_add_co_ci_u32_e64 v9, s0, v9, v2, s0
	s_delay_alu instid0(VALU_DEP_2) | instskip(NEXT) | instid1(VALU_DEP_1)
	v_add_co_u32 v6, s0, v8, v6
	v_add_co_ci_u32_e64 v7, s0, v9, v7, s0
	s_delay_alu instid0(VALU_DEP_1) | instskip(NEXT) | instid1(VALU_DEP_1)
	v_lshlrev_b64 v[8:9], 2, v[6:7]
	v_add_co_u32 v8, s0, s6, v8
	s_delay_alu instid0(VALU_DEP_1) | instskip(SKIP_2) | instid1(VALU_DEP_1)
	v_add_co_ci_u32_e64 v9, s0, s7, v9, s0
	global_load_b32 v8, v[8:9], off
	v_add_co_u32 v9, s0, v6, 1
	v_add_co_ci_u32_e64 v10, s0, 0, v7, s0
	s_waitcnt vmcnt(0) lgkmcnt(0)
	v_cmp_lt_f32_e64 s0, v8, v5
	s_delay_alu instid0(VALU_DEP_1) | instskip(SKIP_3) | instid1(VALU_DEP_1)
	v_cndmask_b32_e64 v4, v7, v4, s0
	v_cndmask_b32_e64 v3, v6, v3, s0
	;; [unrolled: 1-line block ×4, first 2 shown]
	v_cmp_ge_u64_e64 s0, v[1:2], v[3:4]
	s_delay_alu instid0(VALU_DEP_1) | instskip(NEXT) | instid1(SALU_CYCLE_1)
	s_or_b32 s4, s0, s4
	s_and_not1_b32 exec_lo, exec_lo, s4
	s_cbranch_execnz .LBB436_17
; %bb.18:
	s_set_inst_prefetch_distance 0x2
	s_or_b32 exec_lo, exec_lo, s4
.LBB436_19:
	v_mov_b32_e32 v3, 0
	s_mov_b32 s4, exec_lo
	v_cmpx_ne_u64_e64 s[8:9], v[1:2]
	s_cbranch_execz .LBB436_21
; %bb.20:
	v_lshlrev_b64 v[1:2], 2, v[1:2]
	s_delay_alu instid0(VALU_DEP_1) | instskip(NEXT) | instid1(VALU_DEP_1)
	v_add_co_u32 v1, s0, s6, v1
	v_add_co_ci_u32_e64 v2, s0, s7, v2, s0
	global_load_b32 v1, v[1:2], off
	s_waitcnt vmcnt(0) lgkmcnt(0)
	v_cmp_ngt_f32_e64 s0, v1, v5
	s_delay_alu instid0(VALU_DEP_1)
	v_cndmask_b32_e64 v3, 0, 1, s0
.LBB436_21:
	s_or_b32 exec_lo, exec_lo, s4
	s_delay_alu instid0(SALU_CYCLE_1)
	s_or_b32 exec_lo, exec_lo, s1
	s_and_saveexec_b32 s0, vcc_lo
	s_cbranch_execnz .LBB436_12
	s_branch .LBB436_13
	.section	.rodata,"a",@progbits
	.p2align	6, 0x0
	.amdhsa_kernel _ZN7rocprim17ROCPRIM_400000_NS6detail17trampoline_kernelINS0_14default_configENS1_29binary_search_config_selectorIfiEEZNS1_14transform_implILb0ES3_S5_N6thrust23THRUST_200600_302600_NS6detail15normal_iteratorINS8_10device_ptrIfEEEENSA_INSB_IiEEEEZNS1_13binary_searchIS3_S5_SD_SD_SF_NS1_16binary_search_opENS9_16wrapped_functionINS0_4lessIvEEbEEEE10hipError_tPvRmT1_T2_T3_mmT4_T5_P12ihipStream_tbEUlRKfE_EESM_SQ_SR_mSS_SV_bEUlT_E_NS1_11comp_targetILNS1_3genE9ELNS1_11target_archE1100ELNS1_3gpuE3ELNS1_3repE0EEENS1_30default_config_static_selectorELNS0_4arch9wavefront6targetE0EEEvSP_
		.amdhsa_group_segment_fixed_size 0
		.amdhsa_private_segment_fixed_size 0
		.amdhsa_kernarg_size 312
		.amdhsa_user_sgpr_count 15
		.amdhsa_user_sgpr_dispatch_ptr 0
		.amdhsa_user_sgpr_queue_ptr 0
		.amdhsa_user_sgpr_kernarg_segment_ptr 1
		.amdhsa_user_sgpr_dispatch_id 0
		.amdhsa_user_sgpr_private_segment_size 0
		.amdhsa_wavefront_size32 1
		.amdhsa_uses_dynamic_stack 0
		.amdhsa_enable_private_segment 0
		.amdhsa_system_sgpr_workgroup_id_x 1
		.amdhsa_system_sgpr_workgroup_id_y 0
		.amdhsa_system_sgpr_workgroup_id_z 0
		.amdhsa_system_sgpr_workgroup_info 0
		.amdhsa_system_vgpr_workitem_id 0
		.amdhsa_next_free_vgpr 12
		.amdhsa_next_free_sgpr 20
		.amdhsa_reserve_vcc 1
		.amdhsa_float_round_mode_32 0
		.amdhsa_float_round_mode_16_64 0
		.amdhsa_float_denorm_mode_32 3
		.amdhsa_float_denorm_mode_16_64 3
		.amdhsa_dx10_clamp 1
		.amdhsa_ieee_mode 1
		.amdhsa_fp16_overflow 0
		.amdhsa_workgroup_processor_mode 1
		.amdhsa_memory_ordered 1
		.amdhsa_forward_progress 0
		.amdhsa_shared_vgpr_count 0
		.amdhsa_exception_fp_ieee_invalid_op 0
		.amdhsa_exception_fp_denorm_src 0
		.amdhsa_exception_fp_ieee_div_zero 0
		.amdhsa_exception_fp_ieee_overflow 0
		.amdhsa_exception_fp_ieee_underflow 0
		.amdhsa_exception_fp_ieee_inexact 0
		.amdhsa_exception_int_div_zero 0
	.end_amdhsa_kernel
	.section	.text._ZN7rocprim17ROCPRIM_400000_NS6detail17trampoline_kernelINS0_14default_configENS1_29binary_search_config_selectorIfiEEZNS1_14transform_implILb0ES3_S5_N6thrust23THRUST_200600_302600_NS6detail15normal_iteratorINS8_10device_ptrIfEEEENSA_INSB_IiEEEEZNS1_13binary_searchIS3_S5_SD_SD_SF_NS1_16binary_search_opENS9_16wrapped_functionINS0_4lessIvEEbEEEE10hipError_tPvRmT1_T2_T3_mmT4_T5_P12ihipStream_tbEUlRKfE_EESM_SQ_SR_mSS_SV_bEUlT_E_NS1_11comp_targetILNS1_3genE9ELNS1_11target_archE1100ELNS1_3gpuE3ELNS1_3repE0EEENS1_30default_config_static_selectorELNS0_4arch9wavefront6targetE0EEEvSP_,"axG",@progbits,_ZN7rocprim17ROCPRIM_400000_NS6detail17trampoline_kernelINS0_14default_configENS1_29binary_search_config_selectorIfiEEZNS1_14transform_implILb0ES3_S5_N6thrust23THRUST_200600_302600_NS6detail15normal_iteratorINS8_10device_ptrIfEEEENSA_INSB_IiEEEEZNS1_13binary_searchIS3_S5_SD_SD_SF_NS1_16binary_search_opENS9_16wrapped_functionINS0_4lessIvEEbEEEE10hipError_tPvRmT1_T2_T3_mmT4_T5_P12ihipStream_tbEUlRKfE_EESM_SQ_SR_mSS_SV_bEUlT_E_NS1_11comp_targetILNS1_3genE9ELNS1_11target_archE1100ELNS1_3gpuE3ELNS1_3repE0EEENS1_30default_config_static_selectorELNS0_4arch9wavefront6targetE0EEEvSP_,comdat
.Lfunc_end436:
	.size	_ZN7rocprim17ROCPRIM_400000_NS6detail17trampoline_kernelINS0_14default_configENS1_29binary_search_config_selectorIfiEEZNS1_14transform_implILb0ES3_S5_N6thrust23THRUST_200600_302600_NS6detail15normal_iteratorINS8_10device_ptrIfEEEENSA_INSB_IiEEEEZNS1_13binary_searchIS3_S5_SD_SD_SF_NS1_16binary_search_opENS9_16wrapped_functionINS0_4lessIvEEbEEEE10hipError_tPvRmT1_T2_T3_mmT4_T5_P12ihipStream_tbEUlRKfE_EESM_SQ_SR_mSS_SV_bEUlT_E_NS1_11comp_targetILNS1_3genE9ELNS1_11target_archE1100ELNS1_3gpuE3ELNS1_3repE0EEENS1_30default_config_static_selectorELNS0_4arch9wavefront6targetE0EEEvSP_, .Lfunc_end436-_ZN7rocprim17ROCPRIM_400000_NS6detail17trampoline_kernelINS0_14default_configENS1_29binary_search_config_selectorIfiEEZNS1_14transform_implILb0ES3_S5_N6thrust23THRUST_200600_302600_NS6detail15normal_iteratorINS8_10device_ptrIfEEEENSA_INSB_IiEEEEZNS1_13binary_searchIS3_S5_SD_SD_SF_NS1_16binary_search_opENS9_16wrapped_functionINS0_4lessIvEEbEEEE10hipError_tPvRmT1_T2_T3_mmT4_T5_P12ihipStream_tbEUlRKfE_EESM_SQ_SR_mSS_SV_bEUlT_E_NS1_11comp_targetILNS1_3genE9ELNS1_11target_archE1100ELNS1_3gpuE3ELNS1_3repE0EEENS1_30default_config_static_selectorELNS0_4arch9wavefront6targetE0EEEvSP_
                                        ; -- End function
	.section	.AMDGPU.csdata,"",@progbits
; Kernel info:
; codeLenInByte = 988
; NumSgprs: 22
; NumVgprs: 12
; ScratchSize: 0
; MemoryBound: 0
; FloatMode: 240
; IeeeMode: 1
; LDSByteSize: 0 bytes/workgroup (compile time only)
; SGPRBlocks: 2
; VGPRBlocks: 1
; NumSGPRsForWavesPerEU: 22
; NumVGPRsForWavesPerEU: 12
; Occupancy: 16
; WaveLimiterHint : 0
; COMPUTE_PGM_RSRC2:SCRATCH_EN: 0
; COMPUTE_PGM_RSRC2:USER_SGPR: 15
; COMPUTE_PGM_RSRC2:TRAP_HANDLER: 0
; COMPUTE_PGM_RSRC2:TGID_X_EN: 1
; COMPUTE_PGM_RSRC2:TGID_Y_EN: 0
; COMPUTE_PGM_RSRC2:TGID_Z_EN: 0
; COMPUTE_PGM_RSRC2:TIDIG_COMP_CNT: 0
	.section	.text._ZN7rocprim17ROCPRIM_400000_NS6detail17trampoline_kernelINS0_14default_configENS1_29binary_search_config_selectorIfiEEZNS1_14transform_implILb0ES3_S5_N6thrust23THRUST_200600_302600_NS6detail15normal_iteratorINS8_10device_ptrIfEEEENSA_INSB_IiEEEEZNS1_13binary_searchIS3_S5_SD_SD_SF_NS1_16binary_search_opENS9_16wrapped_functionINS0_4lessIvEEbEEEE10hipError_tPvRmT1_T2_T3_mmT4_T5_P12ihipStream_tbEUlRKfE_EESM_SQ_SR_mSS_SV_bEUlT_E_NS1_11comp_targetILNS1_3genE8ELNS1_11target_archE1030ELNS1_3gpuE2ELNS1_3repE0EEENS1_30default_config_static_selectorELNS0_4arch9wavefront6targetE0EEEvSP_,"axG",@progbits,_ZN7rocprim17ROCPRIM_400000_NS6detail17trampoline_kernelINS0_14default_configENS1_29binary_search_config_selectorIfiEEZNS1_14transform_implILb0ES3_S5_N6thrust23THRUST_200600_302600_NS6detail15normal_iteratorINS8_10device_ptrIfEEEENSA_INSB_IiEEEEZNS1_13binary_searchIS3_S5_SD_SD_SF_NS1_16binary_search_opENS9_16wrapped_functionINS0_4lessIvEEbEEEE10hipError_tPvRmT1_T2_T3_mmT4_T5_P12ihipStream_tbEUlRKfE_EESM_SQ_SR_mSS_SV_bEUlT_E_NS1_11comp_targetILNS1_3genE8ELNS1_11target_archE1030ELNS1_3gpuE2ELNS1_3repE0EEENS1_30default_config_static_selectorELNS0_4arch9wavefront6targetE0EEEvSP_,comdat
	.protected	_ZN7rocprim17ROCPRIM_400000_NS6detail17trampoline_kernelINS0_14default_configENS1_29binary_search_config_selectorIfiEEZNS1_14transform_implILb0ES3_S5_N6thrust23THRUST_200600_302600_NS6detail15normal_iteratorINS8_10device_ptrIfEEEENSA_INSB_IiEEEEZNS1_13binary_searchIS3_S5_SD_SD_SF_NS1_16binary_search_opENS9_16wrapped_functionINS0_4lessIvEEbEEEE10hipError_tPvRmT1_T2_T3_mmT4_T5_P12ihipStream_tbEUlRKfE_EESM_SQ_SR_mSS_SV_bEUlT_E_NS1_11comp_targetILNS1_3genE8ELNS1_11target_archE1030ELNS1_3gpuE2ELNS1_3repE0EEENS1_30default_config_static_selectorELNS0_4arch9wavefront6targetE0EEEvSP_ ; -- Begin function _ZN7rocprim17ROCPRIM_400000_NS6detail17trampoline_kernelINS0_14default_configENS1_29binary_search_config_selectorIfiEEZNS1_14transform_implILb0ES3_S5_N6thrust23THRUST_200600_302600_NS6detail15normal_iteratorINS8_10device_ptrIfEEEENSA_INSB_IiEEEEZNS1_13binary_searchIS3_S5_SD_SD_SF_NS1_16binary_search_opENS9_16wrapped_functionINS0_4lessIvEEbEEEE10hipError_tPvRmT1_T2_T3_mmT4_T5_P12ihipStream_tbEUlRKfE_EESM_SQ_SR_mSS_SV_bEUlT_E_NS1_11comp_targetILNS1_3genE8ELNS1_11target_archE1030ELNS1_3gpuE2ELNS1_3repE0EEENS1_30default_config_static_selectorELNS0_4arch9wavefront6targetE0EEEvSP_
	.globl	_ZN7rocprim17ROCPRIM_400000_NS6detail17trampoline_kernelINS0_14default_configENS1_29binary_search_config_selectorIfiEEZNS1_14transform_implILb0ES3_S5_N6thrust23THRUST_200600_302600_NS6detail15normal_iteratorINS8_10device_ptrIfEEEENSA_INSB_IiEEEEZNS1_13binary_searchIS3_S5_SD_SD_SF_NS1_16binary_search_opENS9_16wrapped_functionINS0_4lessIvEEbEEEE10hipError_tPvRmT1_T2_T3_mmT4_T5_P12ihipStream_tbEUlRKfE_EESM_SQ_SR_mSS_SV_bEUlT_E_NS1_11comp_targetILNS1_3genE8ELNS1_11target_archE1030ELNS1_3gpuE2ELNS1_3repE0EEENS1_30default_config_static_selectorELNS0_4arch9wavefront6targetE0EEEvSP_
	.p2align	8
	.type	_ZN7rocprim17ROCPRIM_400000_NS6detail17trampoline_kernelINS0_14default_configENS1_29binary_search_config_selectorIfiEEZNS1_14transform_implILb0ES3_S5_N6thrust23THRUST_200600_302600_NS6detail15normal_iteratorINS8_10device_ptrIfEEEENSA_INSB_IiEEEEZNS1_13binary_searchIS3_S5_SD_SD_SF_NS1_16binary_search_opENS9_16wrapped_functionINS0_4lessIvEEbEEEE10hipError_tPvRmT1_T2_T3_mmT4_T5_P12ihipStream_tbEUlRKfE_EESM_SQ_SR_mSS_SV_bEUlT_E_NS1_11comp_targetILNS1_3genE8ELNS1_11target_archE1030ELNS1_3gpuE2ELNS1_3repE0EEENS1_30default_config_static_selectorELNS0_4arch9wavefront6targetE0EEEvSP_,@function
_ZN7rocprim17ROCPRIM_400000_NS6detail17trampoline_kernelINS0_14default_configENS1_29binary_search_config_selectorIfiEEZNS1_14transform_implILb0ES3_S5_N6thrust23THRUST_200600_302600_NS6detail15normal_iteratorINS8_10device_ptrIfEEEENSA_INSB_IiEEEEZNS1_13binary_searchIS3_S5_SD_SD_SF_NS1_16binary_search_opENS9_16wrapped_functionINS0_4lessIvEEbEEEE10hipError_tPvRmT1_T2_T3_mmT4_T5_P12ihipStream_tbEUlRKfE_EESM_SQ_SR_mSS_SV_bEUlT_E_NS1_11comp_targetILNS1_3genE8ELNS1_11target_archE1030ELNS1_3gpuE2ELNS1_3repE0EEENS1_30default_config_static_selectorELNS0_4arch9wavefront6targetE0EEEvSP_: ; @_ZN7rocprim17ROCPRIM_400000_NS6detail17trampoline_kernelINS0_14default_configENS1_29binary_search_config_selectorIfiEEZNS1_14transform_implILb0ES3_S5_N6thrust23THRUST_200600_302600_NS6detail15normal_iteratorINS8_10device_ptrIfEEEENSA_INSB_IiEEEEZNS1_13binary_searchIS3_S5_SD_SD_SF_NS1_16binary_search_opENS9_16wrapped_functionINS0_4lessIvEEbEEEE10hipError_tPvRmT1_T2_T3_mmT4_T5_P12ihipStream_tbEUlRKfE_EESM_SQ_SR_mSS_SV_bEUlT_E_NS1_11comp_targetILNS1_3genE8ELNS1_11target_archE1030ELNS1_3gpuE2ELNS1_3repE0EEENS1_30default_config_static_selectorELNS0_4arch9wavefront6targetE0EEEvSP_
; %bb.0:
	.section	.rodata,"a",@progbits
	.p2align	6, 0x0
	.amdhsa_kernel _ZN7rocprim17ROCPRIM_400000_NS6detail17trampoline_kernelINS0_14default_configENS1_29binary_search_config_selectorIfiEEZNS1_14transform_implILb0ES3_S5_N6thrust23THRUST_200600_302600_NS6detail15normal_iteratorINS8_10device_ptrIfEEEENSA_INSB_IiEEEEZNS1_13binary_searchIS3_S5_SD_SD_SF_NS1_16binary_search_opENS9_16wrapped_functionINS0_4lessIvEEbEEEE10hipError_tPvRmT1_T2_T3_mmT4_T5_P12ihipStream_tbEUlRKfE_EESM_SQ_SR_mSS_SV_bEUlT_E_NS1_11comp_targetILNS1_3genE8ELNS1_11target_archE1030ELNS1_3gpuE2ELNS1_3repE0EEENS1_30default_config_static_selectorELNS0_4arch9wavefront6targetE0EEEvSP_
		.amdhsa_group_segment_fixed_size 0
		.amdhsa_private_segment_fixed_size 0
		.amdhsa_kernarg_size 56
		.amdhsa_user_sgpr_count 15
		.amdhsa_user_sgpr_dispatch_ptr 0
		.amdhsa_user_sgpr_queue_ptr 0
		.amdhsa_user_sgpr_kernarg_segment_ptr 1
		.amdhsa_user_sgpr_dispatch_id 0
		.amdhsa_user_sgpr_private_segment_size 0
		.amdhsa_wavefront_size32 1
		.amdhsa_uses_dynamic_stack 0
		.amdhsa_enable_private_segment 0
		.amdhsa_system_sgpr_workgroup_id_x 1
		.amdhsa_system_sgpr_workgroup_id_y 0
		.amdhsa_system_sgpr_workgroup_id_z 0
		.amdhsa_system_sgpr_workgroup_info 0
		.amdhsa_system_vgpr_workitem_id 0
		.amdhsa_next_free_vgpr 1
		.amdhsa_next_free_sgpr 1
		.amdhsa_reserve_vcc 0
		.amdhsa_float_round_mode_32 0
		.amdhsa_float_round_mode_16_64 0
		.amdhsa_float_denorm_mode_32 3
		.amdhsa_float_denorm_mode_16_64 3
		.amdhsa_dx10_clamp 1
		.amdhsa_ieee_mode 1
		.amdhsa_fp16_overflow 0
		.amdhsa_workgroup_processor_mode 1
		.amdhsa_memory_ordered 1
		.amdhsa_forward_progress 0
		.amdhsa_shared_vgpr_count 0
		.amdhsa_exception_fp_ieee_invalid_op 0
		.amdhsa_exception_fp_denorm_src 0
		.amdhsa_exception_fp_ieee_div_zero 0
		.amdhsa_exception_fp_ieee_overflow 0
		.amdhsa_exception_fp_ieee_underflow 0
		.amdhsa_exception_fp_ieee_inexact 0
		.amdhsa_exception_int_div_zero 0
	.end_amdhsa_kernel
	.section	.text._ZN7rocprim17ROCPRIM_400000_NS6detail17trampoline_kernelINS0_14default_configENS1_29binary_search_config_selectorIfiEEZNS1_14transform_implILb0ES3_S5_N6thrust23THRUST_200600_302600_NS6detail15normal_iteratorINS8_10device_ptrIfEEEENSA_INSB_IiEEEEZNS1_13binary_searchIS3_S5_SD_SD_SF_NS1_16binary_search_opENS9_16wrapped_functionINS0_4lessIvEEbEEEE10hipError_tPvRmT1_T2_T3_mmT4_T5_P12ihipStream_tbEUlRKfE_EESM_SQ_SR_mSS_SV_bEUlT_E_NS1_11comp_targetILNS1_3genE8ELNS1_11target_archE1030ELNS1_3gpuE2ELNS1_3repE0EEENS1_30default_config_static_selectorELNS0_4arch9wavefront6targetE0EEEvSP_,"axG",@progbits,_ZN7rocprim17ROCPRIM_400000_NS6detail17trampoline_kernelINS0_14default_configENS1_29binary_search_config_selectorIfiEEZNS1_14transform_implILb0ES3_S5_N6thrust23THRUST_200600_302600_NS6detail15normal_iteratorINS8_10device_ptrIfEEEENSA_INSB_IiEEEEZNS1_13binary_searchIS3_S5_SD_SD_SF_NS1_16binary_search_opENS9_16wrapped_functionINS0_4lessIvEEbEEEE10hipError_tPvRmT1_T2_T3_mmT4_T5_P12ihipStream_tbEUlRKfE_EESM_SQ_SR_mSS_SV_bEUlT_E_NS1_11comp_targetILNS1_3genE8ELNS1_11target_archE1030ELNS1_3gpuE2ELNS1_3repE0EEENS1_30default_config_static_selectorELNS0_4arch9wavefront6targetE0EEEvSP_,comdat
.Lfunc_end437:
	.size	_ZN7rocprim17ROCPRIM_400000_NS6detail17trampoline_kernelINS0_14default_configENS1_29binary_search_config_selectorIfiEEZNS1_14transform_implILb0ES3_S5_N6thrust23THRUST_200600_302600_NS6detail15normal_iteratorINS8_10device_ptrIfEEEENSA_INSB_IiEEEEZNS1_13binary_searchIS3_S5_SD_SD_SF_NS1_16binary_search_opENS9_16wrapped_functionINS0_4lessIvEEbEEEE10hipError_tPvRmT1_T2_T3_mmT4_T5_P12ihipStream_tbEUlRKfE_EESM_SQ_SR_mSS_SV_bEUlT_E_NS1_11comp_targetILNS1_3genE8ELNS1_11target_archE1030ELNS1_3gpuE2ELNS1_3repE0EEENS1_30default_config_static_selectorELNS0_4arch9wavefront6targetE0EEEvSP_, .Lfunc_end437-_ZN7rocprim17ROCPRIM_400000_NS6detail17trampoline_kernelINS0_14default_configENS1_29binary_search_config_selectorIfiEEZNS1_14transform_implILb0ES3_S5_N6thrust23THRUST_200600_302600_NS6detail15normal_iteratorINS8_10device_ptrIfEEEENSA_INSB_IiEEEEZNS1_13binary_searchIS3_S5_SD_SD_SF_NS1_16binary_search_opENS9_16wrapped_functionINS0_4lessIvEEbEEEE10hipError_tPvRmT1_T2_T3_mmT4_T5_P12ihipStream_tbEUlRKfE_EESM_SQ_SR_mSS_SV_bEUlT_E_NS1_11comp_targetILNS1_3genE8ELNS1_11target_archE1030ELNS1_3gpuE2ELNS1_3repE0EEENS1_30default_config_static_selectorELNS0_4arch9wavefront6targetE0EEEvSP_
                                        ; -- End function
	.section	.AMDGPU.csdata,"",@progbits
; Kernel info:
; codeLenInByte = 0
; NumSgprs: 0
; NumVgprs: 0
; ScratchSize: 0
; MemoryBound: 0
; FloatMode: 240
; IeeeMode: 1
; LDSByteSize: 0 bytes/workgroup (compile time only)
; SGPRBlocks: 0
; VGPRBlocks: 0
; NumSGPRsForWavesPerEU: 1
; NumVGPRsForWavesPerEU: 1
; Occupancy: 16
; WaveLimiterHint : 0
; COMPUTE_PGM_RSRC2:SCRATCH_EN: 0
; COMPUTE_PGM_RSRC2:USER_SGPR: 15
; COMPUTE_PGM_RSRC2:TRAP_HANDLER: 0
; COMPUTE_PGM_RSRC2:TGID_X_EN: 1
; COMPUTE_PGM_RSRC2:TGID_Y_EN: 0
; COMPUTE_PGM_RSRC2:TGID_Z_EN: 0
; COMPUTE_PGM_RSRC2:TIDIG_COMP_CNT: 0
	.section	.text._ZN7rocprim17ROCPRIM_400000_NS6detail17trampoline_kernelINS0_14default_configENS1_29binary_search_config_selectorIybEEZNS1_14transform_implILb0ES3_S5_N6thrust23THRUST_200600_302600_NS6detail15normal_iteratorINS8_10device_ptrIyEEEENSA_INSB_IbEEEEZNS1_13binary_searchIS3_S5_SD_SD_SF_NS1_16binary_search_opENS9_16wrapped_functionINS0_4lessIvEEbEEEE10hipError_tPvRmT1_T2_T3_mmT4_T5_P12ihipStream_tbEUlRKyE_EESM_SQ_SR_mSS_SV_bEUlT_E_NS1_11comp_targetILNS1_3genE0ELNS1_11target_archE4294967295ELNS1_3gpuE0ELNS1_3repE0EEENS1_30default_config_static_selectorELNS0_4arch9wavefront6targetE0EEEvSP_,"axG",@progbits,_ZN7rocprim17ROCPRIM_400000_NS6detail17trampoline_kernelINS0_14default_configENS1_29binary_search_config_selectorIybEEZNS1_14transform_implILb0ES3_S5_N6thrust23THRUST_200600_302600_NS6detail15normal_iteratorINS8_10device_ptrIyEEEENSA_INSB_IbEEEEZNS1_13binary_searchIS3_S5_SD_SD_SF_NS1_16binary_search_opENS9_16wrapped_functionINS0_4lessIvEEbEEEE10hipError_tPvRmT1_T2_T3_mmT4_T5_P12ihipStream_tbEUlRKyE_EESM_SQ_SR_mSS_SV_bEUlT_E_NS1_11comp_targetILNS1_3genE0ELNS1_11target_archE4294967295ELNS1_3gpuE0ELNS1_3repE0EEENS1_30default_config_static_selectorELNS0_4arch9wavefront6targetE0EEEvSP_,comdat
	.protected	_ZN7rocprim17ROCPRIM_400000_NS6detail17trampoline_kernelINS0_14default_configENS1_29binary_search_config_selectorIybEEZNS1_14transform_implILb0ES3_S5_N6thrust23THRUST_200600_302600_NS6detail15normal_iteratorINS8_10device_ptrIyEEEENSA_INSB_IbEEEEZNS1_13binary_searchIS3_S5_SD_SD_SF_NS1_16binary_search_opENS9_16wrapped_functionINS0_4lessIvEEbEEEE10hipError_tPvRmT1_T2_T3_mmT4_T5_P12ihipStream_tbEUlRKyE_EESM_SQ_SR_mSS_SV_bEUlT_E_NS1_11comp_targetILNS1_3genE0ELNS1_11target_archE4294967295ELNS1_3gpuE0ELNS1_3repE0EEENS1_30default_config_static_selectorELNS0_4arch9wavefront6targetE0EEEvSP_ ; -- Begin function _ZN7rocprim17ROCPRIM_400000_NS6detail17trampoline_kernelINS0_14default_configENS1_29binary_search_config_selectorIybEEZNS1_14transform_implILb0ES3_S5_N6thrust23THRUST_200600_302600_NS6detail15normal_iteratorINS8_10device_ptrIyEEEENSA_INSB_IbEEEEZNS1_13binary_searchIS3_S5_SD_SD_SF_NS1_16binary_search_opENS9_16wrapped_functionINS0_4lessIvEEbEEEE10hipError_tPvRmT1_T2_T3_mmT4_T5_P12ihipStream_tbEUlRKyE_EESM_SQ_SR_mSS_SV_bEUlT_E_NS1_11comp_targetILNS1_3genE0ELNS1_11target_archE4294967295ELNS1_3gpuE0ELNS1_3repE0EEENS1_30default_config_static_selectorELNS0_4arch9wavefront6targetE0EEEvSP_
	.globl	_ZN7rocprim17ROCPRIM_400000_NS6detail17trampoline_kernelINS0_14default_configENS1_29binary_search_config_selectorIybEEZNS1_14transform_implILb0ES3_S5_N6thrust23THRUST_200600_302600_NS6detail15normal_iteratorINS8_10device_ptrIyEEEENSA_INSB_IbEEEEZNS1_13binary_searchIS3_S5_SD_SD_SF_NS1_16binary_search_opENS9_16wrapped_functionINS0_4lessIvEEbEEEE10hipError_tPvRmT1_T2_T3_mmT4_T5_P12ihipStream_tbEUlRKyE_EESM_SQ_SR_mSS_SV_bEUlT_E_NS1_11comp_targetILNS1_3genE0ELNS1_11target_archE4294967295ELNS1_3gpuE0ELNS1_3repE0EEENS1_30default_config_static_selectorELNS0_4arch9wavefront6targetE0EEEvSP_
	.p2align	8
	.type	_ZN7rocprim17ROCPRIM_400000_NS6detail17trampoline_kernelINS0_14default_configENS1_29binary_search_config_selectorIybEEZNS1_14transform_implILb0ES3_S5_N6thrust23THRUST_200600_302600_NS6detail15normal_iteratorINS8_10device_ptrIyEEEENSA_INSB_IbEEEEZNS1_13binary_searchIS3_S5_SD_SD_SF_NS1_16binary_search_opENS9_16wrapped_functionINS0_4lessIvEEbEEEE10hipError_tPvRmT1_T2_T3_mmT4_T5_P12ihipStream_tbEUlRKyE_EESM_SQ_SR_mSS_SV_bEUlT_E_NS1_11comp_targetILNS1_3genE0ELNS1_11target_archE4294967295ELNS1_3gpuE0ELNS1_3repE0EEENS1_30default_config_static_selectorELNS0_4arch9wavefront6targetE0EEEvSP_,@function
_ZN7rocprim17ROCPRIM_400000_NS6detail17trampoline_kernelINS0_14default_configENS1_29binary_search_config_selectorIybEEZNS1_14transform_implILb0ES3_S5_N6thrust23THRUST_200600_302600_NS6detail15normal_iteratorINS8_10device_ptrIyEEEENSA_INSB_IbEEEEZNS1_13binary_searchIS3_S5_SD_SD_SF_NS1_16binary_search_opENS9_16wrapped_functionINS0_4lessIvEEbEEEE10hipError_tPvRmT1_T2_T3_mmT4_T5_P12ihipStream_tbEUlRKyE_EESM_SQ_SR_mSS_SV_bEUlT_E_NS1_11comp_targetILNS1_3genE0ELNS1_11target_archE4294967295ELNS1_3gpuE0ELNS1_3repE0EEENS1_30default_config_static_selectorELNS0_4arch9wavefront6targetE0EEEvSP_: ; @_ZN7rocprim17ROCPRIM_400000_NS6detail17trampoline_kernelINS0_14default_configENS1_29binary_search_config_selectorIybEEZNS1_14transform_implILb0ES3_S5_N6thrust23THRUST_200600_302600_NS6detail15normal_iteratorINS8_10device_ptrIyEEEENSA_INSB_IbEEEEZNS1_13binary_searchIS3_S5_SD_SD_SF_NS1_16binary_search_opENS9_16wrapped_functionINS0_4lessIvEEbEEEE10hipError_tPvRmT1_T2_T3_mmT4_T5_P12ihipStream_tbEUlRKyE_EESM_SQ_SR_mSS_SV_bEUlT_E_NS1_11comp_targetILNS1_3genE0ELNS1_11target_archE4294967295ELNS1_3gpuE0ELNS1_3repE0EEENS1_30default_config_static_selectorELNS0_4arch9wavefront6targetE0EEEvSP_
; %bb.0:
	.section	.rodata,"a",@progbits
	.p2align	6, 0x0
	.amdhsa_kernel _ZN7rocprim17ROCPRIM_400000_NS6detail17trampoline_kernelINS0_14default_configENS1_29binary_search_config_selectorIybEEZNS1_14transform_implILb0ES3_S5_N6thrust23THRUST_200600_302600_NS6detail15normal_iteratorINS8_10device_ptrIyEEEENSA_INSB_IbEEEEZNS1_13binary_searchIS3_S5_SD_SD_SF_NS1_16binary_search_opENS9_16wrapped_functionINS0_4lessIvEEbEEEE10hipError_tPvRmT1_T2_T3_mmT4_T5_P12ihipStream_tbEUlRKyE_EESM_SQ_SR_mSS_SV_bEUlT_E_NS1_11comp_targetILNS1_3genE0ELNS1_11target_archE4294967295ELNS1_3gpuE0ELNS1_3repE0EEENS1_30default_config_static_selectorELNS0_4arch9wavefront6targetE0EEEvSP_
		.amdhsa_group_segment_fixed_size 0
		.amdhsa_private_segment_fixed_size 0
		.amdhsa_kernarg_size 56
		.amdhsa_user_sgpr_count 15
		.amdhsa_user_sgpr_dispatch_ptr 0
		.amdhsa_user_sgpr_queue_ptr 0
		.amdhsa_user_sgpr_kernarg_segment_ptr 1
		.amdhsa_user_sgpr_dispatch_id 0
		.amdhsa_user_sgpr_private_segment_size 0
		.amdhsa_wavefront_size32 1
		.amdhsa_uses_dynamic_stack 0
		.amdhsa_enable_private_segment 0
		.amdhsa_system_sgpr_workgroup_id_x 1
		.amdhsa_system_sgpr_workgroup_id_y 0
		.amdhsa_system_sgpr_workgroup_id_z 0
		.amdhsa_system_sgpr_workgroup_info 0
		.amdhsa_system_vgpr_workitem_id 0
		.amdhsa_next_free_vgpr 1
		.amdhsa_next_free_sgpr 1
		.amdhsa_reserve_vcc 0
		.amdhsa_float_round_mode_32 0
		.amdhsa_float_round_mode_16_64 0
		.amdhsa_float_denorm_mode_32 3
		.amdhsa_float_denorm_mode_16_64 3
		.amdhsa_dx10_clamp 1
		.amdhsa_ieee_mode 1
		.amdhsa_fp16_overflow 0
		.amdhsa_workgroup_processor_mode 1
		.amdhsa_memory_ordered 1
		.amdhsa_forward_progress 0
		.amdhsa_shared_vgpr_count 0
		.amdhsa_exception_fp_ieee_invalid_op 0
		.amdhsa_exception_fp_denorm_src 0
		.amdhsa_exception_fp_ieee_div_zero 0
		.amdhsa_exception_fp_ieee_overflow 0
		.amdhsa_exception_fp_ieee_underflow 0
		.amdhsa_exception_fp_ieee_inexact 0
		.amdhsa_exception_int_div_zero 0
	.end_amdhsa_kernel
	.section	.text._ZN7rocprim17ROCPRIM_400000_NS6detail17trampoline_kernelINS0_14default_configENS1_29binary_search_config_selectorIybEEZNS1_14transform_implILb0ES3_S5_N6thrust23THRUST_200600_302600_NS6detail15normal_iteratorINS8_10device_ptrIyEEEENSA_INSB_IbEEEEZNS1_13binary_searchIS3_S5_SD_SD_SF_NS1_16binary_search_opENS9_16wrapped_functionINS0_4lessIvEEbEEEE10hipError_tPvRmT1_T2_T3_mmT4_T5_P12ihipStream_tbEUlRKyE_EESM_SQ_SR_mSS_SV_bEUlT_E_NS1_11comp_targetILNS1_3genE0ELNS1_11target_archE4294967295ELNS1_3gpuE0ELNS1_3repE0EEENS1_30default_config_static_selectorELNS0_4arch9wavefront6targetE0EEEvSP_,"axG",@progbits,_ZN7rocprim17ROCPRIM_400000_NS6detail17trampoline_kernelINS0_14default_configENS1_29binary_search_config_selectorIybEEZNS1_14transform_implILb0ES3_S5_N6thrust23THRUST_200600_302600_NS6detail15normal_iteratorINS8_10device_ptrIyEEEENSA_INSB_IbEEEEZNS1_13binary_searchIS3_S5_SD_SD_SF_NS1_16binary_search_opENS9_16wrapped_functionINS0_4lessIvEEbEEEE10hipError_tPvRmT1_T2_T3_mmT4_T5_P12ihipStream_tbEUlRKyE_EESM_SQ_SR_mSS_SV_bEUlT_E_NS1_11comp_targetILNS1_3genE0ELNS1_11target_archE4294967295ELNS1_3gpuE0ELNS1_3repE0EEENS1_30default_config_static_selectorELNS0_4arch9wavefront6targetE0EEEvSP_,comdat
.Lfunc_end438:
	.size	_ZN7rocprim17ROCPRIM_400000_NS6detail17trampoline_kernelINS0_14default_configENS1_29binary_search_config_selectorIybEEZNS1_14transform_implILb0ES3_S5_N6thrust23THRUST_200600_302600_NS6detail15normal_iteratorINS8_10device_ptrIyEEEENSA_INSB_IbEEEEZNS1_13binary_searchIS3_S5_SD_SD_SF_NS1_16binary_search_opENS9_16wrapped_functionINS0_4lessIvEEbEEEE10hipError_tPvRmT1_T2_T3_mmT4_T5_P12ihipStream_tbEUlRKyE_EESM_SQ_SR_mSS_SV_bEUlT_E_NS1_11comp_targetILNS1_3genE0ELNS1_11target_archE4294967295ELNS1_3gpuE0ELNS1_3repE0EEENS1_30default_config_static_selectorELNS0_4arch9wavefront6targetE0EEEvSP_, .Lfunc_end438-_ZN7rocprim17ROCPRIM_400000_NS6detail17trampoline_kernelINS0_14default_configENS1_29binary_search_config_selectorIybEEZNS1_14transform_implILb0ES3_S5_N6thrust23THRUST_200600_302600_NS6detail15normal_iteratorINS8_10device_ptrIyEEEENSA_INSB_IbEEEEZNS1_13binary_searchIS3_S5_SD_SD_SF_NS1_16binary_search_opENS9_16wrapped_functionINS0_4lessIvEEbEEEE10hipError_tPvRmT1_T2_T3_mmT4_T5_P12ihipStream_tbEUlRKyE_EESM_SQ_SR_mSS_SV_bEUlT_E_NS1_11comp_targetILNS1_3genE0ELNS1_11target_archE4294967295ELNS1_3gpuE0ELNS1_3repE0EEENS1_30default_config_static_selectorELNS0_4arch9wavefront6targetE0EEEvSP_
                                        ; -- End function
	.section	.AMDGPU.csdata,"",@progbits
; Kernel info:
; codeLenInByte = 0
; NumSgprs: 0
; NumVgprs: 0
; ScratchSize: 0
; MemoryBound: 0
; FloatMode: 240
; IeeeMode: 1
; LDSByteSize: 0 bytes/workgroup (compile time only)
; SGPRBlocks: 0
; VGPRBlocks: 0
; NumSGPRsForWavesPerEU: 1
; NumVGPRsForWavesPerEU: 1
; Occupancy: 16
; WaveLimiterHint : 0
; COMPUTE_PGM_RSRC2:SCRATCH_EN: 0
; COMPUTE_PGM_RSRC2:USER_SGPR: 15
; COMPUTE_PGM_RSRC2:TRAP_HANDLER: 0
; COMPUTE_PGM_RSRC2:TGID_X_EN: 1
; COMPUTE_PGM_RSRC2:TGID_Y_EN: 0
; COMPUTE_PGM_RSRC2:TGID_Z_EN: 0
; COMPUTE_PGM_RSRC2:TIDIG_COMP_CNT: 0
	.section	.text._ZN7rocprim17ROCPRIM_400000_NS6detail17trampoline_kernelINS0_14default_configENS1_29binary_search_config_selectorIybEEZNS1_14transform_implILb0ES3_S5_N6thrust23THRUST_200600_302600_NS6detail15normal_iteratorINS8_10device_ptrIyEEEENSA_INSB_IbEEEEZNS1_13binary_searchIS3_S5_SD_SD_SF_NS1_16binary_search_opENS9_16wrapped_functionINS0_4lessIvEEbEEEE10hipError_tPvRmT1_T2_T3_mmT4_T5_P12ihipStream_tbEUlRKyE_EESM_SQ_SR_mSS_SV_bEUlT_E_NS1_11comp_targetILNS1_3genE5ELNS1_11target_archE942ELNS1_3gpuE9ELNS1_3repE0EEENS1_30default_config_static_selectorELNS0_4arch9wavefront6targetE0EEEvSP_,"axG",@progbits,_ZN7rocprim17ROCPRIM_400000_NS6detail17trampoline_kernelINS0_14default_configENS1_29binary_search_config_selectorIybEEZNS1_14transform_implILb0ES3_S5_N6thrust23THRUST_200600_302600_NS6detail15normal_iteratorINS8_10device_ptrIyEEEENSA_INSB_IbEEEEZNS1_13binary_searchIS3_S5_SD_SD_SF_NS1_16binary_search_opENS9_16wrapped_functionINS0_4lessIvEEbEEEE10hipError_tPvRmT1_T2_T3_mmT4_T5_P12ihipStream_tbEUlRKyE_EESM_SQ_SR_mSS_SV_bEUlT_E_NS1_11comp_targetILNS1_3genE5ELNS1_11target_archE942ELNS1_3gpuE9ELNS1_3repE0EEENS1_30default_config_static_selectorELNS0_4arch9wavefront6targetE0EEEvSP_,comdat
	.protected	_ZN7rocprim17ROCPRIM_400000_NS6detail17trampoline_kernelINS0_14default_configENS1_29binary_search_config_selectorIybEEZNS1_14transform_implILb0ES3_S5_N6thrust23THRUST_200600_302600_NS6detail15normal_iteratorINS8_10device_ptrIyEEEENSA_INSB_IbEEEEZNS1_13binary_searchIS3_S5_SD_SD_SF_NS1_16binary_search_opENS9_16wrapped_functionINS0_4lessIvEEbEEEE10hipError_tPvRmT1_T2_T3_mmT4_T5_P12ihipStream_tbEUlRKyE_EESM_SQ_SR_mSS_SV_bEUlT_E_NS1_11comp_targetILNS1_3genE5ELNS1_11target_archE942ELNS1_3gpuE9ELNS1_3repE0EEENS1_30default_config_static_selectorELNS0_4arch9wavefront6targetE0EEEvSP_ ; -- Begin function _ZN7rocprim17ROCPRIM_400000_NS6detail17trampoline_kernelINS0_14default_configENS1_29binary_search_config_selectorIybEEZNS1_14transform_implILb0ES3_S5_N6thrust23THRUST_200600_302600_NS6detail15normal_iteratorINS8_10device_ptrIyEEEENSA_INSB_IbEEEEZNS1_13binary_searchIS3_S5_SD_SD_SF_NS1_16binary_search_opENS9_16wrapped_functionINS0_4lessIvEEbEEEE10hipError_tPvRmT1_T2_T3_mmT4_T5_P12ihipStream_tbEUlRKyE_EESM_SQ_SR_mSS_SV_bEUlT_E_NS1_11comp_targetILNS1_3genE5ELNS1_11target_archE942ELNS1_3gpuE9ELNS1_3repE0EEENS1_30default_config_static_selectorELNS0_4arch9wavefront6targetE0EEEvSP_
	.globl	_ZN7rocprim17ROCPRIM_400000_NS6detail17trampoline_kernelINS0_14default_configENS1_29binary_search_config_selectorIybEEZNS1_14transform_implILb0ES3_S5_N6thrust23THRUST_200600_302600_NS6detail15normal_iteratorINS8_10device_ptrIyEEEENSA_INSB_IbEEEEZNS1_13binary_searchIS3_S5_SD_SD_SF_NS1_16binary_search_opENS9_16wrapped_functionINS0_4lessIvEEbEEEE10hipError_tPvRmT1_T2_T3_mmT4_T5_P12ihipStream_tbEUlRKyE_EESM_SQ_SR_mSS_SV_bEUlT_E_NS1_11comp_targetILNS1_3genE5ELNS1_11target_archE942ELNS1_3gpuE9ELNS1_3repE0EEENS1_30default_config_static_selectorELNS0_4arch9wavefront6targetE0EEEvSP_
	.p2align	8
	.type	_ZN7rocprim17ROCPRIM_400000_NS6detail17trampoline_kernelINS0_14default_configENS1_29binary_search_config_selectorIybEEZNS1_14transform_implILb0ES3_S5_N6thrust23THRUST_200600_302600_NS6detail15normal_iteratorINS8_10device_ptrIyEEEENSA_INSB_IbEEEEZNS1_13binary_searchIS3_S5_SD_SD_SF_NS1_16binary_search_opENS9_16wrapped_functionINS0_4lessIvEEbEEEE10hipError_tPvRmT1_T2_T3_mmT4_T5_P12ihipStream_tbEUlRKyE_EESM_SQ_SR_mSS_SV_bEUlT_E_NS1_11comp_targetILNS1_3genE5ELNS1_11target_archE942ELNS1_3gpuE9ELNS1_3repE0EEENS1_30default_config_static_selectorELNS0_4arch9wavefront6targetE0EEEvSP_,@function
_ZN7rocprim17ROCPRIM_400000_NS6detail17trampoline_kernelINS0_14default_configENS1_29binary_search_config_selectorIybEEZNS1_14transform_implILb0ES3_S5_N6thrust23THRUST_200600_302600_NS6detail15normal_iteratorINS8_10device_ptrIyEEEENSA_INSB_IbEEEEZNS1_13binary_searchIS3_S5_SD_SD_SF_NS1_16binary_search_opENS9_16wrapped_functionINS0_4lessIvEEbEEEE10hipError_tPvRmT1_T2_T3_mmT4_T5_P12ihipStream_tbEUlRKyE_EESM_SQ_SR_mSS_SV_bEUlT_E_NS1_11comp_targetILNS1_3genE5ELNS1_11target_archE942ELNS1_3gpuE9ELNS1_3repE0EEENS1_30default_config_static_selectorELNS0_4arch9wavefront6targetE0EEEvSP_: ; @_ZN7rocprim17ROCPRIM_400000_NS6detail17trampoline_kernelINS0_14default_configENS1_29binary_search_config_selectorIybEEZNS1_14transform_implILb0ES3_S5_N6thrust23THRUST_200600_302600_NS6detail15normal_iteratorINS8_10device_ptrIyEEEENSA_INSB_IbEEEEZNS1_13binary_searchIS3_S5_SD_SD_SF_NS1_16binary_search_opENS9_16wrapped_functionINS0_4lessIvEEbEEEE10hipError_tPvRmT1_T2_T3_mmT4_T5_P12ihipStream_tbEUlRKyE_EESM_SQ_SR_mSS_SV_bEUlT_E_NS1_11comp_targetILNS1_3genE5ELNS1_11target_archE942ELNS1_3gpuE9ELNS1_3repE0EEENS1_30default_config_static_selectorELNS0_4arch9wavefront6targetE0EEEvSP_
; %bb.0:
	.section	.rodata,"a",@progbits
	.p2align	6, 0x0
	.amdhsa_kernel _ZN7rocprim17ROCPRIM_400000_NS6detail17trampoline_kernelINS0_14default_configENS1_29binary_search_config_selectorIybEEZNS1_14transform_implILb0ES3_S5_N6thrust23THRUST_200600_302600_NS6detail15normal_iteratorINS8_10device_ptrIyEEEENSA_INSB_IbEEEEZNS1_13binary_searchIS3_S5_SD_SD_SF_NS1_16binary_search_opENS9_16wrapped_functionINS0_4lessIvEEbEEEE10hipError_tPvRmT1_T2_T3_mmT4_T5_P12ihipStream_tbEUlRKyE_EESM_SQ_SR_mSS_SV_bEUlT_E_NS1_11comp_targetILNS1_3genE5ELNS1_11target_archE942ELNS1_3gpuE9ELNS1_3repE0EEENS1_30default_config_static_selectorELNS0_4arch9wavefront6targetE0EEEvSP_
		.amdhsa_group_segment_fixed_size 0
		.amdhsa_private_segment_fixed_size 0
		.amdhsa_kernarg_size 56
		.amdhsa_user_sgpr_count 15
		.amdhsa_user_sgpr_dispatch_ptr 0
		.amdhsa_user_sgpr_queue_ptr 0
		.amdhsa_user_sgpr_kernarg_segment_ptr 1
		.amdhsa_user_sgpr_dispatch_id 0
		.amdhsa_user_sgpr_private_segment_size 0
		.amdhsa_wavefront_size32 1
		.amdhsa_uses_dynamic_stack 0
		.amdhsa_enable_private_segment 0
		.amdhsa_system_sgpr_workgroup_id_x 1
		.amdhsa_system_sgpr_workgroup_id_y 0
		.amdhsa_system_sgpr_workgroup_id_z 0
		.amdhsa_system_sgpr_workgroup_info 0
		.amdhsa_system_vgpr_workitem_id 0
		.amdhsa_next_free_vgpr 1
		.amdhsa_next_free_sgpr 1
		.amdhsa_reserve_vcc 0
		.amdhsa_float_round_mode_32 0
		.amdhsa_float_round_mode_16_64 0
		.amdhsa_float_denorm_mode_32 3
		.amdhsa_float_denorm_mode_16_64 3
		.amdhsa_dx10_clamp 1
		.amdhsa_ieee_mode 1
		.amdhsa_fp16_overflow 0
		.amdhsa_workgroup_processor_mode 1
		.amdhsa_memory_ordered 1
		.amdhsa_forward_progress 0
		.amdhsa_shared_vgpr_count 0
		.amdhsa_exception_fp_ieee_invalid_op 0
		.amdhsa_exception_fp_denorm_src 0
		.amdhsa_exception_fp_ieee_div_zero 0
		.amdhsa_exception_fp_ieee_overflow 0
		.amdhsa_exception_fp_ieee_underflow 0
		.amdhsa_exception_fp_ieee_inexact 0
		.amdhsa_exception_int_div_zero 0
	.end_amdhsa_kernel
	.section	.text._ZN7rocprim17ROCPRIM_400000_NS6detail17trampoline_kernelINS0_14default_configENS1_29binary_search_config_selectorIybEEZNS1_14transform_implILb0ES3_S5_N6thrust23THRUST_200600_302600_NS6detail15normal_iteratorINS8_10device_ptrIyEEEENSA_INSB_IbEEEEZNS1_13binary_searchIS3_S5_SD_SD_SF_NS1_16binary_search_opENS9_16wrapped_functionINS0_4lessIvEEbEEEE10hipError_tPvRmT1_T2_T3_mmT4_T5_P12ihipStream_tbEUlRKyE_EESM_SQ_SR_mSS_SV_bEUlT_E_NS1_11comp_targetILNS1_3genE5ELNS1_11target_archE942ELNS1_3gpuE9ELNS1_3repE0EEENS1_30default_config_static_selectorELNS0_4arch9wavefront6targetE0EEEvSP_,"axG",@progbits,_ZN7rocprim17ROCPRIM_400000_NS6detail17trampoline_kernelINS0_14default_configENS1_29binary_search_config_selectorIybEEZNS1_14transform_implILb0ES3_S5_N6thrust23THRUST_200600_302600_NS6detail15normal_iteratorINS8_10device_ptrIyEEEENSA_INSB_IbEEEEZNS1_13binary_searchIS3_S5_SD_SD_SF_NS1_16binary_search_opENS9_16wrapped_functionINS0_4lessIvEEbEEEE10hipError_tPvRmT1_T2_T3_mmT4_T5_P12ihipStream_tbEUlRKyE_EESM_SQ_SR_mSS_SV_bEUlT_E_NS1_11comp_targetILNS1_3genE5ELNS1_11target_archE942ELNS1_3gpuE9ELNS1_3repE0EEENS1_30default_config_static_selectorELNS0_4arch9wavefront6targetE0EEEvSP_,comdat
.Lfunc_end439:
	.size	_ZN7rocprim17ROCPRIM_400000_NS6detail17trampoline_kernelINS0_14default_configENS1_29binary_search_config_selectorIybEEZNS1_14transform_implILb0ES3_S5_N6thrust23THRUST_200600_302600_NS6detail15normal_iteratorINS8_10device_ptrIyEEEENSA_INSB_IbEEEEZNS1_13binary_searchIS3_S5_SD_SD_SF_NS1_16binary_search_opENS9_16wrapped_functionINS0_4lessIvEEbEEEE10hipError_tPvRmT1_T2_T3_mmT4_T5_P12ihipStream_tbEUlRKyE_EESM_SQ_SR_mSS_SV_bEUlT_E_NS1_11comp_targetILNS1_3genE5ELNS1_11target_archE942ELNS1_3gpuE9ELNS1_3repE0EEENS1_30default_config_static_selectorELNS0_4arch9wavefront6targetE0EEEvSP_, .Lfunc_end439-_ZN7rocprim17ROCPRIM_400000_NS6detail17trampoline_kernelINS0_14default_configENS1_29binary_search_config_selectorIybEEZNS1_14transform_implILb0ES3_S5_N6thrust23THRUST_200600_302600_NS6detail15normal_iteratorINS8_10device_ptrIyEEEENSA_INSB_IbEEEEZNS1_13binary_searchIS3_S5_SD_SD_SF_NS1_16binary_search_opENS9_16wrapped_functionINS0_4lessIvEEbEEEE10hipError_tPvRmT1_T2_T3_mmT4_T5_P12ihipStream_tbEUlRKyE_EESM_SQ_SR_mSS_SV_bEUlT_E_NS1_11comp_targetILNS1_3genE5ELNS1_11target_archE942ELNS1_3gpuE9ELNS1_3repE0EEENS1_30default_config_static_selectorELNS0_4arch9wavefront6targetE0EEEvSP_
                                        ; -- End function
	.section	.AMDGPU.csdata,"",@progbits
; Kernel info:
; codeLenInByte = 0
; NumSgprs: 0
; NumVgprs: 0
; ScratchSize: 0
; MemoryBound: 0
; FloatMode: 240
; IeeeMode: 1
; LDSByteSize: 0 bytes/workgroup (compile time only)
; SGPRBlocks: 0
; VGPRBlocks: 0
; NumSGPRsForWavesPerEU: 1
; NumVGPRsForWavesPerEU: 1
; Occupancy: 16
; WaveLimiterHint : 0
; COMPUTE_PGM_RSRC2:SCRATCH_EN: 0
; COMPUTE_PGM_RSRC2:USER_SGPR: 15
; COMPUTE_PGM_RSRC2:TRAP_HANDLER: 0
; COMPUTE_PGM_RSRC2:TGID_X_EN: 1
; COMPUTE_PGM_RSRC2:TGID_Y_EN: 0
; COMPUTE_PGM_RSRC2:TGID_Z_EN: 0
; COMPUTE_PGM_RSRC2:TIDIG_COMP_CNT: 0
	.section	.text._ZN7rocprim17ROCPRIM_400000_NS6detail17trampoline_kernelINS0_14default_configENS1_29binary_search_config_selectorIybEEZNS1_14transform_implILb0ES3_S5_N6thrust23THRUST_200600_302600_NS6detail15normal_iteratorINS8_10device_ptrIyEEEENSA_INSB_IbEEEEZNS1_13binary_searchIS3_S5_SD_SD_SF_NS1_16binary_search_opENS9_16wrapped_functionINS0_4lessIvEEbEEEE10hipError_tPvRmT1_T2_T3_mmT4_T5_P12ihipStream_tbEUlRKyE_EESM_SQ_SR_mSS_SV_bEUlT_E_NS1_11comp_targetILNS1_3genE4ELNS1_11target_archE910ELNS1_3gpuE8ELNS1_3repE0EEENS1_30default_config_static_selectorELNS0_4arch9wavefront6targetE0EEEvSP_,"axG",@progbits,_ZN7rocprim17ROCPRIM_400000_NS6detail17trampoline_kernelINS0_14default_configENS1_29binary_search_config_selectorIybEEZNS1_14transform_implILb0ES3_S5_N6thrust23THRUST_200600_302600_NS6detail15normal_iteratorINS8_10device_ptrIyEEEENSA_INSB_IbEEEEZNS1_13binary_searchIS3_S5_SD_SD_SF_NS1_16binary_search_opENS9_16wrapped_functionINS0_4lessIvEEbEEEE10hipError_tPvRmT1_T2_T3_mmT4_T5_P12ihipStream_tbEUlRKyE_EESM_SQ_SR_mSS_SV_bEUlT_E_NS1_11comp_targetILNS1_3genE4ELNS1_11target_archE910ELNS1_3gpuE8ELNS1_3repE0EEENS1_30default_config_static_selectorELNS0_4arch9wavefront6targetE0EEEvSP_,comdat
	.protected	_ZN7rocprim17ROCPRIM_400000_NS6detail17trampoline_kernelINS0_14default_configENS1_29binary_search_config_selectorIybEEZNS1_14transform_implILb0ES3_S5_N6thrust23THRUST_200600_302600_NS6detail15normal_iteratorINS8_10device_ptrIyEEEENSA_INSB_IbEEEEZNS1_13binary_searchIS3_S5_SD_SD_SF_NS1_16binary_search_opENS9_16wrapped_functionINS0_4lessIvEEbEEEE10hipError_tPvRmT1_T2_T3_mmT4_T5_P12ihipStream_tbEUlRKyE_EESM_SQ_SR_mSS_SV_bEUlT_E_NS1_11comp_targetILNS1_3genE4ELNS1_11target_archE910ELNS1_3gpuE8ELNS1_3repE0EEENS1_30default_config_static_selectorELNS0_4arch9wavefront6targetE0EEEvSP_ ; -- Begin function _ZN7rocprim17ROCPRIM_400000_NS6detail17trampoline_kernelINS0_14default_configENS1_29binary_search_config_selectorIybEEZNS1_14transform_implILb0ES3_S5_N6thrust23THRUST_200600_302600_NS6detail15normal_iteratorINS8_10device_ptrIyEEEENSA_INSB_IbEEEEZNS1_13binary_searchIS3_S5_SD_SD_SF_NS1_16binary_search_opENS9_16wrapped_functionINS0_4lessIvEEbEEEE10hipError_tPvRmT1_T2_T3_mmT4_T5_P12ihipStream_tbEUlRKyE_EESM_SQ_SR_mSS_SV_bEUlT_E_NS1_11comp_targetILNS1_3genE4ELNS1_11target_archE910ELNS1_3gpuE8ELNS1_3repE0EEENS1_30default_config_static_selectorELNS0_4arch9wavefront6targetE0EEEvSP_
	.globl	_ZN7rocprim17ROCPRIM_400000_NS6detail17trampoline_kernelINS0_14default_configENS1_29binary_search_config_selectorIybEEZNS1_14transform_implILb0ES3_S5_N6thrust23THRUST_200600_302600_NS6detail15normal_iteratorINS8_10device_ptrIyEEEENSA_INSB_IbEEEEZNS1_13binary_searchIS3_S5_SD_SD_SF_NS1_16binary_search_opENS9_16wrapped_functionINS0_4lessIvEEbEEEE10hipError_tPvRmT1_T2_T3_mmT4_T5_P12ihipStream_tbEUlRKyE_EESM_SQ_SR_mSS_SV_bEUlT_E_NS1_11comp_targetILNS1_3genE4ELNS1_11target_archE910ELNS1_3gpuE8ELNS1_3repE0EEENS1_30default_config_static_selectorELNS0_4arch9wavefront6targetE0EEEvSP_
	.p2align	8
	.type	_ZN7rocprim17ROCPRIM_400000_NS6detail17trampoline_kernelINS0_14default_configENS1_29binary_search_config_selectorIybEEZNS1_14transform_implILb0ES3_S5_N6thrust23THRUST_200600_302600_NS6detail15normal_iteratorINS8_10device_ptrIyEEEENSA_INSB_IbEEEEZNS1_13binary_searchIS3_S5_SD_SD_SF_NS1_16binary_search_opENS9_16wrapped_functionINS0_4lessIvEEbEEEE10hipError_tPvRmT1_T2_T3_mmT4_T5_P12ihipStream_tbEUlRKyE_EESM_SQ_SR_mSS_SV_bEUlT_E_NS1_11comp_targetILNS1_3genE4ELNS1_11target_archE910ELNS1_3gpuE8ELNS1_3repE0EEENS1_30default_config_static_selectorELNS0_4arch9wavefront6targetE0EEEvSP_,@function
_ZN7rocprim17ROCPRIM_400000_NS6detail17trampoline_kernelINS0_14default_configENS1_29binary_search_config_selectorIybEEZNS1_14transform_implILb0ES3_S5_N6thrust23THRUST_200600_302600_NS6detail15normal_iteratorINS8_10device_ptrIyEEEENSA_INSB_IbEEEEZNS1_13binary_searchIS3_S5_SD_SD_SF_NS1_16binary_search_opENS9_16wrapped_functionINS0_4lessIvEEbEEEE10hipError_tPvRmT1_T2_T3_mmT4_T5_P12ihipStream_tbEUlRKyE_EESM_SQ_SR_mSS_SV_bEUlT_E_NS1_11comp_targetILNS1_3genE4ELNS1_11target_archE910ELNS1_3gpuE8ELNS1_3repE0EEENS1_30default_config_static_selectorELNS0_4arch9wavefront6targetE0EEEvSP_: ; @_ZN7rocprim17ROCPRIM_400000_NS6detail17trampoline_kernelINS0_14default_configENS1_29binary_search_config_selectorIybEEZNS1_14transform_implILb0ES3_S5_N6thrust23THRUST_200600_302600_NS6detail15normal_iteratorINS8_10device_ptrIyEEEENSA_INSB_IbEEEEZNS1_13binary_searchIS3_S5_SD_SD_SF_NS1_16binary_search_opENS9_16wrapped_functionINS0_4lessIvEEbEEEE10hipError_tPvRmT1_T2_T3_mmT4_T5_P12ihipStream_tbEUlRKyE_EESM_SQ_SR_mSS_SV_bEUlT_E_NS1_11comp_targetILNS1_3genE4ELNS1_11target_archE910ELNS1_3gpuE8ELNS1_3repE0EEENS1_30default_config_static_selectorELNS0_4arch9wavefront6targetE0EEEvSP_
; %bb.0:
	.section	.rodata,"a",@progbits
	.p2align	6, 0x0
	.amdhsa_kernel _ZN7rocprim17ROCPRIM_400000_NS6detail17trampoline_kernelINS0_14default_configENS1_29binary_search_config_selectorIybEEZNS1_14transform_implILb0ES3_S5_N6thrust23THRUST_200600_302600_NS6detail15normal_iteratorINS8_10device_ptrIyEEEENSA_INSB_IbEEEEZNS1_13binary_searchIS3_S5_SD_SD_SF_NS1_16binary_search_opENS9_16wrapped_functionINS0_4lessIvEEbEEEE10hipError_tPvRmT1_T2_T3_mmT4_T5_P12ihipStream_tbEUlRKyE_EESM_SQ_SR_mSS_SV_bEUlT_E_NS1_11comp_targetILNS1_3genE4ELNS1_11target_archE910ELNS1_3gpuE8ELNS1_3repE0EEENS1_30default_config_static_selectorELNS0_4arch9wavefront6targetE0EEEvSP_
		.amdhsa_group_segment_fixed_size 0
		.amdhsa_private_segment_fixed_size 0
		.amdhsa_kernarg_size 56
		.amdhsa_user_sgpr_count 15
		.amdhsa_user_sgpr_dispatch_ptr 0
		.amdhsa_user_sgpr_queue_ptr 0
		.amdhsa_user_sgpr_kernarg_segment_ptr 1
		.amdhsa_user_sgpr_dispatch_id 0
		.amdhsa_user_sgpr_private_segment_size 0
		.amdhsa_wavefront_size32 1
		.amdhsa_uses_dynamic_stack 0
		.amdhsa_enable_private_segment 0
		.amdhsa_system_sgpr_workgroup_id_x 1
		.amdhsa_system_sgpr_workgroup_id_y 0
		.amdhsa_system_sgpr_workgroup_id_z 0
		.amdhsa_system_sgpr_workgroup_info 0
		.amdhsa_system_vgpr_workitem_id 0
		.amdhsa_next_free_vgpr 1
		.amdhsa_next_free_sgpr 1
		.amdhsa_reserve_vcc 0
		.amdhsa_float_round_mode_32 0
		.amdhsa_float_round_mode_16_64 0
		.amdhsa_float_denorm_mode_32 3
		.amdhsa_float_denorm_mode_16_64 3
		.amdhsa_dx10_clamp 1
		.amdhsa_ieee_mode 1
		.amdhsa_fp16_overflow 0
		.amdhsa_workgroup_processor_mode 1
		.amdhsa_memory_ordered 1
		.amdhsa_forward_progress 0
		.amdhsa_shared_vgpr_count 0
		.amdhsa_exception_fp_ieee_invalid_op 0
		.amdhsa_exception_fp_denorm_src 0
		.amdhsa_exception_fp_ieee_div_zero 0
		.amdhsa_exception_fp_ieee_overflow 0
		.amdhsa_exception_fp_ieee_underflow 0
		.amdhsa_exception_fp_ieee_inexact 0
		.amdhsa_exception_int_div_zero 0
	.end_amdhsa_kernel
	.section	.text._ZN7rocprim17ROCPRIM_400000_NS6detail17trampoline_kernelINS0_14default_configENS1_29binary_search_config_selectorIybEEZNS1_14transform_implILb0ES3_S5_N6thrust23THRUST_200600_302600_NS6detail15normal_iteratorINS8_10device_ptrIyEEEENSA_INSB_IbEEEEZNS1_13binary_searchIS3_S5_SD_SD_SF_NS1_16binary_search_opENS9_16wrapped_functionINS0_4lessIvEEbEEEE10hipError_tPvRmT1_T2_T3_mmT4_T5_P12ihipStream_tbEUlRKyE_EESM_SQ_SR_mSS_SV_bEUlT_E_NS1_11comp_targetILNS1_3genE4ELNS1_11target_archE910ELNS1_3gpuE8ELNS1_3repE0EEENS1_30default_config_static_selectorELNS0_4arch9wavefront6targetE0EEEvSP_,"axG",@progbits,_ZN7rocprim17ROCPRIM_400000_NS6detail17trampoline_kernelINS0_14default_configENS1_29binary_search_config_selectorIybEEZNS1_14transform_implILb0ES3_S5_N6thrust23THRUST_200600_302600_NS6detail15normal_iteratorINS8_10device_ptrIyEEEENSA_INSB_IbEEEEZNS1_13binary_searchIS3_S5_SD_SD_SF_NS1_16binary_search_opENS9_16wrapped_functionINS0_4lessIvEEbEEEE10hipError_tPvRmT1_T2_T3_mmT4_T5_P12ihipStream_tbEUlRKyE_EESM_SQ_SR_mSS_SV_bEUlT_E_NS1_11comp_targetILNS1_3genE4ELNS1_11target_archE910ELNS1_3gpuE8ELNS1_3repE0EEENS1_30default_config_static_selectorELNS0_4arch9wavefront6targetE0EEEvSP_,comdat
.Lfunc_end440:
	.size	_ZN7rocprim17ROCPRIM_400000_NS6detail17trampoline_kernelINS0_14default_configENS1_29binary_search_config_selectorIybEEZNS1_14transform_implILb0ES3_S5_N6thrust23THRUST_200600_302600_NS6detail15normal_iteratorINS8_10device_ptrIyEEEENSA_INSB_IbEEEEZNS1_13binary_searchIS3_S5_SD_SD_SF_NS1_16binary_search_opENS9_16wrapped_functionINS0_4lessIvEEbEEEE10hipError_tPvRmT1_T2_T3_mmT4_T5_P12ihipStream_tbEUlRKyE_EESM_SQ_SR_mSS_SV_bEUlT_E_NS1_11comp_targetILNS1_3genE4ELNS1_11target_archE910ELNS1_3gpuE8ELNS1_3repE0EEENS1_30default_config_static_selectorELNS0_4arch9wavefront6targetE0EEEvSP_, .Lfunc_end440-_ZN7rocprim17ROCPRIM_400000_NS6detail17trampoline_kernelINS0_14default_configENS1_29binary_search_config_selectorIybEEZNS1_14transform_implILb0ES3_S5_N6thrust23THRUST_200600_302600_NS6detail15normal_iteratorINS8_10device_ptrIyEEEENSA_INSB_IbEEEEZNS1_13binary_searchIS3_S5_SD_SD_SF_NS1_16binary_search_opENS9_16wrapped_functionINS0_4lessIvEEbEEEE10hipError_tPvRmT1_T2_T3_mmT4_T5_P12ihipStream_tbEUlRKyE_EESM_SQ_SR_mSS_SV_bEUlT_E_NS1_11comp_targetILNS1_3genE4ELNS1_11target_archE910ELNS1_3gpuE8ELNS1_3repE0EEENS1_30default_config_static_selectorELNS0_4arch9wavefront6targetE0EEEvSP_
                                        ; -- End function
	.section	.AMDGPU.csdata,"",@progbits
; Kernel info:
; codeLenInByte = 0
; NumSgprs: 0
; NumVgprs: 0
; ScratchSize: 0
; MemoryBound: 0
; FloatMode: 240
; IeeeMode: 1
; LDSByteSize: 0 bytes/workgroup (compile time only)
; SGPRBlocks: 0
; VGPRBlocks: 0
; NumSGPRsForWavesPerEU: 1
; NumVGPRsForWavesPerEU: 1
; Occupancy: 16
; WaveLimiterHint : 0
; COMPUTE_PGM_RSRC2:SCRATCH_EN: 0
; COMPUTE_PGM_RSRC2:USER_SGPR: 15
; COMPUTE_PGM_RSRC2:TRAP_HANDLER: 0
; COMPUTE_PGM_RSRC2:TGID_X_EN: 1
; COMPUTE_PGM_RSRC2:TGID_Y_EN: 0
; COMPUTE_PGM_RSRC2:TGID_Z_EN: 0
; COMPUTE_PGM_RSRC2:TIDIG_COMP_CNT: 0
	.section	.text._ZN7rocprim17ROCPRIM_400000_NS6detail17trampoline_kernelINS0_14default_configENS1_29binary_search_config_selectorIybEEZNS1_14transform_implILb0ES3_S5_N6thrust23THRUST_200600_302600_NS6detail15normal_iteratorINS8_10device_ptrIyEEEENSA_INSB_IbEEEEZNS1_13binary_searchIS3_S5_SD_SD_SF_NS1_16binary_search_opENS9_16wrapped_functionINS0_4lessIvEEbEEEE10hipError_tPvRmT1_T2_T3_mmT4_T5_P12ihipStream_tbEUlRKyE_EESM_SQ_SR_mSS_SV_bEUlT_E_NS1_11comp_targetILNS1_3genE3ELNS1_11target_archE908ELNS1_3gpuE7ELNS1_3repE0EEENS1_30default_config_static_selectorELNS0_4arch9wavefront6targetE0EEEvSP_,"axG",@progbits,_ZN7rocprim17ROCPRIM_400000_NS6detail17trampoline_kernelINS0_14default_configENS1_29binary_search_config_selectorIybEEZNS1_14transform_implILb0ES3_S5_N6thrust23THRUST_200600_302600_NS6detail15normal_iteratorINS8_10device_ptrIyEEEENSA_INSB_IbEEEEZNS1_13binary_searchIS3_S5_SD_SD_SF_NS1_16binary_search_opENS9_16wrapped_functionINS0_4lessIvEEbEEEE10hipError_tPvRmT1_T2_T3_mmT4_T5_P12ihipStream_tbEUlRKyE_EESM_SQ_SR_mSS_SV_bEUlT_E_NS1_11comp_targetILNS1_3genE3ELNS1_11target_archE908ELNS1_3gpuE7ELNS1_3repE0EEENS1_30default_config_static_selectorELNS0_4arch9wavefront6targetE0EEEvSP_,comdat
	.protected	_ZN7rocprim17ROCPRIM_400000_NS6detail17trampoline_kernelINS0_14default_configENS1_29binary_search_config_selectorIybEEZNS1_14transform_implILb0ES3_S5_N6thrust23THRUST_200600_302600_NS6detail15normal_iteratorINS8_10device_ptrIyEEEENSA_INSB_IbEEEEZNS1_13binary_searchIS3_S5_SD_SD_SF_NS1_16binary_search_opENS9_16wrapped_functionINS0_4lessIvEEbEEEE10hipError_tPvRmT1_T2_T3_mmT4_T5_P12ihipStream_tbEUlRKyE_EESM_SQ_SR_mSS_SV_bEUlT_E_NS1_11comp_targetILNS1_3genE3ELNS1_11target_archE908ELNS1_3gpuE7ELNS1_3repE0EEENS1_30default_config_static_selectorELNS0_4arch9wavefront6targetE0EEEvSP_ ; -- Begin function _ZN7rocprim17ROCPRIM_400000_NS6detail17trampoline_kernelINS0_14default_configENS1_29binary_search_config_selectorIybEEZNS1_14transform_implILb0ES3_S5_N6thrust23THRUST_200600_302600_NS6detail15normal_iteratorINS8_10device_ptrIyEEEENSA_INSB_IbEEEEZNS1_13binary_searchIS3_S5_SD_SD_SF_NS1_16binary_search_opENS9_16wrapped_functionINS0_4lessIvEEbEEEE10hipError_tPvRmT1_T2_T3_mmT4_T5_P12ihipStream_tbEUlRKyE_EESM_SQ_SR_mSS_SV_bEUlT_E_NS1_11comp_targetILNS1_3genE3ELNS1_11target_archE908ELNS1_3gpuE7ELNS1_3repE0EEENS1_30default_config_static_selectorELNS0_4arch9wavefront6targetE0EEEvSP_
	.globl	_ZN7rocprim17ROCPRIM_400000_NS6detail17trampoline_kernelINS0_14default_configENS1_29binary_search_config_selectorIybEEZNS1_14transform_implILb0ES3_S5_N6thrust23THRUST_200600_302600_NS6detail15normal_iteratorINS8_10device_ptrIyEEEENSA_INSB_IbEEEEZNS1_13binary_searchIS3_S5_SD_SD_SF_NS1_16binary_search_opENS9_16wrapped_functionINS0_4lessIvEEbEEEE10hipError_tPvRmT1_T2_T3_mmT4_T5_P12ihipStream_tbEUlRKyE_EESM_SQ_SR_mSS_SV_bEUlT_E_NS1_11comp_targetILNS1_3genE3ELNS1_11target_archE908ELNS1_3gpuE7ELNS1_3repE0EEENS1_30default_config_static_selectorELNS0_4arch9wavefront6targetE0EEEvSP_
	.p2align	8
	.type	_ZN7rocprim17ROCPRIM_400000_NS6detail17trampoline_kernelINS0_14default_configENS1_29binary_search_config_selectorIybEEZNS1_14transform_implILb0ES3_S5_N6thrust23THRUST_200600_302600_NS6detail15normal_iteratorINS8_10device_ptrIyEEEENSA_INSB_IbEEEEZNS1_13binary_searchIS3_S5_SD_SD_SF_NS1_16binary_search_opENS9_16wrapped_functionINS0_4lessIvEEbEEEE10hipError_tPvRmT1_T2_T3_mmT4_T5_P12ihipStream_tbEUlRKyE_EESM_SQ_SR_mSS_SV_bEUlT_E_NS1_11comp_targetILNS1_3genE3ELNS1_11target_archE908ELNS1_3gpuE7ELNS1_3repE0EEENS1_30default_config_static_selectorELNS0_4arch9wavefront6targetE0EEEvSP_,@function
_ZN7rocprim17ROCPRIM_400000_NS6detail17trampoline_kernelINS0_14default_configENS1_29binary_search_config_selectorIybEEZNS1_14transform_implILb0ES3_S5_N6thrust23THRUST_200600_302600_NS6detail15normal_iteratorINS8_10device_ptrIyEEEENSA_INSB_IbEEEEZNS1_13binary_searchIS3_S5_SD_SD_SF_NS1_16binary_search_opENS9_16wrapped_functionINS0_4lessIvEEbEEEE10hipError_tPvRmT1_T2_T3_mmT4_T5_P12ihipStream_tbEUlRKyE_EESM_SQ_SR_mSS_SV_bEUlT_E_NS1_11comp_targetILNS1_3genE3ELNS1_11target_archE908ELNS1_3gpuE7ELNS1_3repE0EEENS1_30default_config_static_selectorELNS0_4arch9wavefront6targetE0EEEvSP_: ; @_ZN7rocprim17ROCPRIM_400000_NS6detail17trampoline_kernelINS0_14default_configENS1_29binary_search_config_selectorIybEEZNS1_14transform_implILb0ES3_S5_N6thrust23THRUST_200600_302600_NS6detail15normal_iteratorINS8_10device_ptrIyEEEENSA_INSB_IbEEEEZNS1_13binary_searchIS3_S5_SD_SD_SF_NS1_16binary_search_opENS9_16wrapped_functionINS0_4lessIvEEbEEEE10hipError_tPvRmT1_T2_T3_mmT4_T5_P12ihipStream_tbEUlRKyE_EESM_SQ_SR_mSS_SV_bEUlT_E_NS1_11comp_targetILNS1_3genE3ELNS1_11target_archE908ELNS1_3gpuE7ELNS1_3repE0EEENS1_30default_config_static_selectorELNS0_4arch9wavefront6targetE0EEEvSP_
; %bb.0:
	.section	.rodata,"a",@progbits
	.p2align	6, 0x0
	.amdhsa_kernel _ZN7rocprim17ROCPRIM_400000_NS6detail17trampoline_kernelINS0_14default_configENS1_29binary_search_config_selectorIybEEZNS1_14transform_implILb0ES3_S5_N6thrust23THRUST_200600_302600_NS6detail15normal_iteratorINS8_10device_ptrIyEEEENSA_INSB_IbEEEEZNS1_13binary_searchIS3_S5_SD_SD_SF_NS1_16binary_search_opENS9_16wrapped_functionINS0_4lessIvEEbEEEE10hipError_tPvRmT1_T2_T3_mmT4_T5_P12ihipStream_tbEUlRKyE_EESM_SQ_SR_mSS_SV_bEUlT_E_NS1_11comp_targetILNS1_3genE3ELNS1_11target_archE908ELNS1_3gpuE7ELNS1_3repE0EEENS1_30default_config_static_selectorELNS0_4arch9wavefront6targetE0EEEvSP_
		.amdhsa_group_segment_fixed_size 0
		.amdhsa_private_segment_fixed_size 0
		.amdhsa_kernarg_size 56
		.amdhsa_user_sgpr_count 15
		.amdhsa_user_sgpr_dispatch_ptr 0
		.amdhsa_user_sgpr_queue_ptr 0
		.amdhsa_user_sgpr_kernarg_segment_ptr 1
		.amdhsa_user_sgpr_dispatch_id 0
		.amdhsa_user_sgpr_private_segment_size 0
		.amdhsa_wavefront_size32 1
		.amdhsa_uses_dynamic_stack 0
		.amdhsa_enable_private_segment 0
		.amdhsa_system_sgpr_workgroup_id_x 1
		.amdhsa_system_sgpr_workgroup_id_y 0
		.amdhsa_system_sgpr_workgroup_id_z 0
		.amdhsa_system_sgpr_workgroup_info 0
		.amdhsa_system_vgpr_workitem_id 0
		.amdhsa_next_free_vgpr 1
		.amdhsa_next_free_sgpr 1
		.amdhsa_reserve_vcc 0
		.amdhsa_float_round_mode_32 0
		.amdhsa_float_round_mode_16_64 0
		.amdhsa_float_denorm_mode_32 3
		.amdhsa_float_denorm_mode_16_64 3
		.amdhsa_dx10_clamp 1
		.amdhsa_ieee_mode 1
		.amdhsa_fp16_overflow 0
		.amdhsa_workgroup_processor_mode 1
		.amdhsa_memory_ordered 1
		.amdhsa_forward_progress 0
		.amdhsa_shared_vgpr_count 0
		.amdhsa_exception_fp_ieee_invalid_op 0
		.amdhsa_exception_fp_denorm_src 0
		.amdhsa_exception_fp_ieee_div_zero 0
		.amdhsa_exception_fp_ieee_overflow 0
		.amdhsa_exception_fp_ieee_underflow 0
		.amdhsa_exception_fp_ieee_inexact 0
		.amdhsa_exception_int_div_zero 0
	.end_amdhsa_kernel
	.section	.text._ZN7rocprim17ROCPRIM_400000_NS6detail17trampoline_kernelINS0_14default_configENS1_29binary_search_config_selectorIybEEZNS1_14transform_implILb0ES3_S5_N6thrust23THRUST_200600_302600_NS6detail15normal_iteratorINS8_10device_ptrIyEEEENSA_INSB_IbEEEEZNS1_13binary_searchIS3_S5_SD_SD_SF_NS1_16binary_search_opENS9_16wrapped_functionINS0_4lessIvEEbEEEE10hipError_tPvRmT1_T2_T3_mmT4_T5_P12ihipStream_tbEUlRKyE_EESM_SQ_SR_mSS_SV_bEUlT_E_NS1_11comp_targetILNS1_3genE3ELNS1_11target_archE908ELNS1_3gpuE7ELNS1_3repE0EEENS1_30default_config_static_selectorELNS0_4arch9wavefront6targetE0EEEvSP_,"axG",@progbits,_ZN7rocprim17ROCPRIM_400000_NS6detail17trampoline_kernelINS0_14default_configENS1_29binary_search_config_selectorIybEEZNS1_14transform_implILb0ES3_S5_N6thrust23THRUST_200600_302600_NS6detail15normal_iteratorINS8_10device_ptrIyEEEENSA_INSB_IbEEEEZNS1_13binary_searchIS3_S5_SD_SD_SF_NS1_16binary_search_opENS9_16wrapped_functionINS0_4lessIvEEbEEEE10hipError_tPvRmT1_T2_T3_mmT4_T5_P12ihipStream_tbEUlRKyE_EESM_SQ_SR_mSS_SV_bEUlT_E_NS1_11comp_targetILNS1_3genE3ELNS1_11target_archE908ELNS1_3gpuE7ELNS1_3repE0EEENS1_30default_config_static_selectorELNS0_4arch9wavefront6targetE0EEEvSP_,comdat
.Lfunc_end441:
	.size	_ZN7rocprim17ROCPRIM_400000_NS6detail17trampoline_kernelINS0_14default_configENS1_29binary_search_config_selectorIybEEZNS1_14transform_implILb0ES3_S5_N6thrust23THRUST_200600_302600_NS6detail15normal_iteratorINS8_10device_ptrIyEEEENSA_INSB_IbEEEEZNS1_13binary_searchIS3_S5_SD_SD_SF_NS1_16binary_search_opENS9_16wrapped_functionINS0_4lessIvEEbEEEE10hipError_tPvRmT1_T2_T3_mmT4_T5_P12ihipStream_tbEUlRKyE_EESM_SQ_SR_mSS_SV_bEUlT_E_NS1_11comp_targetILNS1_3genE3ELNS1_11target_archE908ELNS1_3gpuE7ELNS1_3repE0EEENS1_30default_config_static_selectorELNS0_4arch9wavefront6targetE0EEEvSP_, .Lfunc_end441-_ZN7rocprim17ROCPRIM_400000_NS6detail17trampoline_kernelINS0_14default_configENS1_29binary_search_config_selectorIybEEZNS1_14transform_implILb0ES3_S5_N6thrust23THRUST_200600_302600_NS6detail15normal_iteratorINS8_10device_ptrIyEEEENSA_INSB_IbEEEEZNS1_13binary_searchIS3_S5_SD_SD_SF_NS1_16binary_search_opENS9_16wrapped_functionINS0_4lessIvEEbEEEE10hipError_tPvRmT1_T2_T3_mmT4_T5_P12ihipStream_tbEUlRKyE_EESM_SQ_SR_mSS_SV_bEUlT_E_NS1_11comp_targetILNS1_3genE3ELNS1_11target_archE908ELNS1_3gpuE7ELNS1_3repE0EEENS1_30default_config_static_selectorELNS0_4arch9wavefront6targetE0EEEvSP_
                                        ; -- End function
	.section	.AMDGPU.csdata,"",@progbits
; Kernel info:
; codeLenInByte = 0
; NumSgprs: 0
; NumVgprs: 0
; ScratchSize: 0
; MemoryBound: 0
; FloatMode: 240
; IeeeMode: 1
; LDSByteSize: 0 bytes/workgroup (compile time only)
; SGPRBlocks: 0
; VGPRBlocks: 0
; NumSGPRsForWavesPerEU: 1
; NumVGPRsForWavesPerEU: 1
; Occupancy: 16
; WaveLimiterHint : 0
; COMPUTE_PGM_RSRC2:SCRATCH_EN: 0
; COMPUTE_PGM_RSRC2:USER_SGPR: 15
; COMPUTE_PGM_RSRC2:TRAP_HANDLER: 0
; COMPUTE_PGM_RSRC2:TGID_X_EN: 1
; COMPUTE_PGM_RSRC2:TGID_Y_EN: 0
; COMPUTE_PGM_RSRC2:TGID_Z_EN: 0
; COMPUTE_PGM_RSRC2:TIDIG_COMP_CNT: 0
	.section	.text._ZN7rocprim17ROCPRIM_400000_NS6detail17trampoline_kernelINS0_14default_configENS1_29binary_search_config_selectorIybEEZNS1_14transform_implILb0ES3_S5_N6thrust23THRUST_200600_302600_NS6detail15normal_iteratorINS8_10device_ptrIyEEEENSA_INSB_IbEEEEZNS1_13binary_searchIS3_S5_SD_SD_SF_NS1_16binary_search_opENS9_16wrapped_functionINS0_4lessIvEEbEEEE10hipError_tPvRmT1_T2_T3_mmT4_T5_P12ihipStream_tbEUlRKyE_EESM_SQ_SR_mSS_SV_bEUlT_E_NS1_11comp_targetILNS1_3genE2ELNS1_11target_archE906ELNS1_3gpuE6ELNS1_3repE0EEENS1_30default_config_static_selectorELNS0_4arch9wavefront6targetE0EEEvSP_,"axG",@progbits,_ZN7rocprim17ROCPRIM_400000_NS6detail17trampoline_kernelINS0_14default_configENS1_29binary_search_config_selectorIybEEZNS1_14transform_implILb0ES3_S5_N6thrust23THRUST_200600_302600_NS6detail15normal_iteratorINS8_10device_ptrIyEEEENSA_INSB_IbEEEEZNS1_13binary_searchIS3_S5_SD_SD_SF_NS1_16binary_search_opENS9_16wrapped_functionINS0_4lessIvEEbEEEE10hipError_tPvRmT1_T2_T3_mmT4_T5_P12ihipStream_tbEUlRKyE_EESM_SQ_SR_mSS_SV_bEUlT_E_NS1_11comp_targetILNS1_3genE2ELNS1_11target_archE906ELNS1_3gpuE6ELNS1_3repE0EEENS1_30default_config_static_selectorELNS0_4arch9wavefront6targetE0EEEvSP_,comdat
	.protected	_ZN7rocprim17ROCPRIM_400000_NS6detail17trampoline_kernelINS0_14default_configENS1_29binary_search_config_selectorIybEEZNS1_14transform_implILb0ES3_S5_N6thrust23THRUST_200600_302600_NS6detail15normal_iteratorINS8_10device_ptrIyEEEENSA_INSB_IbEEEEZNS1_13binary_searchIS3_S5_SD_SD_SF_NS1_16binary_search_opENS9_16wrapped_functionINS0_4lessIvEEbEEEE10hipError_tPvRmT1_T2_T3_mmT4_T5_P12ihipStream_tbEUlRKyE_EESM_SQ_SR_mSS_SV_bEUlT_E_NS1_11comp_targetILNS1_3genE2ELNS1_11target_archE906ELNS1_3gpuE6ELNS1_3repE0EEENS1_30default_config_static_selectorELNS0_4arch9wavefront6targetE0EEEvSP_ ; -- Begin function _ZN7rocprim17ROCPRIM_400000_NS6detail17trampoline_kernelINS0_14default_configENS1_29binary_search_config_selectorIybEEZNS1_14transform_implILb0ES3_S5_N6thrust23THRUST_200600_302600_NS6detail15normal_iteratorINS8_10device_ptrIyEEEENSA_INSB_IbEEEEZNS1_13binary_searchIS3_S5_SD_SD_SF_NS1_16binary_search_opENS9_16wrapped_functionINS0_4lessIvEEbEEEE10hipError_tPvRmT1_T2_T3_mmT4_T5_P12ihipStream_tbEUlRKyE_EESM_SQ_SR_mSS_SV_bEUlT_E_NS1_11comp_targetILNS1_3genE2ELNS1_11target_archE906ELNS1_3gpuE6ELNS1_3repE0EEENS1_30default_config_static_selectorELNS0_4arch9wavefront6targetE0EEEvSP_
	.globl	_ZN7rocprim17ROCPRIM_400000_NS6detail17trampoline_kernelINS0_14default_configENS1_29binary_search_config_selectorIybEEZNS1_14transform_implILb0ES3_S5_N6thrust23THRUST_200600_302600_NS6detail15normal_iteratorINS8_10device_ptrIyEEEENSA_INSB_IbEEEEZNS1_13binary_searchIS3_S5_SD_SD_SF_NS1_16binary_search_opENS9_16wrapped_functionINS0_4lessIvEEbEEEE10hipError_tPvRmT1_T2_T3_mmT4_T5_P12ihipStream_tbEUlRKyE_EESM_SQ_SR_mSS_SV_bEUlT_E_NS1_11comp_targetILNS1_3genE2ELNS1_11target_archE906ELNS1_3gpuE6ELNS1_3repE0EEENS1_30default_config_static_selectorELNS0_4arch9wavefront6targetE0EEEvSP_
	.p2align	8
	.type	_ZN7rocprim17ROCPRIM_400000_NS6detail17trampoline_kernelINS0_14default_configENS1_29binary_search_config_selectorIybEEZNS1_14transform_implILb0ES3_S5_N6thrust23THRUST_200600_302600_NS6detail15normal_iteratorINS8_10device_ptrIyEEEENSA_INSB_IbEEEEZNS1_13binary_searchIS3_S5_SD_SD_SF_NS1_16binary_search_opENS9_16wrapped_functionINS0_4lessIvEEbEEEE10hipError_tPvRmT1_T2_T3_mmT4_T5_P12ihipStream_tbEUlRKyE_EESM_SQ_SR_mSS_SV_bEUlT_E_NS1_11comp_targetILNS1_3genE2ELNS1_11target_archE906ELNS1_3gpuE6ELNS1_3repE0EEENS1_30default_config_static_selectorELNS0_4arch9wavefront6targetE0EEEvSP_,@function
_ZN7rocprim17ROCPRIM_400000_NS6detail17trampoline_kernelINS0_14default_configENS1_29binary_search_config_selectorIybEEZNS1_14transform_implILb0ES3_S5_N6thrust23THRUST_200600_302600_NS6detail15normal_iteratorINS8_10device_ptrIyEEEENSA_INSB_IbEEEEZNS1_13binary_searchIS3_S5_SD_SD_SF_NS1_16binary_search_opENS9_16wrapped_functionINS0_4lessIvEEbEEEE10hipError_tPvRmT1_T2_T3_mmT4_T5_P12ihipStream_tbEUlRKyE_EESM_SQ_SR_mSS_SV_bEUlT_E_NS1_11comp_targetILNS1_3genE2ELNS1_11target_archE906ELNS1_3gpuE6ELNS1_3repE0EEENS1_30default_config_static_selectorELNS0_4arch9wavefront6targetE0EEEvSP_: ; @_ZN7rocprim17ROCPRIM_400000_NS6detail17trampoline_kernelINS0_14default_configENS1_29binary_search_config_selectorIybEEZNS1_14transform_implILb0ES3_S5_N6thrust23THRUST_200600_302600_NS6detail15normal_iteratorINS8_10device_ptrIyEEEENSA_INSB_IbEEEEZNS1_13binary_searchIS3_S5_SD_SD_SF_NS1_16binary_search_opENS9_16wrapped_functionINS0_4lessIvEEbEEEE10hipError_tPvRmT1_T2_T3_mmT4_T5_P12ihipStream_tbEUlRKyE_EESM_SQ_SR_mSS_SV_bEUlT_E_NS1_11comp_targetILNS1_3genE2ELNS1_11target_archE906ELNS1_3gpuE6ELNS1_3repE0EEENS1_30default_config_static_selectorELNS0_4arch9wavefront6targetE0EEEvSP_
; %bb.0:
	.section	.rodata,"a",@progbits
	.p2align	6, 0x0
	.amdhsa_kernel _ZN7rocprim17ROCPRIM_400000_NS6detail17trampoline_kernelINS0_14default_configENS1_29binary_search_config_selectorIybEEZNS1_14transform_implILb0ES3_S5_N6thrust23THRUST_200600_302600_NS6detail15normal_iteratorINS8_10device_ptrIyEEEENSA_INSB_IbEEEEZNS1_13binary_searchIS3_S5_SD_SD_SF_NS1_16binary_search_opENS9_16wrapped_functionINS0_4lessIvEEbEEEE10hipError_tPvRmT1_T2_T3_mmT4_T5_P12ihipStream_tbEUlRKyE_EESM_SQ_SR_mSS_SV_bEUlT_E_NS1_11comp_targetILNS1_3genE2ELNS1_11target_archE906ELNS1_3gpuE6ELNS1_3repE0EEENS1_30default_config_static_selectorELNS0_4arch9wavefront6targetE0EEEvSP_
		.amdhsa_group_segment_fixed_size 0
		.amdhsa_private_segment_fixed_size 0
		.amdhsa_kernarg_size 56
		.amdhsa_user_sgpr_count 15
		.amdhsa_user_sgpr_dispatch_ptr 0
		.amdhsa_user_sgpr_queue_ptr 0
		.amdhsa_user_sgpr_kernarg_segment_ptr 1
		.amdhsa_user_sgpr_dispatch_id 0
		.amdhsa_user_sgpr_private_segment_size 0
		.amdhsa_wavefront_size32 1
		.amdhsa_uses_dynamic_stack 0
		.amdhsa_enable_private_segment 0
		.amdhsa_system_sgpr_workgroup_id_x 1
		.amdhsa_system_sgpr_workgroup_id_y 0
		.amdhsa_system_sgpr_workgroup_id_z 0
		.amdhsa_system_sgpr_workgroup_info 0
		.amdhsa_system_vgpr_workitem_id 0
		.amdhsa_next_free_vgpr 1
		.amdhsa_next_free_sgpr 1
		.amdhsa_reserve_vcc 0
		.amdhsa_float_round_mode_32 0
		.amdhsa_float_round_mode_16_64 0
		.amdhsa_float_denorm_mode_32 3
		.amdhsa_float_denorm_mode_16_64 3
		.amdhsa_dx10_clamp 1
		.amdhsa_ieee_mode 1
		.amdhsa_fp16_overflow 0
		.amdhsa_workgroup_processor_mode 1
		.amdhsa_memory_ordered 1
		.amdhsa_forward_progress 0
		.amdhsa_shared_vgpr_count 0
		.amdhsa_exception_fp_ieee_invalid_op 0
		.amdhsa_exception_fp_denorm_src 0
		.amdhsa_exception_fp_ieee_div_zero 0
		.amdhsa_exception_fp_ieee_overflow 0
		.amdhsa_exception_fp_ieee_underflow 0
		.amdhsa_exception_fp_ieee_inexact 0
		.amdhsa_exception_int_div_zero 0
	.end_amdhsa_kernel
	.section	.text._ZN7rocprim17ROCPRIM_400000_NS6detail17trampoline_kernelINS0_14default_configENS1_29binary_search_config_selectorIybEEZNS1_14transform_implILb0ES3_S5_N6thrust23THRUST_200600_302600_NS6detail15normal_iteratorINS8_10device_ptrIyEEEENSA_INSB_IbEEEEZNS1_13binary_searchIS3_S5_SD_SD_SF_NS1_16binary_search_opENS9_16wrapped_functionINS0_4lessIvEEbEEEE10hipError_tPvRmT1_T2_T3_mmT4_T5_P12ihipStream_tbEUlRKyE_EESM_SQ_SR_mSS_SV_bEUlT_E_NS1_11comp_targetILNS1_3genE2ELNS1_11target_archE906ELNS1_3gpuE6ELNS1_3repE0EEENS1_30default_config_static_selectorELNS0_4arch9wavefront6targetE0EEEvSP_,"axG",@progbits,_ZN7rocprim17ROCPRIM_400000_NS6detail17trampoline_kernelINS0_14default_configENS1_29binary_search_config_selectorIybEEZNS1_14transform_implILb0ES3_S5_N6thrust23THRUST_200600_302600_NS6detail15normal_iteratorINS8_10device_ptrIyEEEENSA_INSB_IbEEEEZNS1_13binary_searchIS3_S5_SD_SD_SF_NS1_16binary_search_opENS9_16wrapped_functionINS0_4lessIvEEbEEEE10hipError_tPvRmT1_T2_T3_mmT4_T5_P12ihipStream_tbEUlRKyE_EESM_SQ_SR_mSS_SV_bEUlT_E_NS1_11comp_targetILNS1_3genE2ELNS1_11target_archE906ELNS1_3gpuE6ELNS1_3repE0EEENS1_30default_config_static_selectorELNS0_4arch9wavefront6targetE0EEEvSP_,comdat
.Lfunc_end442:
	.size	_ZN7rocprim17ROCPRIM_400000_NS6detail17trampoline_kernelINS0_14default_configENS1_29binary_search_config_selectorIybEEZNS1_14transform_implILb0ES3_S5_N6thrust23THRUST_200600_302600_NS6detail15normal_iteratorINS8_10device_ptrIyEEEENSA_INSB_IbEEEEZNS1_13binary_searchIS3_S5_SD_SD_SF_NS1_16binary_search_opENS9_16wrapped_functionINS0_4lessIvEEbEEEE10hipError_tPvRmT1_T2_T3_mmT4_T5_P12ihipStream_tbEUlRKyE_EESM_SQ_SR_mSS_SV_bEUlT_E_NS1_11comp_targetILNS1_3genE2ELNS1_11target_archE906ELNS1_3gpuE6ELNS1_3repE0EEENS1_30default_config_static_selectorELNS0_4arch9wavefront6targetE0EEEvSP_, .Lfunc_end442-_ZN7rocprim17ROCPRIM_400000_NS6detail17trampoline_kernelINS0_14default_configENS1_29binary_search_config_selectorIybEEZNS1_14transform_implILb0ES3_S5_N6thrust23THRUST_200600_302600_NS6detail15normal_iteratorINS8_10device_ptrIyEEEENSA_INSB_IbEEEEZNS1_13binary_searchIS3_S5_SD_SD_SF_NS1_16binary_search_opENS9_16wrapped_functionINS0_4lessIvEEbEEEE10hipError_tPvRmT1_T2_T3_mmT4_T5_P12ihipStream_tbEUlRKyE_EESM_SQ_SR_mSS_SV_bEUlT_E_NS1_11comp_targetILNS1_3genE2ELNS1_11target_archE906ELNS1_3gpuE6ELNS1_3repE0EEENS1_30default_config_static_selectorELNS0_4arch9wavefront6targetE0EEEvSP_
                                        ; -- End function
	.section	.AMDGPU.csdata,"",@progbits
; Kernel info:
; codeLenInByte = 0
; NumSgprs: 0
; NumVgprs: 0
; ScratchSize: 0
; MemoryBound: 0
; FloatMode: 240
; IeeeMode: 1
; LDSByteSize: 0 bytes/workgroup (compile time only)
; SGPRBlocks: 0
; VGPRBlocks: 0
; NumSGPRsForWavesPerEU: 1
; NumVGPRsForWavesPerEU: 1
; Occupancy: 16
; WaveLimiterHint : 0
; COMPUTE_PGM_RSRC2:SCRATCH_EN: 0
; COMPUTE_PGM_RSRC2:USER_SGPR: 15
; COMPUTE_PGM_RSRC2:TRAP_HANDLER: 0
; COMPUTE_PGM_RSRC2:TGID_X_EN: 1
; COMPUTE_PGM_RSRC2:TGID_Y_EN: 0
; COMPUTE_PGM_RSRC2:TGID_Z_EN: 0
; COMPUTE_PGM_RSRC2:TIDIG_COMP_CNT: 0
	.section	.text._ZN7rocprim17ROCPRIM_400000_NS6detail17trampoline_kernelINS0_14default_configENS1_29binary_search_config_selectorIybEEZNS1_14transform_implILb0ES3_S5_N6thrust23THRUST_200600_302600_NS6detail15normal_iteratorINS8_10device_ptrIyEEEENSA_INSB_IbEEEEZNS1_13binary_searchIS3_S5_SD_SD_SF_NS1_16binary_search_opENS9_16wrapped_functionINS0_4lessIvEEbEEEE10hipError_tPvRmT1_T2_T3_mmT4_T5_P12ihipStream_tbEUlRKyE_EESM_SQ_SR_mSS_SV_bEUlT_E_NS1_11comp_targetILNS1_3genE10ELNS1_11target_archE1201ELNS1_3gpuE5ELNS1_3repE0EEENS1_30default_config_static_selectorELNS0_4arch9wavefront6targetE0EEEvSP_,"axG",@progbits,_ZN7rocprim17ROCPRIM_400000_NS6detail17trampoline_kernelINS0_14default_configENS1_29binary_search_config_selectorIybEEZNS1_14transform_implILb0ES3_S5_N6thrust23THRUST_200600_302600_NS6detail15normal_iteratorINS8_10device_ptrIyEEEENSA_INSB_IbEEEEZNS1_13binary_searchIS3_S5_SD_SD_SF_NS1_16binary_search_opENS9_16wrapped_functionINS0_4lessIvEEbEEEE10hipError_tPvRmT1_T2_T3_mmT4_T5_P12ihipStream_tbEUlRKyE_EESM_SQ_SR_mSS_SV_bEUlT_E_NS1_11comp_targetILNS1_3genE10ELNS1_11target_archE1201ELNS1_3gpuE5ELNS1_3repE0EEENS1_30default_config_static_selectorELNS0_4arch9wavefront6targetE0EEEvSP_,comdat
	.protected	_ZN7rocprim17ROCPRIM_400000_NS6detail17trampoline_kernelINS0_14default_configENS1_29binary_search_config_selectorIybEEZNS1_14transform_implILb0ES3_S5_N6thrust23THRUST_200600_302600_NS6detail15normal_iteratorINS8_10device_ptrIyEEEENSA_INSB_IbEEEEZNS1_13binary_searchIS3_S5_SD_SD_SF_NS1_16binary_search_opENS9_16wrapped_functionINS0_4lessIvEEbEEEE10hipError_tPvRmT1_T2_T3_mmT4_T5_P12ihipStream_tbEUlRKyE_EESM_SQ_SR_mSS_SV_bEUlT_E_NS1_11comp_targetILNS1_3genE10ELNS1_11target_archE1201ELNS1_3gpuE5ELNS1_3repE0EEENS1_30default_config_static_selectorELNS0_4arch9wavefront6targetE0EEEvSP_ ; -- Begin function _ZN7rocprim17ROCPRIM_400000_NS6detail17trampoline_kernelINS0_14default_configENS1_29binary_search_config_selectorIybEEZNS1_14transform_implILb0ES3_S5_N6thrust23THRUST_200600_302600_NS6detail15normal_iteratorINS8_10device_ptrIyEEEENSA_INSB_IbEEEEZNS1_13binary_searchIS3_S5_SD_SD_SF_NS1_16binary_search_opENS9_16wrapped_functionINS0_4lessIvEEbEEEE10hipError_tPvRmT1_T2_T3_mmT4_T5_P12ihipStream_tbEUlRKyE_EESM_SQ_SR_mSS_SV_bEUlT_E_NS1_11comp_targetILNS1_3genE10ELNS1_11target_archE1201ELNS1_3gpuE5ELNS1_3repE0EEENS1_30default_config_static_selectorELNS0_4arch9wavefront6targetE0EEEvSP_
	.globl	_ZN7rocprim17ROCPRIM_400000_NS6detail17trampoline_kernelINS0_14default_configENS1_29binary_search_config_selectorIybEEZNS1_14transform_implILb0ES3_S5_N6thrust23THRUST_200600_302600_NS6detail15normal_iteratorINS8_10device_ptrIyEEEENSA_INSB_IbEEEEZNS1_13binary_searchIS3_S5_SD_SD_SF_NS1_16binary_search_opENS9_16wrapped_functionINS0_4lessIvEEbEEEE10hipError_tPvRmT1_T2_T3_mmT4_T5_P12ihipStream_tbEUlRKyE_EESM_SQ_SR_mSS_SV_bEUlT_E_NS1_11comp_targetILNS1_3genE10ELNS1_11target_archE1201ELNS1_3gpuE5ELNS1_3repE0EEENS1_30default_config_static_selectorELNS0_4arch9wavefront6targetE0EEEvSP_
	.p2align	8
	.type	_ZN7rocprim17ROCPRIM_400000_NS6detail17trampoline_kernelINS0_14default_configENS1_29binary_search_config_selectorIybEEZNS1_14transform_implILb0ES3_S5_N6thrust23THRUST_200600_302600_NS6detail15normal_iteratorINS8_10device_ptrIyEEEENSA_INSB_IbEEEEZNS1_13binary_searchIS3_S5_SD_SD_SF_NS1_16binary_search_opENS9_16wrapped_functionINS0_4lessIvEEbEEEE10hipError_tPvRmT1_T2_T3_mmT4_T5_P12ihipStream_tbEUlRKyE_EESM_SQ_SR_mSS_SV_bEUlT_E_NS1_11comp_targetILNS1_3genE10ELNS1_11target_archE1201ELNS1_3gpuE5ELNS1_3repE0EEENS1_30default_config_static_selectorELNS0_4arch9wavefront6targetE0EEEvSP_,@function
_ZN7rocprim17ROCPRIM_400000_NS6detail17trampoline_kernelINS0_14default_configENS1_29binary_search_config_selectorIybEEZNS1_14transform_implILb0ES3_S5_N6thrust23THRUST_200600_302600_NS6detail15normal_iteratorINS8_10device_ptrIyEEEENSA_INSB_IbEEEEZNS1_13binary_searchIS3_S5_SD_SD_SF_NS1_16binary_search_opENS9_16wrapped_functionINS0_4lessIvEEbEEEE10hipError_tPvRmT1_T2_T3_mmT4_T5_P12ihipStream_tbEUlRKyE_EESM_SQ_SR_mSS_SV_bEUlT_E_NS1_11comp_targetILNS1_3genE10ELNS1_11target_archE1201ELNS1_3gpuE5ELNS1_3repE0EEENS1_30default_config_static_selectorELNS0_4arch9wavefront6targetE0EEEvSP_: ; @_ZN7rocprim17ROCPRIM_400000_NS6detail17trampoline_kernelINS0_14default_configENS1_29binary_search_config_selectorIybEEZNS1_14transform_implILb0ES3_S5_N6thrust23THRUST_200600_302600_NS6detail15normal_iteratorINS8_10device_ptrIyEEEENSA_INSB_IbEEEEZNS1_13binary_searchIS3_S5_SD_SD_SF_NS1_16binary_search_opENS9_16wrapped_functionINS0_4lessIvEEbEEEE10hipError_tPvRmT1_T2_T3_mmT4_T5_P12ihipStream_tbEUlRKyE_EESM_SQ_SR_mSS_SV_bEUlT_E_NS1_11comp_targetILNS1_3genE10ELNS1_11target_archE1201ELNS1_3gpuE5ELNS1_3repE0EEENS1_30default_config_static_selectorELNS0_4arch9wavefront6targetE0EEEvSP_
; %bb.0:
	.section	.rodata,"a",@progbits
	.p2align	6, 0x0
	.amdhsa_kernel _ZN7rocprim17ROCPRIM_400000_NS6detail17trampoline_kernelINS0_14default_configENS1_29binary_search_config_selectorIybEEZNS1_14transform_implILb0ES3_S5_N6thrust23THRUST_200600_302600_NS6detail15normal_iteratorINS8_10device_ptrIyEEEENSA_INSB_IbEEEEZNS1_13binary_searchIS3_S5_SD_SD_SF_NS1_16binary_search_opENS9_16wrapped_functionINS0_4lessIvEEbEEEE10hipError_tPvRmT1_T2_T3_mmT4_T5_P12ihipStream_tbEUlRKyE_EESM_SQ_SR_mSS_SV_bEUlT_E_NS1_11comp_targetILNS1_3genE10ELNS1_11target_archE1201ELNS1_3gpuE5ELNS1_3repE0EEENS1_30default_config_static_selectorELNS0_4arch9wavefront6targetE0EEEvSP_
		.amdhsa_group_segment_fixed_size 0
		.amdhsa_private_segment_fixed_size 0
		.amdhsa_kernarg_size 56
		.amdhsa_user_sgpr_count 15
		.amdhsa_user_sgpr_dispatch_ptr 0
		.amdhsa_user_sgpr_queue_ptr 0
		.amdhsa_user_sgpr_kernarg_segment_ptr 1
		.amdhsa_user_sgpr_dispatch_id 0
		.amdhsa_user_sgpr_private_segment_size 0
		.amdhsa_wavefront_size32 1
		.amdhsa_uses_dynamic_stack 0
		.amdhsa_enable_private_segment 0
		.amdhsa_system_sgpr_workgroup_id_x 1
		.amdhsa_system_sgpr_workgroup_id_y 0
		.amdhsa_system_sgpr_workgroup_id_z 0
		.amdhsa_system_sgpr_workgroup_info 0
		.amdhsa_system_vgpr_workitem_id 0
		.amdhsa_next_free_vgpr 1
		.amdhsa_next_free_sgpr 1
		.amdhsa_reserve_vcc 0
		.amdhsa_float_round_mode_32 0
		.amdhsa_float_round_mode_16_64 0
		.amdhsa_float_denorm_mode_32 3
		.amdhsa_float_denorm_mode_16_64 3
		.amdhsa_dx10_clamp 1
		.amdhsa_ieee_mode 1
		.amdhsa_fp16_overflow 0
		.amdhsa_workgroup_processor_mode 1
		.amdhsa_memory_ordered 1
		.amdhsa_forward_progress 0
		.amdhsa_shared_vgpr_count 0
		.amdhsa_exception_fp_ieee_invalid_op 0
		.amdhsa_exception_fp_denorm_src 0
		.amdhsa_exception_fp_ieee_div_zero 0
		.amdhsa_exception_fp_ieee_overflow 0
		.amdhsa_exception_fp_ieee_underflow 0
		.amdhsa_exception_fp_ieee_inexact 0
		.amdhsa_exception_int_div_zero 0
	.end_amdhsa_kernel
	.section	.text._ZN7rocprim17ROCPRIM_400000_NS6detail17trampoline_kernelINS0_14default_configENS1_29binary_search_config_selectorIybEEZNS1_14transform_implILb0ES3_S5_N6thrust23THRUST_200600_302600_NS6detail15normal_iteratorINS8_10device_ptrIyEEEENSA_INSB_IbEEEEZNS1_13binary_searchIS3_S5_SD_SD_SF_NS1_16binary_search_opENS9_16wrapped_functionINS0_4lessIvEEbEEEE10hipError_tPvRmT1_T2_T3_mmT4_T5_P12ihipStream_tbEUlRKyE_EESM_SQ_SR_mSS_SV_bEUlT_E_NS1_11comp_targetILNS1_3genE10ELNS1_11target_archE1201ELNS1_3gpuE5ELNS1_3repE0EEENS1_30default_config_static_selectorELNS0_4arch9wavefront6targetE0EEEvSP_,"axG",@progbits,_ZN7rocprim17ROCPRIM_400000_NS6detail17trampoline_kernelINS0_14default_configENS1_29binary_search_config_selectorIybEEZNS1_14transform_implILb0ES3_S5_N6thrust23THRUST_200600_302600_NS6detail15normal_iteratorINS8_10device_ptrIyEEEENSA_INSB_IbEEEEZNS1_13binary_searchIS3_S5_SD_SD_SF_NS1_16binary_search_opENS9_16wrapped_functionINS0_4lessIvEEbEEEE10hipError_tPvRmT1_T2_T3_mmT4_T5_P12ihipStream_tbEUlRKyE_EESM_SQ_SR_mSS_SV_bEUlT_E_NS1_11comp_targetILNS1_3genE10ELNS1_11target_archE1201ELNS1_3gpuE5ELNS1_3repE0EEENS1_30default_config_static_selectorELNS0_4arch9wavefront6targetE0EEEvSP_,comdat
.Lfunc_end443:
	.size	_ZN7rocprim17ROCPRIM_400000_NS6detail17trampoline_kernelINS0_14default_configENS1_29binary_search_config_selectorIybEEZNS1_14transform_implILb0ES3_S5_N6thrust23THRUST_200600_302600_NS6detail15normal_iteratorINS8_10device_ptrIyEEEENSA_INSB_IbEEEEZNS1_13binary_searchIS3_S5_SD_SD_SF_NS1_16binary_search_opENS9_16wrapped_functionINS0_4lessIvEEbEEEE10hipError_tPvRmT1_T2_T3_mmT4_T5_P12ihipStream_tbEUlRKyE_EESM_SQ_SR_mSS_SV_bEUlT_E_NS1_11comp_targetILNS1_3genE10ELNS1_11target_archE1201ELNS1_3gpuE5ELNS1_3repE0EEENS1_30default_config_static_selectorELNS0_4arch9wavefront6targetE0EEEvSP_, .Lfunc_end443-_ZN7rocprim17ROCPRIM_400000_NS6detail17trampoline_kernelINS0_14default_configENS1_29binary_search_config_selectorIybEEZNS1_14transform_implILb0ES3_S5_N6thrust23THRUST_200600_302600_NS6detail15normal_iteratorINS8_10device_ptrIyEEEENSA_INSB_IbEEEEZNS1_13binary_searchIS3_S5_SD_SD_SF_NS1_16binary_search_opENS9_16wrapped_functionINS0_4lessIvEEbEEEE10hipError_tPvRmT1_T2_T3_mmT4_T5_P12ihipStream_tbEUlRKyE_EESM_SQ_SR_mSS_SV_bEUlT_E_NS1_11comp_targetILNS1_3genE10ELNS1_11target_archE1201ELNS1_3gpuE5ELNS1_3repE0EEENS1_30default_config_static_selectorELNS0_4arch9wavefront6targetE0EEEvSP_
                                        ; -- End function
	.section	.AMDGPU.csdata,"",@progbits
; Kernel info:
; codeLenInByte = 0
; NumSgprs: 0
; NumVgprs: 0
; ScratchSize: 0
; MemoryBound: 0
; FloatMode: 240
; IeeeMode: 1
; LDSByteSize: 0 bytes/workgroup (compile time only)
; SGPRBlocks: 0
; VGPRBlocks: 0
; NumSGPRsForWavesPerEU: 1
; NumVGPRsForWavesPerEU: 1
; Occupancy: 16
; WaveLimiterHint : 0
; COMPUTE_PGM_RSRC2:SCRATCH_EN: 0
; COMPUTE_PGM_RSRC2:USER_SGPR: 15
; COMPUTE_PGM_RSRC2:TRAP_HANDLER: 0
; COMPUTE_PGM_RSRC2:TGID_X_EN: 1
; COMPUTE_PGM_RSRC2:TGID_Y_EN: 0
; COMPUTE_PGM_RSRC2:TGID_Z_EN: 0
; COMPUTE_PGM_RSRC2:TIDIG_COMP_CNT: 0
	.section	.text._ZN7rocprim17ROCPRIM_400000_NS6detail17trampoline_kernelINS0_14default_configENS1_29binary_search_config_selectorIybEEZNS1_14transform_implILb0ES3_S5_N6thrust23THRUST_200600_302600_NS6detail15normal_iteratorINS8_10device_ptrIyEEEENSA_INSB_IbEEEEZNS1_13binary_searchIS3_S5_SD_SD_SF_NS1_16binary_search_opENS9_16wrapped_functionINS0_4lessIvEEbEEEE10hipError_tPvRmT1_T2_T3_mmT4_T5_P12ihipStream_tbEUlRKyE_EESM_SQ_SR_mSS_SV_bEUlT_E_NS1_11comp_targetILNS1_3genE10ELNS1_11target_archE1200ELNS1_3gpuE4ELNS1_3repE0EEENS1_30default_config_static_selectorELNS0_4arch9wavefront6targetE0EEEvSP_,"axG",@progbits,_ZN7rocprim17ROCPRIM_400000_NS6detail17trampoline_kernelINS0_14default_configENS1_29binary_search_config_selectorIybEEZNS1_14transform_implILb0ES3_S5_N6thrust23THRUST_200600_302600_NS6detail15normal_iteratorINS8_10device_ptrIyEEEENSA_INSB_IbEEEEZNS1_13binary_searchIS3_S5_SD_SD_SF_NS1_16binary_search_opENS9_16wrapped_functionINS0_4lessIvEEbEEEE10hipError_tPvRmT1_T2_T3_mmT4_T5_P12ihipStream_tbEUlRKyE_EESM_SQ_SR_mSS_SV_bEUlT_E_NS1_11comp_targetILNS1_3genE10ELNS1_11target_archE1200ELNS1_3gpuE4ELNS1_3repE0EEENS1_30default_config_static_selectorELNS0_4arch9wavefront6targetE0EEEvSP_,comdat
	.protected	_ZN7rocprim17ROCPRIM_400000_NS6detail17trampoline_kernelINS0_14default_configENS1_29binary_search_config_selectorIybEEZNS1_14transform_implILb0ES3_S5_N6thrust23THRUST_200600_302600_NS6detail15normal_iteratorINS8_10device_ptrIyEEEENSA_INSB_IbEEEEZNS1_13binary_searchIS3_S5_SD_SD_SF_NS1_16binary_search_opENS9_16wrapped_functionINS0_4lessIvEEbEEEE10hipError_tPvRmT1_T2_T3_mmT4_T5_P12ihipStream_tbEUlRKyE_EESM_SQ_SR_mSS_SV_bEUlT_E_NS1_11comp_targetILNS1_3genE10ELNS1_11target_archE1200ELNS1_3gpuE4ELNS1_3repE0EEENS1_30default_config_static_selectorELNS0_4arch9wavefront6targetE0EEEvSP_ ; -- Begin function _ZN7rocprim17ROCPRIM_400000_NS6detail17trampoline_kernelINS0_14default_configENS1_29binary_search_config_selectorIybEEZNS1_14transform_implILb0ES3_S5_N6thrust23THRUST_200600_302600_NS6detail15normal_iteratorINS8_10device_ptrIyEEEENSA_INSB_IbEEEEZNS1_13binary_searchIS3_S5_SD_SD_SF_NS1_16binary_search_opENS9_16wrapped_functionINS0_4lessIvEEbEEEE10hipError_tPvRmT1_T2_T3_mmT4_T5_P12ihipStream_tbEUlRKyE_EESM_SQ_SR_mSS_SV_bEUlT_E_NS1_11comp_targetILNS1_3genE10ELNS1_11target_archE1200ELNS1_3gpuE4ELNS1_3repE0EEENS1_30default_config_static_selectorELNS0_4arch9wavefront6targetE0EEEvSP_
	.globl	_ZN7rocprim17ROCPRIM_400000_NS6detail17trampoline_kernelINS0_14default_configENS1_29binary_search_config_selectorIybEEZNS1_14transform_implILb0ES3_S5_N6thrust23THRUST_200600_302600_NS6detail15normal_iteratorINS8_10device_ptrIyEEEENSA_INSB_IbEEEEZNS1_13binary_searchIS3_S5_SD_SD_SF_NS1_16binary_search_opENS9_16wrapped_functionINS0_4lessIvEEbEEEE10hipError_tPvRmT1_T2_T3_mmT4_T5_P12ihipStream_tbEUlRKyE_EESM_SQ_SR_mSS_SV_bEUlT_E_NS1_11comp_targetILNS1_3genE10ELNS1_11target_archE1200ELNS1_3gpuE4ELNS1_3repE0EEENS1_30default_config_static_selectorELNS0_4arch9wavefront6targetE0EEEvSP_
	.p2align	8
	.type	_ZN7rocprim17ROCPRIM_400000_NS6detail17trampoline_kernelINS0_14default_configENS1_29binary_search_config_selectorIybEEZNS1_14transform_implILb0ES3_S5_N6thrust23THRUST_200600_302600_NS6detail15normal_iteratorINS8_10device_ptrIyEEEENSA_INSB_IbEEEEZNS1_13binary_searchIS3_S5_SD_SD_SF_NS1_16binary_search_opENS9_16wrapped_functionINS0_4lessIvEEbEEEE10hipError_tPvRmT1_T2_T3_mmT4_T5_P12ihipStream_tbEUlRKyE_EESM_SQ_SR_mSS_SV_bEUlT_E_NS1_11comp_targetILNS1_3genE10ELNS1_11target_archE1200ELNS1_3gpuE4ELNS1_3repE0EEENS1_30default_config_static_selectorELNS0_4arch9wavefront6targetE0EEEvSP_,@function
_ZN7rocprim17ROCPRIM_400000_NS6detail17trampoline_kernelINS0_14default_configENS1_29binary_search_config_selectorIybEEZNS1_14transform_implILb0ES3_S5_N6thrust23THRUST_200600_302600_NS6detail15normal_iteratorINS8_10device_ptrIyEEEENSA_INSB_IbEEEEZNS1_13binary_searchIS3_S5_SD_SD_SF_NS1_16binary_search_opENS9_16wrapped_functionINS0_4lessIvEEbEEEE10hipError_tPvRmT1_T2_T3_mmT4_T5_P12ihipStream_tbEUlRKyE_EESM_SQ_SR_mSS_SV_bEUlT_E_NS1_11comp_targetILNS1_3genE10ELNS1_11target_archE1200ELNS1_3gpuE4ELNS1_3repE0EEENS1_30default_config_static_selectorELNS0_4arch9wavefront6targetE0EEEvSP_: ; @_ZN7rocprim17ROCPRIM_400000_NS6detail17trampoline_kernelINS0_14default_configENS1_29binary_search_config_selectorIybEEZNS1_14transform_implILb0ES3_S5_N6thrust23THRUST_200600_302600_NS6detail15normal_iteratorINS8_10device_ptrIyEEEENSA_INSB_IbEEEEZNS1_13binary_searchIS3_S5_SD_SD_SF_NS1_16binary_search_opENS9_16wrapped_functionINS0_4lessIvEEbEEEE10hipError_tPvRmT1_T2_T3_mmT4_T5_P12ihipStream_tbEUlRKyE_EESM_SQ_SR_mSS_SV_bEUlT_E_NS1_11comp_targetILNS1_3genE10ELNS1_11target_archE1200ELNS1_3gpuE4ELNS1_3repE0EEENS1_30default_config_static_selectorELNS0_4arch9wavefront6targetE0EEEvSP_
; %bb.0:
	.section	.rodata,"a",@progbits
	.p2align	6, 0x0
	.amdhsa_kernel _ZN7rocprim17ROCPRIM_400000_NS6detail17trampoline_kernelINS0_14default_configENS1_29binary_search_config_selectorIybEEZNS1_14transform_implILb0ES3_S5_N6thrust23THRUST_200600_302600_NS6detail15normal_iteratorINS8_10device_ptrIyEEEENSA_INSB_IbEEEEZNS1_13binary_searchIS3_S5_SD_SD_SF_NS1_16binary_search_opENS9_16wrapped_functionINS0_4lessIvEEbEEEE10hipError_tPvRmT1_T2_T3_mmT4_T5_P12ihipStream_tbEUlRKyE_EESM_SQ_SR_mSS_SV_bEUlT_E_NS1_11comp_targetILNS1_3genE10ELNS1_11target_archE1200ELNS1_3gpuE4ELNS1_3repE0EEENS1_30default_config_static_selectorELNS0_4arch9wavefront6targetE0EEEvSP_
		.amdhsa_group_segment_fixed_size 0
		.amdhsa_private_segment_fixed_size 0
		.amdhsa_kernarg_size 56
		.amdhsa_user_sgpr_count 15
		.amdhsa_user_sgpr_dispatch_ptr 0
		.amdhsa_user_sgpr_queue_ptr 0
		.amdhsa_user_sgpr_kernarg_segment_ptr 1
		.amdhsa_user_sgpr_dispatch_id 0
		.amdhsa_user_sgpr_private_segment_size 0
		.amdhsa_wavefront_size32 1
		.amdhsa_uses_dynamic_stack 0
		.amdhsa_enable_private_segment 0
		.amdhsa_system_sgpr_workgroup_id_x 1
		.amdhsa_system_sgpr_workgroup_id_y 0
		.amdhsa_system_sgpr_workgroup_id_z 0
		.amdhsa_system_sgpr_workgroup_info 0
		.amdhsa_system_vgpr_workitem_id 0
		.amdhsa_next_free_vgpr 1
		.amdhsa_next_free_sgpr 1
		.amdhsa_reserve_vcc 0
		.amdhsa_float_round_mode_32 0
		.amdhsa_float_round_mode_16_64 0
		.amdhsa_float_denorm_mode_32 3
		.amdhsa_float_denorm_mode_16_64 3
		.amdhsa_dx10_clamp 1
		.amdhsa_ieee_mode 1
		.amdhsa_fp16_overflow 0
		.amdhsa_workgroup_processor_mode 1
		.amdhsa_memory_ordered 1
		.amdhsa_forward_progress 0
		.amdhsa_shared_vgpr_count 0
		.amdhsa_exception_fp_ieee_invalid_op 0
		.amdhsa_exception_fp_denorm_src 0
		.amdhsa_exception_fp_ieee_div_zero 0
		.amdhsa_exception_fp_ieee_overflow 0
		.amdhsa_exception_fp_ieee_underflow 0
		.amdhsa_exception_fp_ieee_inexact 0
		.amdhsa_exception_int_div_zero 0
	.end_amdhsa_kernel
	.section	.text._ZN7rocprim17ROCPRIM_400000_NS6detail17trampoline_kernelINS0_14default_configENS1_29binary_search_config_selectorIybEEZNS1_14transform_implILb0ES3_S5_N6thrust23THRUST_200600_302600_NS6detail15normal_iteratorINS8_10device_ptrIyEEEENSA_INSB_IbEEEEZNS1_13binary_searchIS3_S5_SD_SD_SF_NS1_16binary_search_opENS9_16wrapped_functionINS0_4lessIvEEbEEEE10hipError_tPvRmT1_T2_T3_mmT4_T5_P12ihipStream_tbEUlRKyE_EESM_SQ_SR_mSS_SV_bEUlT_E_NS1_11comp_targetILNS1_3genE10ELNS1_11target_archE1200ELNS1_3gpuE4ELNS1_3repE0EEENS1_30default_config_static_selectorELNS0_4arch9wavefront6targetE0EEEvSP_,"axG",@progbits,_ZN7rocprim17ROCPRIM_400000_NS6detail17trampoline_kernelINS0_14default_configENS1_29binary_search_config_selectorIybEEZNS1_14transform_implILb0ES3_S5_N6thrust23THRUST_200600_302600_NS6detail15normal_iteratorINS8_10device_ptrIyEEEENSA_INSB_IbEEEEZNS1_13binary_searchIS3_S5_SD_SD_SF_NS1_16binary_search_opENS9_16wrapped_functionINS0_4lessIvEEbEEEE10hipError_tPvRmT1_T2_T3_mmT4_T5_P12ihipStream_tbEUlRKyE_EESM_SQ_SR_mSS_SV_bEUlT_E_NS1_11comp_targetILNS1_3genE10ELNS1_11target_archE1200ELNS1_3gpuE4ELNS1_3repE0EEENS1_30default_config_static_selectorELNS0_4arch9wavefront6targetE0EEEvSP_,comdat
.Lfunc_end444:
	.size	_ZN7rocprim17ROCPRIM_400000_NS6detail17trampoline_kernelINS0_14default_configENS1_29binary_search_config_selectorIybEEZNS1_14transform_implILb0ES3_S5_N6thrust23THRUST_200600_302600_NS6detail15normal_iteratorINS8_10device_ptrIyEEEENSA_INSB_IbEEEEZNS1_13binary_searchIS3_S5_SD_SD_SF_NS1_16binary_search_opENS9_16wrapped_functionINS0_4lessIvEEbEEEE10hipError_tPvRmT1_T2_T3_mmT4_T5_P12ihipStream_tbEUlRKyE_EESM_SQ_SR_mSS_SV_bEUlT_E_NS1_11comp_targetILNS1_3genE10ELNS1_11target_archE1200ELNS1_3gpuE4ELNS1_3repE0EEENS1_30default_config_static_selectorELNS0_4arch9wavefront6targetE0EEEvSP_, .Lfunc_end444-_ZN7rocprim17ROCPRIM_400000_NS6detail17trampoline_kernelINS0_14default_configENS1_29binary_search_config_selectorIybEEZNS1_14transform_implILb0ES3_S5_N6thrust23THRUST_200600_302600_NS6detail15normal_iteratorINS8_10device_ptrIyEEEENSA_INSB_IbEEEEZNS1_13binary_searchIS3_S5_SD_SD_SF_NS1_16binary_search_opENS9_16wrapped_functionINS0_4lessIvEEbEEEE10hipError_tPvRmT1_T2_T3_mmT4_T5_P12ihipStream_tbEUlRKyE_EESM_SQ_SR_mSS_SV_bEUlT_E_NS1_11comp_targetILNS1_3genE10ELNS1_11target_archE1200ELNS1_3gpuE4ELNS1_3repE0EEENS1_30default_config_static_selectorELNS0_4arch9wavefront6targetE0EEEvSP_
                                        ; -- End function
	.section	.AMDGPU.csdata,"",@progbits
; Kernel info:
; codeLenInByte = 0
; NumSgprs: 0
; NumVgprs: 0
; ScratchSize: 0
; MemoryBound: 0
; FloatMode: 240
; IeeeMode: 1
; LDSByteSize: 0 bytes/workgroup (compile time only)
; SGPRBlocks: 0
; VGPRBlocks: 0
; NumSGPRsForWavesPerEU: 1
; NumVGPRsForWavesPerEU: 1
; Occupancy: 16
; WaveLimiterHint : 0
; COMPUTE_PGM_RSRC2:SCRATCH_EN: 0
; COMPUTE_PGM_RSRC2:USER_SGPR: 15
; COMPUTE_PGM_RSRC2:TRAP_HANDLER: 0
; COMPUTE_PGM_RSRC2:TGID_X_EN: 1
; COMPUTE_PGM_RSRC2:TGID_Y_EN: 0
; COMPUTE_PGM_RSRC2:TGID_Z_EN: 0
; COMPUTE_PGM_RSRC2:TIDIG_COMP_CNT: 0
	.section	.text._ZN7rocprim17ROCPRIM_400000_NS6detail17trampoline_kernelINS0_14default_configENS1_29binary_search_config_selectorIybEEZNS1_14transform_implILb0ES3_S5_N6thrust23THRUST_200600_302600_NS6detail15normal_iteratorINS8_10device_ptrIyEEEENSA_INSB_IbEEEEZNS1_13binary_searchIS3_S5_SD_SD_SF_NS1_16binary_search_opENS9_16wrapped_functionINS0_4lessIvEEbEEEE10hipError_tPvRmT1_T2_T3_mmT4_T5_P12ihipStream_tbEUlRKyE_EESM_SQ_SR_mSS_SV_bEUlT_E_NS1_11comp_targetILNS1_3genE9ELNS1_11target_archE1100ELNS1_3gpuE3ELNS1_3repE0EEENS1_30default_config_static_selectorELNS0_4arch9wavefront6targetE0EEEvSP_,"axG",@progbits,_ZN7rocprim17ROCPRIM_400000_NS6detail17trampoline_kernelINS0_14default_configENS1_29binary_search_config_selectorIybEEZNS1_14transform_implILb0ES3_S5_N6thrust23THRUST_200600_302600_NS6detail15normal_iteratorINS8_10device_ptrIyEEEENSA_INSB_IbEEEEZNS1_13binary_searchIS3_S5_SD_SD_SF_NS1_16binary_search_opENS9_16wrapped_functionINS0_4lessIvEEbEEEE10hipError_tPvRmT1_T2_T3_mmT4_T5_P12ihipStream_tbEUlRKyE_EESM_SQ_SR_mSS_SV_bEUlT_E_NS1_11comp_targetILNS1_3genE9ELNS1_11target_archE1100ELNS1_3gpuE3ELNS1_3repE0EEENS1_30default_config_static_selectorELNS0_4arch9wavefront6targetE0EEEvSP_,comdat
	.protected	_ZN7rocprim17ROCPRIM_400000_NS6detail17trampoline_kernelINS0_14default_configENS1_29binary_search_config_selectorIybEEZNS1_14transform_implILb0ES3_S5_N6thrust23THRUST_200600_302600_NS6detail15normal_iteratorINS8_10device_ptrIyEEEENSA_INSB_IbEEEEZNS1_13binary_searchIS3_S5_SD_SD_SF_NS1_16binary_search_opENS9_16wrapped_functionINS0_4lessIvEEbEEEE10hipError_tPvRmT1_T2_T3_mmT4_T5_P12ihipStream_tbEUlRKyE_EESM_SQ_SR_mSS_SV_bEUlT_E_NS1_11comp_targetILNS1_3genE9ELNS1_11target_archE1100ELNS1_3gpuE3ELNS1_3repE0EEENS1_30default_config_static_selectorELNS0_4arch9wavefront6targetE0EEEvSP_ ; -- Begin function _ZN7rocprim17ROCPRIM_400000_NS6detail17trampoline_kernelINS0_14default_configENS1_29binary_search_config_selectorIybEEZNS1_14transform_implILb0ES3_S5_N6thrust23THRUST_200600_302600_NS6detail15normal_iteratorINS8_10device_ptrIyEEEENSA_INSB_IbEEEEZNS1_13binary_searchIS3_S5_SD_SD_SF_NS1_16binary_search_opENS9_16wrapped_functionINS0_4lessIvEEbEEEE10hipError_tPvRmT1_T2_T3_mmT4_T5_P12ihipStream_tbEUlRKyE_EESM_SQ_SR_mSS_SV_bEUlT_E_NS1_11comp_targetILNS1_3genE9ELNS1_11target_archE1100ELNS1_3gpuE3ELNS1_3repE0EEENS1_30default_config_static_selectorELNS0_4arch9wavefront6targetE0EEEvSP_
	.globl	_ZN7rocprim17ROCPRIM_400000_NS6detail17trampoline_kernelINS0_14default_configENS1_29binary_search_config_selectorIybEEZNS1_14transform_implILb0ES3_S5_N6thrust23THRUST_200600_302600_NS6detail15normal_iteratorINS8_10device_ptrIyEEEENSA_INSB_IbEEEEZNS1_13binary_searchIS3_S5_SD_SD_SF_NS1_16binary_search_opENS9_16wrapped_functionINS0_4lessIvEEbEEEE10hipError_tPvRmT1_T2_T3_mmT4_T5_P12ihipStream_tbEUlRKyE_EESM_SQ_SR_mSS_SV_bEUlT_E_NS1_11comp_targetILNS1_3genE9ELNS1_11target_archE1100ELNS1_3gpuE3ELNS1_3repE0EEENS1_30default_config_static_selectorELNS0_4arch9wavefront6targetE0EEEvSP_
	.p2align	8
	.type	_ZN7rocprim17ROCPRIM_400000_NS6detail17trampoline_kernelINS0_14default_configENS1_29binary_search_config_selectorIybEEZNS1_14transform_implILb0ES3_S5_N6thrust23THRUST_200600_302600_NS6detail15normal_iteratorINS8_10device_ptrIyEEEENSA_INSB_IbEEEEZNS1_13binary_searchIS3_S5_SD_SD_SF_NS1_16binary_search_opENS9_16wrapped_functionINS0_4lessIvEEbEEEE10hipError_tPvRmT1_T2_T3_mmT4_T5_P12ihipStream_tbEUlRKyE_EESM_SQ_SR_mSS_SV_bEUlT_E_NS1_11comp_targetILNS1_3genE9ELNS1_11target_archE1100ELNS1_3gpuE3ELNS1_3repE0EEENS1_30default_config_static_selectorELNS0_4arch9wavefront6targetE0EEEvSP_,@function
_ZN7rocprim17ROCPRIM_400000_NS6detail17trampoline_kernelINS0_14default_configENS1_29binary_search_config_selectorIybEEZNS1_14transform_implILb0ES3_S5_N6thrust23THRUST_200600_302600_NS6detail15normal_iteratorINS8_10device_ptrIyEEEENSA_INSB_IbEEEEZNS1_13binary_searchIS3_S5_SD_SD_SF_NS1_16binary_search_opENS9_16wrapped_functionINS0_4lessIvEEbEEEE10hipError_tPvRmT1_T2_T3_mmT4_T5_P12ihipStream_tbEUlRKyE_EESM_SQ_SR_mSS_SV_bEUlT_E_NS1_11comp_targetILNS1_3genE9ELNS1_11target_archE1100ELNS1_3gpuE3ELNS1_3repE0EEENS1_30default_config_static_selectorELNS0_4arch9wavefront6targetE0EEEvSP_: ; @_ZN7rocprim17ROCPRIM_400000_NS6detail17trampoline_kernelINS0_14default_configENS1_29binary_search_config_selectorIybEEZNS1_14transform_implILb0ES3_S5_N6thrust23THRUST_200600_302600_NS6detail15normal_iteratorINS8_10device_ptrIyEEEENSA_INSB_IbEEEEZNS1_13binary_searchIS3_S5_SD_SD_SF_NS1_16binary_search_opENS9_16wrapped_functionINS0_4lessIvEEbEEEE10hipError_tPvRmT1_T2_T3_mmT4_T5_P12ihipStream_tbEUlRKyE_EESM_SQ_SR_mSS_SV_bEUlT_E_NS1_11comp_targetILNS1_3genE9ELNS1_11target_archE1100ELNS1_3gpuE3ELNS1_3repE0EEENS1_30default_config_static_selectorELNS0_4arch9wavefront6targetE0EEEvSP_
; %bb.0:
	s_clause 0x2
	s_load_b256 s[4:11], s[0:1], 0x0
	s_load_b32 s2, s[0:1], 0x38
	s_load_b128 s[20:23], s[0:1], 0x20
	s_mov_b32 s19, 0
	s_waitcnt lgkmcnt(0)
	s_lshl_b64 s[0:1], s[6:7], 3
	s_delay_alu instid0(SALU_CYCLE_1)
	s_add_u32 s3, s4, s0
	s_addc_u32 s4, s5, s1
	s_add_u32 s17, s10, s6
	s_addc_u32 s24, s11, s7
	s_lshl_b32 s18, s15, 10
	s_add_i32 s2, s2, -1
	s_lshl_b64 s[0:1], s[18:19], 3
	s_delay_alu instid0(SALU_CYCLE_1)
	s_add_u32 s16, s3, s0
	s_addc_u32 s25, s4, s1
	s_cmp_lg_u32 s15, s2
	s_mov_b32 s0, -1
	s_cbranch_scc0 .LBB445_98
; %bb.1:
	v_lshlrev_b32_e32 v1, 3, v0
	s_cmp_lg_u64 s[22:23], 0
	s_mov_b32 s1, 0
	s_cselect_b32 s2, -1, 0
	s_cmp_eq_u64 s[22:23], 0
	v_add_co_u32 v1, s0, s16, v1
	s_delay_alu instid0(VALU_DEP_1)
	v_add_co_ci_u32_e64 v2, null, s25, 0, s0
	s_clause 0x3
	flat_load_b64 v[31:32], v[1:2]
	flat_load_b64 v[29:30], v[1:2] offset:512
	flat_load_b64 v[27:28], v[1:2] offset:1024
	;; [unrolled: 1-line block ×3, first 2 shown]
	v_add_co_u32 v33, vcc_lo, 0x1000, v1
	v_add_co_ci_u32_e32 v34, vcc_lo, 0, v2, vcc_lo
	s_clause 0xb
	flat_load_b64 v[23:24], v[1:2] offset:2048
	flat_load_b64 v[21:22], v[1:2] offset:2560
	;; [unrolled: 1-line block ×4, first 2 shown]
	flat_load_b64 v[15:16], v[33:34]
	flat_load_b64 v[13:14], v[33:34] offset:512
	flat_load_b64 v[11:12], v[33:34] offset:1024
	;; [unrolled: 1-line block ×7, first 2 shown]
	v_mov_b32_e32 v33, 0
	v_mov_b32_e32 v34, 0
	s_cbranch_scc1 .LBB445_5
; %bb.2:
	v_dual_mov_b32 v33, 0 :: v_dual_mov_b32 v36, s23
	v_dual_mov_b32 v34, 0 :: v_dual_mov_b32 v35, s22
	s_set_inst_prefetch_distance 0x1
	.p2align	6
.LBB445_3:                              ; =>This Inner Loop Header: Depth=1
	s_delay_alu instid0(VALU_DEP_1) | instskip(NEXT) | instid1(VALU_DEP_2)
	v_sub_co_u32 v37, vcc_lo, v35, v33
	v_sub_co_ci_u32_e32 v38, vcc_lo, v36, v34, vcc_lo
	s_delay_alu instid0(VALU_DEP_1) | instskip(SKIP_1) | instid1(VALU_DEP_2)
	v_lshrrev_b64 v[39:40], 1, v[37:38]
	v_lshrrev_b64 v[37:38], 6, v[37:38]
	v_add_co_u32 v39, vcc_lo, v39, v33
	s_delay_alu instid0(VALU_DEP_3) | instskip(NEXT) | instid1(VALU_DEP_2)
	v_add_co_ci_u32_e32 v40, vcc_lo, v40, v34, vcc_lo
	v_add_co_u32 v37, vcc_lo, v39, v37
	s_delay_alu instid0(VALU_DEP_2) | instskip(NEXT) | instid1(VALU_DEP_1)
	v_add_co_ci_u32_e32 v38, vcc_lo, v40, v38, vcc_lo
	v_lshlrev_b64 v[39:40], 3, v[37:38]
	s_delay_alu instid0(VALU_DEP_1) | instskip(NEXT) | instid1(VALU_DEP_2)
	v_add_co_u32 v39, vcc_lo, s20, v39
	v_add_co_ci_u32_e32 v40, vcc_lo, s21, v40, vcc_lo
	v_add_co_u32 v41, vcc_lo, v37, 1
	global_load_b64 v[39:40], v[39:40], off
	s_waitcnt vmcnt(0) lgkmcnt(15)
	v_cmp_lt_u64_e64 s0, v[39:40], v[31:32]
	v_add_co_ci_u32_e32 v39, vcc_lo, 0, v38, vcc_lo
	s_delay_alu instid0(VALU_DEP_2) | instskip(SKIP_1) | instid1(VALU_DEP_3)
	v_cndmask_b32_e64 v36, v38, v36, s0
	v_cndmask_b32_e64 v35, v37, v35, s0
	;; [unrolled: 1-line block ×4, first 2 shown]
	s_delay_alu instid0(VALU_DEP_1) | instskip(SKIP_1) | instid1(SALU_CYCLE_1)
	v_cmp_ge_u64_e32 vcc_lo, v[33:34], v[35:36]
	s_or_b32 s1, vcc_lo, s1
	s_and_not1_b32 exec_lo, exec_lo, s1
	s_cbranch_execnz .LBB445_3
; %bb.4:
	s_set_inst_prefetch_distance 0x2
	s_or_b32 exec_lo, exec_lo, s1
.LBB445_5:
	s_mov_b32 s1, 0
	s_mov_b32 s0, exec_lo
	s_delay_alu instid0(VALU_DEP_1)
	v_cmpx_ne_u64_e64 s[22:23], v[33:34]
	s_cbranch_execz .LBB445_7
; %bb.6:
	v_lshlrev_b64 v[33:34], 3, v[33:34]
	s_delay_alu instid0(VALU_DEP_1) | instskip(NEXT) | instid1(VALU_DEP_2)
	v_add_co_u32 v33, vcc_lo, s20, v33
	v_add_co_ci_u32_e32 v34, vcc_lo, s21, v34, vcc_lo
	global_load_b64 v[33:34], v[33:34], off
	s_waitcnt vmcnt(0) lgkmcnt(15)
	v_cmp_le_u64_e32 vcc_lo, v[33:34], v[31:32]
	s_and_b32 s1, vcc_lo, exec_lo
.LBB445_7:
	s_or_b32 exec_lo, exec_lo, s0
	s_waitcnt vmcnt(15) lgkmcnt(15)
	v_mov_b32_e32 v31, 0
	v_cndmask_b32_e64 v35, 0, 1, s2
	v_mov_b32_e32 v32, 0
	s_and_not1_b32 vcc_lo, exec_lo, s2
	s_cbranch_vccnz .LBB445_11
; %bb.8:
	v_dual_mov_b32 v34, s23 :: v_dual_mov_b32 v33, s22
	s_mov_b32 s2, 0
	s_set_inst_prefetch_distance 0x1
	.p2align	6
.LBB445_9:                              ; =>This Inner Loop Header: Depth=1
	s_delay_alu instid0(VALU_DEP_1) | instskip(NEXT) | instid1(VALU_DEP_2)
	v_sub_co_u32 v36, vcc_lo, v33, v31
	v_sub_co_ci_u32_e32 v37, vcc_lo, v34, v32, vcc_lo
	s_delay_alu instid0(VALU_DEP_1) | instskip(SKIP_1) | instid1(VALU_DEP_2)
	v_lshrrev_b64 v[38:39], 1, v[36:37]
	v_lshrrev_b64 v[36:37], 6, v[36:37]
	v_add_co_u32 v38, vcc_lo, v38, v31
	s_delay_alu instid0(VALU_DEP_3) | instskip(NEXT) | instid1(VALU_DEP_2)
	v_add_co_ci_u32_e32 v39, vcc_lo, v39, v32, vcc_lo
	v_add_co_u32 v36, vcc_lo, v38, v36
	s_delay_alu instid0(VALU_DEP_2) | instskip(NEXT) | instid1(VALU_DEP_1)
	v_add_co_ci_u32_e32 v37, vcc_lo, v39, v37, vcc_lo
	v_lshlrev_b64 v[38:39], 3, v[36:37]
	s_delay_alu instid0(VALU_DEP_1) | instskip(NEXT) | instid1(VALU_DEP_2)
	v_add_co_u32 v38, vcc_lo, s20, v38
	v_add_co_ci_u32_e32 v39, vcc_lo, s21, v39, vcc_lo
	v_add_co_u32 v40, vcc_lo, v36, 1
	global_load_b64 v[38:39], v[38:39], off
	s_waitcnt vmcnt(0) lgkmcnt(14)
	v_cmp_lt_u64_e64 s0, v[38:39], v[29:30]
	v_add_co_ci_u32_e32 v38, vcc_lo, 0, v37, vcc_lo
	s_delay_alu instid0(VALU_DEP_2) | instskip(SKIP_1) | instid1(VALU_DEP_3)
	v_cndmask_b32_e64 v34, v37, v34, s0
	v_cndmask_b32_e64 v33, v36, v33, s0
	;; [unrolled: 1-line block ×4, first 2 shown]
	s_delay_alu instid0(VALU_DEP_1) | instskip(SKIP_1) | instid1(SALU_CYCLE_1)
	v_cmp_ge_u64_e32 vcc_lo, v[31:32], v[33:34]
	s_or_b32 s2, vcc_lo, s2
	s_and_not1_b32 exec_lo, exec_lo, s2
	s_cbranch_execnz .LBB445_9
; %bb.10:
	s_set_inst_prefetch_distance 0x2
	s_or_b32 exec_lo, exec_lo, s2
.LBB445_11:
	s_mov_b32 s2, 0
	s_mov_b32 s0, exec_lo
	v_cmpx_ne_u64_e64 s[22:23], v[31:32]
	s_cbranch_execz .LBB445_13
; %bb.12:
	v_lshlrev_b64 v[31:32], 3, v[31:32]
	s_delay_alu instid0(VALU_DEP_1) | instskip(NEXT) | instid1(VALU_DEP_2)
	v_add_co_u32 v31, vcc_lo, s20, v31
	v_add_co_ci_u32_e32 v32, vcc_lo, s21, v32, vcc_lo
	global_load_b64 v[31:32], v[31:32], off
	s_waitcnt vmcnt(0) lgkmcnt(14)
	v_cmp_le_u64_e32 vcc_lo, v[31:32], v[29:30]
	s_and_b32 s2, vcc_lo, exec_lo
.LBB445_13:
	s_or_b32 exec_lo, exec_lo, s0
	v_cmp_ne_u32_e32 vcc_lo, 1, v35
	s_waitcnt vmcnt(14) lgkmcnt(14)
	v_mov_b32_e32 v29, 0
	v_mov_b32_e32 v30, 0
	s_cbranch_vccnz .LBB445_17
; %bb.14:
	v_dual_mov_b32 v32, s23 :: v_dual_mov_b32 v31, s22
	s_mov_b32 s3, 0
	s_set_inst_prefetch_distance 0x1
	.p2align	6
.LBB445_15:                             ; =>This Inner Loop Header: Depth=1
	s_delay_alu instid0(VALU_DEP_1) | instskip(NEXT) | instid1(VALU_DEP_2)
	v_sub_co_u32 v33, vcc_lo, v31, v29
	v_sub_co_ci_u32_e32 v34, vcc_lo, v32, v30, vcc_lo
	s_delay_alu instid0(VALU_DEP_1) | instskip(SKIP_1) | instid1(VALU_DEP_2)
	v_lshrrev_b64 v[36:37], 1, v[33:34]
	v_lshrrev_b64 v[33:34], 6, v[33:34]
	v_add_co_u32 v36, vcc_lo, v36, v29
	s_delay_alu instid0(VALU_DEP_3) | instskip(NEXT) | instid1(VALU_DEP_2)
	v_add_co_ci_u32_e32 v37, vcc_lo, v37, v30, vcc_lo
	v_add_co_u32 v33, vcc_lo, v36, v33
	s_delay_alu instid0(VALU_DEP_2) | instskip(NEXT) | instid1(VALU_DEP_1)
	v_add_co_ci_u32_e32 v34, vcc_lo, v37, v34, vcc_lo
	v_lshlrev_b64 v[36:37], 3, v[33:34]
	s_delay_alu instid0(VALU_DEP_1) | instskip(NEXT) | instid1(VALU_DEP_2)
	v_add_co_u32 v36, vcc_lo, s20, v36
	v_add_co_ci_u32_e32 v37, vcc_lo, s21, v37, vcc_lo
	v_add_co_u32 v38, vcc_lo, v33, 1
	global_load_b64 v[36:37], v[36:37], off
	s_waitcnt vmcnt(0) lgkmcnt(13)
	v_cmp_lt_u64_e64 s0, v[36:37], v[27:28]
	v_add_co_ci_u32_e32 v36, vcc_lo, 0, v34, vcc_lo
	s_delay_alu instid0(VALU_DEP_2) | instskip(SKIP_1) | instid1(VALU_DEP_3)
	v_cndmask_b32_e64 v32, v34, v32, s0
	v_cndmask_b32_e64 v31, v33, v31, s0
	v_cndmask_b32_e64 v30, v30, v36, s0
	v_cndmask_b32_e64 v29, v29, v38, s0
	s_delay_alu instid0(VALU_DEP_1) | instskip(SKIP_1) | instid1(SALU_CYCLE_1)
	v_cmp_ge_u64_e32 vcc_lo, v[29:30], v[31:32]
	s_or_b32 s3, vcc_lo, s3
	s_and_not1_b32 exec_lo, exec_lo, s3
	s_cbranch_execnz .LBB445_15
; %bb.16:
	s_set_inst_prefetch_distance 0x2
	s_or_b32 exec_lo, exec_lo, s3
.LBB445_17:
	s_mov_b32 s3, 0
	s_mov_b32 s0, exec_lo
	s_delay_alu instid0(VALU_DEP_1)
	v_cmpx_ne_u64_e64 s[22:23], v[29:30]
	s_cbranch_execz .LBB445_19
; %bb.18:
	v_lshlrev_b64 v[29:30], 3, v[29:30]
	s_delay_alu instid0(VALU_DEP_1) | instskip(NEXT) | instid1(VALU_DEP_2)
	v_add_co_u32 v29, vcc_lo, s20, v29
	v_add_co_ci_u32_e32 v30, vcc_lo, s21, v30, vcc_lo
	global_load_b64 v[29:30], v[29:30], off
	s_waitcnt vmcnt(0) lgkmcnt(13)
	v_cmp_le_u64_e32 vcc_lo, v[29:30], v[27:28]
	s_and_b32 s3, vcc_lo, exec_lo
.LBB445_19:
	s_or_b32 exec_lo, exec_lo, s0
	v_cmp_ne_u32_e32 vcc_lo, 1, v35
	s_waitcnt vmcnt(13) lgkmcnt(13)
	v_mov_b32_e32 v27, 0
	v_mov_b32_e32 v28, 0
	s_cbranch_vccnz .LBB445_23
; %bb.20:
	v_dual_mov_b32 v30, s23 :: v_dual_mov_b32 v29, s22
	s_mov_b32 s4, 0
	s_set_inst_prefetch_distance 0x1
	.p2align	6
.LBB445_21:                             ; =>This Inner Loop Header: Depth=1
	s_delay_alu instid0(VALU_DEP_1) | instskip(NEXT) | instid1(VALU_DEP_2)
	v_sub_co_u32 v31, vcc_lo, v29, v27
	v_sub_co_ci_u32_e32 v32, vcc_lo, v30, v28, vcc_lo
	s_delay_alu instid0(VALU_DEP_1) | instskip(SKIP_1) | instid1(VALU_DEP_2)
	v_lshrrev_b64 v[33:34], 1, v[31:32]
	v_lshrrev_b64 v[31:32], 6, v[31:32]
	v_add_co_u32 v33, vcc_lo, v33, v27
	s_delay_alu instid0(VALU_DEP_3) | instskip(NEXT) | instid1(VALU_DEP_2)
	v_add_co_ci_u32_e32 v34, vcc_lo, v34, v28, vcc_lo
	v_add_co_u32 v31, vcc_lo, v33, v31
	s_delay_alu instid0(VALU_DEP_2) | instskip(NEXT) | instid1(VALU_DEP_1)
	v_add_co_ci_u32_e32 v32, vcc_lo, v34, v32, vcc_lo
	v_lshlrev_b64 v[33:34], 3, v[31:32]
	s_delay_alu instid0(VALU_DEP_1) | instskip(NEXT) | instid1(VALU_DEP_2)
	v_add_co_u32 v33, vcc_lo, s20, v33
	v_add_co_ci_u32_e32 v34, vcc_lo, s21, v34, vcc_lo
	v_add_co_u32 v36, vcc_lo, v31, 1
	global_load_b64 v[33:34], v[33:34], off
	s_waitcnt vmcnt(0) lgkmcnt(12)
	v_cmp_lt_u64_e64 s0, v[33:34], v[25:26]
	v_add_co_ci_u32_e32 v33, vcc_lo, 0, v32, vcc_lo
	s_delay_alu instid0(VALU_DEP_2) | instskip(SKIP_1) | instid1(VALU_DEP_3)
	v_cndmask_b32_e64 v30, v32, v30, s0
	v_cndmask_b32_e64 v29, v31, v29, s0
	;; [unrolled: 1-line block ×4, first 2 shown]
	s_delay_alu instid0(VALU_DEP_1) | instskip(SKIP_1) | instid1(SALU_CYCLE_1)
	v_cmp_ge_u64_e32 vcc_lo, v[27:28], v[29:30]
	s_or_b32 s4, vcc_lo, s4
	s_and_not1_b32 exec_lo, exec_lo, s4
	s_cbranch_execnz .LBB445_21
; %bb.22:
	s_set_inst_prefetch_distance 0x2
	s_or_b32 exec_lo, exec_lo, s4
.LBB445_23:
	s_mov_b32 s4, 0
	s_mov_b32 s0, exec_lo
	s_delay_alu instid0(VALU_DEP_1)
	v_cmpx_ne_u64_e64 s[22:23], v[27:28]
	s_cbranch_execz .LBB445_25
; %bb.24:
	v_lshlrev_b64 v[27:28], 3, v[27:28]
	s_delay_alu instid0(VALU_DEP_1) | instskip(NEXT) | instid1(VALU_DEP_2)
	v_add_co_u32 v27, vcc_lo, s20, v27
	v_add_co_ci_u32_e32 v28, vcc_lo, s21, v28, vcc_lo
	global_load_b64 v[27:28], v[27:28], off
	s_waitcnt vmcnt(0) lgkmcnt(12)
	v_cmp_le_u64_e32 vcc_lo, v[27:28], v[25:26]
	s_and_b32 s4, vcc_lo, exec_lo
.LBB445_25:
	s_or_b32 exec_lo, exec_lo, s0
	v_cmp_ne_u32_e32 vcc_lo, 1, v35
	s_waitcnt vmcnt(12) lgkmcnt(12)
	v_mov_b32_e32 v25, 0
	v_mov_b32_e32 v26, 0
	s_cbranch_vccnz .LBB445_29
; %bb.26:
	v_dual_mov_b32 v28, s23 :: v_dual_mov_b32 v27, s22
	s_mov_b32 s5, 0
	s_set_inst_prefetch_distance 0x1
	.p2align	6
.LBB445_27:                             ; =>This Inner Loop Header: Depth=1
	s_delay_alu instid0(VALU_DEP_1) | instskip(NEXT) | instid1(VALU_DEP_2)
	v_sub_co_u32 v29, vcc_lo, v27, v25
	v_sub_co_ci_u32_e32 v30, vcc_lo, v28, v26, vcc_lo
	s_delay_alu instid0(VALU_DEP_1) | instskip(SKIP_1) | instid1(VALU_DEP_2)
	v_lshrrev_b64 v[31:32], 1, v[29:30]
	v_lshrrev_b64 v[29:30], 6, v[29:30]
	v_add_co_u32 v31, vcc_lo, v31, v25
	s_delay_alu instid0(VALU_DEP_3) | instskip(NEXT) | instid1(VALU_DEP_2)
	v_add_co_ci_u32_e32 v32, vcc_lo, v32, v26, vcc_lo
	v_add_co_u32 v29, vcc_lo, v31, v29
	s_delay_alu instid0(VALU_DEP_2) | instskip(NEXT) | instid1(VALU_DEP_1)
	v_add_co_ci_u32_e32 v30, vcc_lo, v32, v30, vcc_lo
	v_lshlrev_b64 v[31:32], 3, v[29:30]
	s_delay_alu instid0(VALU_DEP_1) | instskip(NEXT) | instid1(VALU_DEP_2)
	v_add_co_u32 v31, vcc_lo, s20, v31
	v_add_co_ci_u32_e32 v32, vcc_lo, s21, v32, vcc_lo
	v_add_co_u32 v33, vcc_lo, v29, 1
	global_load_b64 v[31:32], v[31:32], off
	s_waitcnt vmcnt(0) lgkmcnt(11)
	v_cmp_lt_u64_e64 s0, v[31:32], v[23:24]
	v_add_co_ci_u32_e32 v31, vcc_lo, 0, v30, vcc_lo
	s_delay_alu instid0(VALU_DEP_2) | instskip(SKIP_1) | instid1(VALU_DEP_3)
	v_cndmask_b32_e64 v28, v30, v28, s0
	v_cndmask_b32_e64 v27, v29, v27, s0
	;; [unrolled: 1-line block ×4, first 2 shown]
	s_delay_alu instid0(VALU_DEP_1) | instskip(SKIP_1) | instid1(SALU_CYCLE_1)
	v_cmp_ge_u64_e32 vcc_lo, v[25:26], v[27:28]
	s_or_b32 s5, vcc_lo, s5
	s_and_not1_b32 exec_lo, exec_lo, s5
	s_cbranch_execnz .LBB445_27
; %bb.28:
	s_set_inst_prefetch_distance 0x2
	s_or_b32 exec_lo, exec_lo, s5
.LBB445_29:
	s_mov_b32 s5, 0
	s_mov_b32 s0, exec_lo
	s_delay_alu instid0(VALU_DEP_1)
	v_cmpx_ne_u64_e64 s[22:23], v[25:26]
	s_cbranch_execz .LBB445_31
; %bb.30:
	v_lshlrev_b64 v[25:26], 3, v[25:26]
	s_delay_alu instid0(VALU_DEP_1) | instskip(NEXT) | instid1(VALU_DEP_2)
	v_add_co_u32 v25, vcc_lo, s20, v25
	v_add_co_ci_u32_e32 v26, vcc_lo, s21, v26, vcc_lo
	global_load_b64 v[25:26], v[25:26], off
	s_waitcnt vmcnt(0) lgkmcnt(11)
	v_cmp_le_u64_e32 vcc_lo, v[25:26], v[23:24]
	s_and_b32 s5, vcc_lo, exec_lo
.LBB445_31:
	s_or_b32 exec_lo, exec_lo, s0
	v_cmp_ne_u32_e32 vcc_lo, 1, v35
	s_waitcnt vmcnt(11) lgkmcnt(11)
	v_mov_b32_e32 v23, 0
	v_mov_b32_e32 v24, 0
	s_cbranch_vccnz .LBB445_35
; %bb.32:
	v_dual_mov_b32 v26, s23 :: v_dual_mov_b32 v25, s22
	s_mov_b32 s6, 0
	s_set_inst_prefetch_distance 0x1
	.p2align	6
.LBB445_33:                             ; =>This Inner Loop Header: Depth=1
	s_delay_alu instid0(VALU_DEP_1) | instskip(NEXT) | instid1(VALU_DEP_2)
	v_sub_co_u32 v27, vcc_lo, v25, v23
	v_sub_co_ci_u32_e32 v28, vcc_lo, v26, v24, vcc_lo
	s_delay_alu instid0(VALU_DEP_1) | instskip(SKIP_1) | instid1(VALU_DEP_2)
	v_lshrrev_b64 v[29:30], 1, v[27:28]
	v_lshrrev_b64 v[27:28], 6, v[27:28]
	v_add_co_u32 v29, vcc_lo, v29, v23
	s_delay_alu instid0(VALU_DEP_3) | instskip(NEXT) | instid1(VALU_DEP_2)
	v_add_co_ci_u32_e32 v30, vcc_lo, v30, v24, vcc_lo
	v_add_co_u32 v27, vcc_lo, v29, v27
	s_delay_alu instid0(VALU_DEP_2) | instskip(NEXT) | instid1(VALU_DEP_1)
	v_add_co_ci_u32_e32 v28, vcc_lo, v30, v28, vcc_lo
	v_lshlrev_b64 v[29:30], 3, v[27:28]
	s_delay_alu instid0(VALU_DEP_1) | instskip(NEXT) | instid1(VALU_DEP_2)
	v_add_co_u32 v29, vcc_lo, s20, v29
	v_add_co_ci_u32_e32 v30, vcc_lo, s21, v30, vcc_lo
	v_add_co_u32 v31, vcc_lo, v27, 1
	global_load_b64 v[29:30], v[29:30], off
	s_waitcnt vmcnt(0) lgkmcnt(10)
	v_cmp_lt_u64_e64 s0, v[29:30], v[21:22]
	v_add_co_ci_u32_e32 v29, vcc_lo, 0, v28, vcc_lo
	s_delay_alu instid0(VALU_DEP_2) | instskip(SKIP_1) | instid1(VALU_DEP_3)
	v_cndmask_b32_e64 v26, v28, v26, s0
	v_cndmask_b32_e64 v25, v27, v25, s0
	;; [unrolled: 1-line block ×4, first 2 shown]
	s_delay_alu instid0(VALU_DEP_1) | instskip(SKIP_1) | instid1(SALU_CYCLE_1)
	v_cmp_ge_u64_e32 vcc_lo, v[23:24], v[25:26]
	s_or_b32 s6, vcc_lo, s6
	s_and_not1_b32 exec_lo, exec_lo, s6
	s_cbranch_execnz .LBB445_33
; %bb.34:
	s_set_inst_prefetch_distance 0x2
	s_or_b32 exec_lo, exec_lo, s6
.LBB445_35:
	s_mov_b32 s6, 0
	s_mov_b32 s0, exec_lo
	s_delay_alu instid0(VALU_DEP_1)
	v_cmpx_ne_u64_e64 s[22:23], v[23:24]
	s_cbranch_execz .LBB445_37
; %bb.36:
	v_lshlrev_b64 v[23:24], 3, v[23:24]
	s_delay_alu instid0(VALU_DEP_1) | instskip(NEXT) | instid1(VALU_DEP_2)
	v_add_co_u32 v23, vcc_lo, s20, v23
	v_add_co_ci_u32_e32 v24, vcc_lo, s21, v24, vcc_lo
	global_load_b64 v[23:24], v[23:24], off
	s_waitcnt vmcnt(0) lgkmcnt(10)
	v_cmp_le_u64_e32 vcc_lo, v[23:24], v[21:22]
	s_and_b32 s6, vcc_lo, exec_lo
.LBB445_37:
	s_or_b32 exec_lo, exec_lo, s0
	v_cmp_ne_u32_e32 vcc_lo, 1, v35
	s_waitcnt vmcnt(10) lgkmcnt(10)
	v_mov_b32_e32 v21, 0
	v_mov_b32_e32 v22, 0
	s_cbranch_vccnz .LBB445_41
; %bb.38:
	v_dual_mov_b32 v24, s23 :: v_dual_mov_b32 v23, s22
	s_mov_b32 s7, 0
	s_set_inst_prefetch_distance 0x1
	.p2align	6
.LBB445_39:                             ; =>This Inner Loop Header: Depth=1
	s_delay_alu instid0(VALU_DEP_1) | instskip(NEXT) | instid1(VALU_DEP_2)
	v_sub_co_u32 v25, vcc_lo, v23, v21
	v_sub_co_ci_u32_e32 v26, vcc_lo, v24, v22, vcc_lo
	s_delay_alu instid0(VALU_DEP_1) | instskip(SKIP_1) | instid1(VALU_DEP_2)
	v_lshrrev_b64 v[27:28], 1, v[25:26]
	v_lshrrev_b64 v[25:26], 6, v[25:26]
	v_add_co_u32 v27, vcc_lo, v27, v21
	s_delay_alu instid0(VALU_DEP_3) | instskip(NEXT) | instid1(VALU_DEP_2)
	v_add_co_ci_u32_e32 v28, vcc_lo, v28, v22, vcc_lo
	v_add_co_u32 v25, vcc_lo, v27, v25
	s_delay_alu instid0(VALU_DEP_2) | instskip(NEXT) | instid1(VALU_DEP_1)
	v_add_co_ci_u32_e32 v26, vcc_lo, v28, v26, vcc_lo
	v_lshlrev_b64 v[27:28], 3, v[25:26]
	s_delay_alu instid0(VALU_DEP_1) | instskip(NEXT) | instid1(VALU_DEP_2)
	v_add_co_u32 v27, vcc_lo, s20, v27
	v_add_co_ci_u32_e32 v28, vcc_lo, s21, v28, vcc_lo
	v_add_co_u32 v29, vcc_lo, v25, 1
	global_load_b64 v[27:28], v[27:28], off
	s_waitcnt vmcnt(0) lgkmcnt(9)
	v_cmp_lt_u64_e64 s0, v[27:28], v[19:20]
	v_add_co_ci_u32_e32 v27, vcc_lo, 0, v26, vcc_lo
	s_delay_alu instid0(VALU_DEP_2) | instskip(SKIP_1) | instid1(VALU_DEP_3)
	v_cndmask_b32_e64 v24, v26, v24, s0
	v_cndmask_b32_e64 v23, v25, v23, s0
	;; [unrolled: 1-line block ×4, first 2 shown]
	s_delay_alu instid0(VALU_DEP_1) | instskip(SKIP_1) | instid1(SALU_CYCLE_1)
	v_cmp_ge_u64_e32 vcc_lo, v[21:22], v[23:24]
	s_or_b32 s7, vcc_lo, s7
	s_and_not1_b32 exec_lo, exec_lo, s7
	s_cbranch_execnz .LBB445_39
; %bb.40:
	s_set_inst_prefetch_distance 0x2
	s_or_b32 exec_lo, exec_lo, s7
.LBB445_41:
	s_mov_b32 s7, 0
	s_mov_b32 s0, exec_lo
	s_delay_alu instid0(VALU_DEP_1)
	v_cmpx_ne_u64_e64 s[22:23], v[21:22]
	s_cbranch_execz .LBB445_43
; %bb.42:
	v_lshlrev_b64 v[21:22], 3, v[21:22]
	s_delay_alu instid0(VALU_DEP_1) | instskip(NEXT) | instid1(VALU_DEP_2)
	v_add_co_u32 v21, vcc_lo, s20, v21
	v_add_co_ci_u32_e32 v22, vcc_lo, s21, v22, vcc_lo
	global_load_b64 v[21:22], v[21:22], off
	s_waitcnt vmcnt(0) lgkmcnt(9)
	v_cmp_le_u64_e32 vcc_lo, v[21:22], v[19:20]
	s_and_b32 s7, vcc_lo, exec_lo
.LBB445_43:
	s_or_b32 exec_lo, exec_lo, s0
	v_cmp_ne_u32_e32 vcc_lo, 1, v35
	s_waitcnt vmcnt(9) lgkmcnt(9)
	v_mov_b32_e32 v19, 0
	v_mov_b32_e32 v20, 0
	s_cbranch_vccnz .LBB445_47
; %bb.44:
	v_dual_mov_b32 v21, s22 :: v_dual_mov_b32 v22, s23
	s_mov_b32 s9, 0
	s_set_inst_prefetch_distance 0x1
	.p2align	6
.LBB445_45:                             ; =>This Inner Loop Header: Depth=1
	s_delay_alu instid0(VALU_DEP_1) | instskip(NEXT) | instid1(VALU_DEP_2)
	v_sub_co_u32 v23, vcc_lo, v21, v19
	v_sub_co_ci_u32_e32 v24, vcc_lo, v22, v20, vcc_lo
	s_delay_alu instid0(VALU_DEP_1) | instskip(SKIP_1) | instid1(VALU_DEP_2)
	v_lshrrev_b64 v[25:26], 1, v[23:24]
	v_lshrrev_b64 v[23:24], 6, v[23:24]
	v_add_co_u32 v25, vcc_lo, v25, v19
	s_delay_alu instid0(VALU_DEP_3) | instskip(NEXT) | instid1(VALU_DEP_2)
	v_add_co_ci_u32_e32 v26, vcc_lo, v26, v20, vcc_lo
	v_add_co_u32 v23, vcc_lo, v25, v23
	s_delay_alu instid0(VALU_DEP_2) | instskip(NEXT) | instid1(VALU_DEP_1)
	v_add_co_ci_u32_e32 v24, vcc_lo, v26, v24, vcc_lo
	v_lshlrev_b64 v[25:26], 3, v[23:24]
	s_delay_alu instid0(VALU_DEP_1) | instskip(NEXT) | instid1(VALU_DEP_2)
	v_add_co_u32 v25, vcc_lo, s20, v25
	v_add_co_ci_u32_e32 v26, vcc_lo, s21, v26, vcc_lo
	v_add_co_u32 v27, vcc_lo, v23, 1
	global_load_b64 v[25:26], v[25:26], off
	s_waitcnt vmcnt(0) lgkmcnt(8)
	v_cmp_lt_u64_e64 s0, v[25:26], v[17:18]
	v_add_co_ci_u32_e32 v25, vcc_lo, 0, v24, vcc_lo
	s_delay_alu instid0(VALU_DEP_2) | instskip(SKIP_1) | instid1(VALU_DEP_3)
	v_cndmask_b32_e64 v22, v24, v22, s0
	v_cndmask_b32_e64 v21, v23, v21, s0
	;; [unrolled: 1-line block ×4, first 2 shown]
	s_delay_alu instid0(VALU_DEP_1) | instskip(SKIP_1) | instid1(SALU_CYCLE_1)
	v_cmp_ge_u64_e32 vcc_lo, v[19:20], v[21:22]
	s_or_b32 s9, vcc_lo, s9
	s_and_not1_b32 exec_lo, exec_lo, s9
	s_cbranch_execnz .LBB445_45
; %bb.46:
	s_set_inst_prefetch_distance 0x2
	s_or_b32 exec_lo, exec_lo, s9
.LBB445_47:
	s_mov_b32 s9, 0
	s_mov_b32 s0, exec_lo
	s_delay_alu instid0(VALU_DEP_1)
	v_cmpx_ne_u64_e64 s[22:23], v[19:20]
	s_cbranch_execz .LBB445_49
; %bb.48:
	v_lshlrev_b64 v[19:20], 3, v[19:20]
	s_delay_alu instid0(VALU_DEP_1) | instskip(NEXT) | instid1(VALU_DEP_2)
	v_add_co_u32 v19, vcc_lo, s20, v19
	v_add_co_ci_u32_e32 v20, vcc_lo, s21, v20, vcc_lo
	global_load_b64 v[19:20], v[19:20], off
	s_waitcnt vmcnt(0) lgkmcnt(8)
	v_cmp_le_u64_e32 vcc_lo, v[19:20], v[17:18]
	s_and_b32 s9, vcc_lo, exec_lo
.LBB445_49:
	s_or_b32 exec_lo, exec_lo, s0
	v_cmp_ne_u32_e32 vcc_lo, 1, v35
	s_waitcnt vmcnt(8) lgkmcnt(8)
	v_mov_b32_e32 v17, 0
	v_mov_b32_e32 v18, 0
	s_cbranch_vccnz .LBB445_53
; %bb.50:
	v_dual_mov_b32 v19, s22 :: v_dual_mov_b32 v20, s23
	s_mov_b32 s10, 0
	s_set_inst_prefetch_distance 0x1
	.p2align	6
.LBB445_51:                             ; =>This Inner Loop Header: Depth=1
	s_delay_alu instid0(VALU_DEP_1) | instskip(NEXT) | instid1(VALU_DEP_2)
	v_sub_co_u32 v21, vcc_lo, v19, v17
	v_sub_co_ci_u32_e32 v22, vcc_lo, v20, v18, vcc_lo
	s_delay_alu instid0(VALU_DEP_1) | instskip(SKIP_1) | instid1(VALU_DEP_2)
	v_lshrrev_b64 v[23:24], 1, v[21:22]
	v_lshrrev_b64 v[21:22], 6, v[21:22]
	v_add_co_u32 v23, vcc_lo, v23, v17
	s_delay_alu instid0(VALU_DEP_3) | instskip(NEXT) | instid1(VALU_DEP_2)
	v_add_co_ci_u32_e32 v24, vcc_lo, v24, v18, vcc_lo
	v_add_co_u32 v21, vcc_lo, v23, v21
	s_delay_alu instid0(VALU_DEP_2) | instskip(NEXT) | instid1(VALU_DEP_1)
	v_add_co_ci_u32_e32 v22, vcc_lo, v24, v22, vcc_lo
	v_lshlrev_b64 v[23:24], 3, v[21:22]
	s_delay_alu instid0(VALU_DEP_1) | instskip(NEXT) | instid1(VALU_DEP_2)
	v_add_co_u32 v23, vcc_lo, s20, v23
	v_add_co_ci_u32_e32 v24, vcc_lo, s21, v24, vcc_lo
	v_add_co_u32 v25, vcc_lo, v21, 1
	global_load_b64 v[23:24], v[23:24], off
	s_waitcnt vmcnt(0) lgkmcnt(7)
	v_cmp_lt_u64_e64 s0, v[23:24], v[15:16]
	v_add_co_ci_u32_e32 v23, vcc_lo, 0, v22, vcc_lo
	s_delay_alu instid0(VALU_DEP_2) | instskip(SKIP_1) | instid1(VALU_DEP_3)
	v_cndmask_b32_e64 v20, v22, v20, s0
	v_cndmask_b32_e64 v19, v21, v19, s0
	v_cndmask_b32_e64 v18, v18, v23, s0
	v_cndmask_b32_e64 v17, v17, v25, s0
	s_delay_alu instid0(VALU_DEP_1) | instskip(SKIP_1) | instid1(SALU_CYCLE_1)
	v_cmp_ge_u64_e32 vcc_lo, v[17:18], v[19:20]
	s_or_b32 s10, vcc_lo, s10
	s_and_not1_b32 exec_lo, exec_lo, s10
	s_cbranch_execnz .LBB445_51
; %bb.52:
	s_set_inst_prefetch_distance 0x2
	s_or_b32 exec_lo, exec_lo, s10
.LBB445_53:
	s_mov_b32 s10, 0
	s_mov_b32 s0, exec_lo
	s_delay_alu instid0(VALU_DEP_1)
	v_cmpx_ne_u64_e64 s[22:23], v[17:18]
	s_cbranch_execz .LBB445_55
; %bb.54:
	v_lshlrev_b64 v[17:18], 3, v[17:18]
	s_delay_alu instid0(VALU_DEP_1) | instskip(NEXT) | instid1(VALU_DEP_2)
	v_add_co_u32 v17, vcc_lo, s20, v17
	v_add_co_ci_u32_e32 v18, vcc_lo, s21, v18, vcc_lo
	global_load_b64 v[17:18], v[17:18], off
	s_waitcnt vmcnt(0) lgkmcnt(7)
	v_cmp_le_u64_e32 vcc_lo, v[17:18], v[15:16]
	s_and_b32 s10, vcc_lo, exec_lo
.LBB445_55:
	s_or_b32 exec_lo, exec_lo, s0
	v_cmp_ne_u32_e32 vcc_lo, 1, v35
	s_waitcnt vmcnt(7) lgkmcnt(7)
	v_mov_b32_e32 v15, 0
	v_mov_b32_e32 v16, 0
	s_cbranch_vccnz .LBB445_59
; %bb.56:
	v_dual_mov_b32 v17, s22 :: v_dual_mov_b32 v18, s23
	s_mov_b32 s11, 0
	s_set_inst_prefetch_distance 0x1
	.p2align	6
.LBB445_57:                             ; =>This Inner Loop Header: Depth=1
	s_delay_alu instid0(VALU_DEP_1) | instskip(NEXT) | instid1(VALU_DEP_2)
	v_sub_co_u32 v19, vcc_lo, v17, v15
	v_sub_co_ci_u32_e32 v20, vcc_lo, v18, v16, vcc_lo
	s_delay_alu instid0(VALU_DEP_1) | instskip(SKIP_1) | instid1(VALU_DEP_2)
	v_lshrrev_b64 v[21:22], 1, v[19:20]
	v_lshrrev_b64 v[19:20], 6, v[19:20]
	v_add_co_u32 v21, vcc_lo, v21, v15
	s_delay_alu instid0(VALU_DEP_3) | instskip(NEXT) | instid1(VALU_DEP_2)
	v_add_co_ci_u32_e32 v22, vcc_lo, v22, v16, vcc_lo
	v_add_co_u32 v19, vcc_lo, v21, v19
	s_delay_alu instid0(VALU_DEP_2) | instskip(NEXT) | instid1(VALU_DEP_1)
	v_add_co_ci_u32_e32 v20, vcc_lo, v22, v20, vcc_lo
	v_lshlrev_b64 v[21:22], 3, v[19:20]
	s_delay_alu instid0(VALU_DEP_1) | instskip(NEXT) | instid1(VALU_DEP_2)
	v_add_co_u32 v21, vcc_lo, s20, v21
	v_add_co_ci_u32_e32 v22, vcc_lo, s21, v22, vcc_lo
	v_add_co_u32 v23, vcc_lo, v19, 1
	global_load_b64 v[21:22], v[21:22], off
	s_waitcnt vmcnt(0) lgkmcnt(6)
	v_cmp_lt_u64_e64 s0, v[21:22], v[13:14]
	v_add_co_ci_u32_e32 v21, vcc_lo, 0, v20, vcc_lo
	s_delay_alu instid0(VALU_DEP_2) | instskip(SKIP_1) | instid1(VALU_DEP_3)
	v_cndmask_b32_e64 v18, v20, v18, s0
	v_cndmask_b32_e64 v17, v19, v17, s0
	;; [unrolled: 1-line block ×4, first 2 shown]
	s_delay_alu instid0(VALU_DEP_1) | instskip(SKIP_1) | instid1(SALU_CYCLE_1)
	v_cmp_ge_u64_e32 vcc_lo, v[15:16], v[17:18]
	s_or_b32 s11, vcc_lo, s11
	s_and_not1_b32 exec_lo, exec_lo, s11
	s_cbranch_execnz .LBB445_57
; %bb.58:
	s_set_inst_prefetch_distance 0x2
	s_or_b32 exec_lo, exec_lo, s11
.LBB445_59:
	s_mov_b32 s11, 0
	s_mov_b32 s0, exec_lo
	s_delay_alu instid0(VALU_DEP_1)
	v_cmpx_ne_u64_e64 s[22:23], v[15:16]
	s_cbranch_execz .LBB445_61
; %bb.60:
	v_lshlrev_b64 v[15:16], 3, v[15:16]
	s_delay_alu instid0(VALU_DEP_1) | instskip(NEXT) | instid1(VALU_DEP_2)
	v_add_co_u32 v15, vcc_lo, s20, v15
	v_add_co_ci_u32_e32 v16, vcc_lo, s21, v16, vcc_lo
	global_load_b64 v[15:16], v[15:16], off
	s_waitcnt vmcnt(0) lgkmcnt(6)
	v_cmp_le_u64_e32 vcc_lo, v[15:16], v[13:14]
	s_and_b32 s11, vcc_lo, exec_lo
.LBB445_61:
	s_or_b32 exec_lo, exec_lo, s0
	v_cmp_ne_u32_e32 vcc_lo, 1, v35
	s_waitcnt vmcnt(6) lgkmcnt(6)
	v_mov_b32_e32 v13, 0
	v_mov_b32_e32 v14, 0
	s_cbranch_vccnz .LBB445_65
; %bb.62:
	v_dual_mov_b32 v15, s22 :: v_dual_mov_b32 v16, s23
	s_mov_b32 s12, 0
	s_set_inst_prefetch_distance 0x1
	.p2align	6
.LBB445_63:                             ; =>This Inner Loop Header: Depth=1
	s_delay_alu instid0(VALU_DEP_1) | instskip(NEXT) | instid1(VALU_DEP_2)
	v_sub_co_u32 v17, vcc_lo, v15, v13
	v_sub_co_ci_u32_e32 v18, vcc_lo, v16, v14, vcc_lo
	s_delay_alu instid0(VALU_DEP_1) | instskip(SKIP_1) | instid1(VALU_DEP_2)
	v_lshrrev_b64 v[19:20], 1, v[17:18]
	v_lshrrev_b64 v[17:18], 6, v[17:18]
	v_add_co_u32 v19, vcc_lo, v19, v13
	s_delay_alu instid0(VALU_DEP_3) | instskip(NEXT) | instid1(VALU_DEP_2)
	v_add_co_ci_u32_e32 v20, vcc_lo, v20, v14, vcc_lo
	v_add_co_u32 v17, vcc_lo, v19, v17
	s_delay_alu instid0(VALU_DEP_2) | instskip(NEXT) | instid1(VALU_DEP_1)
	v_add_co_ci_u32_e32 v18, vcc_lo, v20, v18, vcc_lo
	v_lshlrev_b64 v[19:20], 3, v[17:18]
	s_delay_alu instid0(VALU_DEP_1) | instskip(NEXT) | instid1(VALU_DEP_2)
	v_add_co_u32 v19, vcc_lo, s20, v19
	v_add_co_ci_u32_e32 v20, vcc_lo, s21, v20, vcc_lo
	v_add_co_u32 v21, vcc_lo, v17, 1
	global_load_b64 v[19:20], v[19:20], off
	s_waitcnt vmcnt(0) lgkmcnt(5)
	v_cmp_lt_u64_e64 s0, v[19:20], v[11:12]
	v_add_co_ci_u32_e32 v19, vcc_lo, 0, v18, vcc_lo
	s_delay_alu instid0(VALU_DEP_2) | instskip(SKIP_1) | instid1(VALU_DEP_3)
	v_cndmask_b32_e64 v16, v18, v16, s0
	v_cndmask_b32_e64 v15, v17, v15, s0
	;; [unrolled: 1-line block ×4, first 2 shown]
	s_delay_alu instid0(VALU_DEP_1) | instskip(SKIP_1) | instid1(SALU_CYCLE_1)
	v_cmp_ge_u64_e32 vcc_lo, v[13:14], v[15:16]
	s_or_b32 s12, vcc_lo, s12
	s_and_not1_b32 exec_lo, exec_lo, s12
	s_cbranch_execnz .LBB445_63
; %bb.64:
	s_set_inst_prefetch_distance 0x2
	s_or_b32 exec_lo, exec_lo, s12
.LBB445_65:
	s_mov_b32 s12, 0
	s_mov_b32 s0, exec_lo
	s_delay_alu instid0(VALU_DEP_1)
	v_cmpx_ne_u64_e64 s[22:23], v[13:14]
	s_cbranch_execz .LBB445_67
; %bb.66:
	v_lshlrev_b64 v[13:14], 3, v[13:14]
	s_delay_alu instid0(VALU_DEP_1) | instskip(NEXT) | instid1(VALU_DEP_2)
	v_add_co_u32 v13, vcc_lo, s20, v13
	v_add_co_ci_u32_e32 v14, vcc_lo, s21, v14, vcc_lo
	global_load_b64 v[13:14], v[13:14], off
	s_waitcnt vmcnt(0) lgkmcnt(5)
	v_cmp_le_u64_e32 vcc_lo, v[13:14], v[11:12]
	s_and_b32 s12, vcc_lo, exec_lo
.LBB445_67:
	s_or_b32 exec_lo, exec_lo, s0
	v_cmp_ne_u32_e32 vcc_lo, 1, v35
	s_waitcnt vmcnt(5) lgkmcnt(5)
	v_mov_b32_e32 v11, 0
	v_mov_b32_e32 v12, 0
	s_cbranch_vccnz .LBB445_71
; %bb.68:
	v_dual_mov_b32 v13, s22 :: v_dual_mov_b32 v14, s23
	s_mov_b32 s13, 0
	s_set_inst_prefetch_distance 0x1
	.p2align	6
.LBB445_69:                             ; =>This Inner Loop Header: Depth=1
	s_delay_alu instid0(VALU_DEP_1) | instskip(NEXT) | instid1(VALU_DEP_2)
	v_sub_co_u32 v15, vcc_lo, v13, v11
	v_sub_co_ci_u32_e32 v16, vcc_lo, v14, v12, vcc_lo
	s_delay_alu instid0(VALU_DEP_1) | instskip(SKIP_1) | instid1(VALU_DEP_2)
	v_lshrrev_b64 v[17:18], 1, v[15:16]
	v_lshrrev_b64 v[15:16], 6, v[15:16]
	v_add_co_u32 v17, vcc_lo, v17, v11
	s_delay_alu instid0(VALU_DEP_3) | instskip(NEXT) | instid1(VALU_DEP_2)
	v_add_co_ci_u32_e32 v18, vcc_lo, v18, v12, vcc_lo
	v_add_co_u32 v15, vcc_lo, v17, v15
	s_delay_alu instid0(VALU_DEP_2) | instskip(NEXT) | instid1(VALU_DEP_1)
	v_add_co_ci_u32_e32 v16, vcc_lo, v18, v16, vcc_lo
	v_lshlrev_b64 v[17:18], 3, v[15:16]
	s_delay_alu instid0(VALU_DEP_1) | instskip(NEXT) | instid1(VALU_DEP_2)
	v_add_co_u32 v17, vcc_lo, s20, v17
	v_add_co_ci_u32_e32 v18, vcc_lo, s21, v18, vcc_lo
	v_add_co_u32 v19, vcc_lo, v15, 1
	global_load_b64 v[17:18], v[17:18], off
	s_waitcnt vmcnt(0) lgkmcnt(4)
	v_cmp_lt_u64_e64 s0, v[17:18], v[9:10]
	v_add_co_ci_u32_e32 v17, vcc_lo, 0, v16, vcc_lo
	s_delay_alu instid0(VALU_DEP_2) | instskip(SKIP_1) | instid1(VALU_DEP_3)
	v_cndmask_b32_e64 v14, v16, v14, s0
	v_cndmask_b32_e64 v13, v15, v13, s0
	v_cndmask_b32_e64 v12, v12, v17, s0
	v_cndmask_b32_e64 v11, v11, v19, s0
	s_delay_alu instid0(VALU_DEP_1) | instskip(SKIP_1) | instid1(SALU_CYCLE_1)
	v_cmp_ge_u64_e32 vcc_lo, v[11:12], v[13:14]
	s_or_b32 s13, vcc_lo, s13
	s_and_not1_b32 exec_lo, exec_lo, s13
	s_cbranch_execnz .LBB445_69
; %bb.70:
	s_set_inst_prefetch_distance 0x2
	s_or_b32 exec_lo, exec_lo, s13
.LBB445_71:
	s_mov_b32 s13, 0
	s_mov_b32 s0, exec_lo
	s_delay_alu instid0(VALU_DEP_1)
	v_cmpx_ne_u64_e64 s[22:23], v[11:12]
	s_cbranch_execz .LBB445_73
; %bb.72:
	v_lshlrev_b64 v[11:12], 3, v[11:12]
	s_delay_alu instid0(VALU_DEP_1) | instskip(NEXT) | instid1(VALU_DEP_2)
	v_add_co_u32 v11, vcc_lo, s20, v11
	v_add_co_ci_u32_e32 v12, vcc_lo, s21, v12, vcc_lo
	global_load_b64 v[11:12], v[11:12], off
	s_waitcnt vmcnt(0) lgkmcnt(4)
	v_cmp_le_u64_e32 vcc_lo, v[11:12], v[9:10]
	s_and_b32 s13, vcc_lo, exec_lo
.LBB445_73:
	s_or_b32 exec_lo, exec_lo, s0
	v_cmp_ne_u32_e32 vcc_lo, 1, v35
	s_waitcnt vmcnt(4) lgkmcnt(4)
	v_mov_b32_e32 v9, 0
	v_mov_b32_e32 v10, 0
	s_cbranch_vccnz .LBB445_77
; %bb.74:
	v_dual_mov_b32 v11, s22 :: v_dual_mov_b32 v12, s23
	s_mov_b32 s14, 0
	s_set_inst_prefetch_distance 0x1
	.p2align	6
.LBB445_75:                             ; =>This Inner Loop Header: Depth=1
	s_delay_alu instid0(VALU_DEP_1) | instskip(NEXT) | instid1(VALU_DEP_2)
	v_sub_co_u32 v13, vcc_lo, v11, v9
	v_sub_co_ci_u32_e32 v14, vcc_lo, v12, v10, vcc_lo
	s_delay_alu instid0(VALU_DEP_1) | instskip(SKIP_1) | instid1(VALU_DEP_2)
	v_lshrrev_b64 v[15:16], 1, v[13:14]
	v_lshrrev_b64 v[13:14], 6, v[13:14]
	v_add_co_u32 v15, vcc_lo, v15, v9
	s_delay_alu instid0(VALU_DEP_3) | instskip(NEXT) | instid1(VALU_DEP_2)
	v_add_co_ci_u32_e32 v16, vcc_lo, v16, v10, vcc_lo
	v_add_co_u32 v13, vcc_lo, v15, v13
	s_delay_alu instid0(VALU_DEP_2) | instskip(NEXT) | instid1(VALU_DEP_1)
	v_add_co_ci_u32_e32 v14, vcc_lo, v16, v14, vcc_lo
	v_lshlrev_b64 v[15:16], 3, v[13:14]
	s_delay_alu instid0(VALU_DEP_1) | instskip(NEXT) | instid1(VALU_DEP_2)
	v_add_co_u32 v15, vcc_lo, s20, v15
	v_add_co_ci_u32_e32 v16, vcc_lo, s21, v16, vcc_lo
	v_add_co_u32 v17, vcc_lo, v13, 1
	global_load_b64 v[15:16], v[15:16], off
	s_waitcnt vmcnt(0) lgkmcnt(3)
	v_cmp_lt_u64_e64 s0, v[15:16], v[7:8]
	v_add_co_ci_u32_e32 v15, vcc_lo, 0, v14, vcc_lo
	s_delay_alu instid0(VALU_DEP_2) | instskip(SKIP_1) | instid1(VALU_DEP_3)
	v_cndmask_b32_e64 v12, v14, v12, s0
	v_cndmask_b32_e64 v11, v13, v11, s0
	;; [unrolled: 1-line block ×4, first 2 shown]
	s_delay_alu instid0(VALU_DEP_1) | instskip(SKIP_1) | instid1(SALU_CYCLE_1)
	v_cmp_ge_u64_e32 vcc_lo, v[9:10], v[11:12]
	s_or_b32 s14, vcc_lo, s14
	s_and_not1_b32 exec_lo, exec_lo, s14
	s_cbranch_execnz .LBB445_75
; %bb.76:
	s_set_inst_prefetch_distance 0x2
	s_or_b32 exec_lo, exec_lo, s14
.LBB445_77:
	s_mov_b32 s14, 0
	s_mov_b32 s0, exec_lo
	s_delay_alu instid0(VALU_DEP_1)
	v_cmpx_ne_u64_e64 s[22:23], v[9:10]
	s_cbranch_execz .LBB445_79
; %bb.78:
	v_lshlrev_b64 v[9:10], 3, v[9:10]
	s_delay_alu instid0(VALU_DEP_1) | instskip(NEXT) | instid1(VALU_DEP_2)
	v_add_co_u32 v9, vcc_lo, s20, v9
	v_add_co_ci_u32_e32 v10, vcc_lo, s21, v10, vcc_lo
	global_load_b64 v[9:10], v[9:10], off
	s_waitcnt vmcnt(0) lgkmcnt(3)
	v_cmp_le_u64_e32 vcc_lo, v[9:10], v[7:8]
	s_and_b32 s14, vcc_lo, exec_lo
.LBB445_79:
	s_or_b32 exec_lo, exec_lo, s0
	v_cmp_ne_u32_e32 vcc_lo, 1, v35
	s_waitcnt vmcnt(3) lgkmcnt(3)
	v_mov_b32_e32 v7, 0
	v_mov_b32_e32 v8, 0
	s_cbranch_vccnz .LBB445_83
; %bb.80:
	v_dual_mov_b32 v9, s22 :: v_dual_mov_b32 v10, s23
	s_mov_b32 s15, 0
	s_set_inst_prefetch_distance 0x1
	.p2align	6
.LBB445_81:                             ; =>This Inner Loop Header: Depth=1
	s_delay_alu instid0(VALU_DEP_1) | instskip(NEXT) | instid1(VALU_DEP_2)
	v_sub_co_u32 v11, vcc_lo, v9, v7
	v_sub_co_ci_u32_e32 v12, vcc_lo, v10, v8, vcc_lo
	s_delay_alu instid0(VALU_DEP_1) | instskip(SKIP_1) | instid1(VALU_DEP_2)
	v_lshrrev_b64 v[13:14], 1, v[11:12]
	v_lshrrev_b64 v[11:12], 6, v[11:12]
	v_add_co_u32 v13, vcc_lo, v13, v7
	s_delay_alu instid0(VALU_DEP_3) | instskip(NEXT) | instid1(VALU_DEP_2)
	v_add_co_ci_u32_e32 v14, vcc_lo, v14, v8, vcc_lo
	v_add_co_u32 v11, vcc_lo, v13, v11
	s_delay_alu instid0(VALU_DEP_2) | instskip(NEXT) | instid1(VALU_DEP_1)
	v_add_co_ci_u32_e32 v12, vcc_lo, v14, v12, vcc_lo
	v_lshlrev_b64 v[13:14], 3, v[11:12]
	s_delay_alu instid0(VALU_DEP_1) | instskip(NEXT) | instid1(VALU_DEP_2)
	v_add_co_u32 v13, vcc_lo, s20, v13
	v_add_co_ci_u32_e32 v14, vcc_lo, s21, v14, vcc_lo
	v_add_co_u32 v15, vcc_lo, v11, 1
	global_load_b64 v[13:14], v[13:14], off
	s_waitcnt vmcnt(0) lgkmcnt(2)
	v_cmp_lt_u64_e64 s0, v[13:14], v[5:6]
	v_add_co_ci_u32_e32 v13, vcc_lo, 0, v12, vcc_lo
	s_delay_alu instid0(VALU_DEP_2) | instskip(SKIP_1) | instid1(VALU_DEP_3)
	v_cndmask_b32_e64 v10, v12, v10, s0
	v_cndmask_b32_e64 v9, v11, v9, s0
	;; [unrolled: 1-line block ×4, first 2 shown]
	s_delay_alu instid0(VALU_DEP_1) | instskip(SKIP_1) | instid1(SALU_CYCLE_1)
	v_cmp_ge_u64_e32 vcc_lo, v[7:8], v[9:10]
	s_or_b32 s15, vcc_lo, s15
	s_and_not1_b32 exec_lo, exec_lo, s15
	s_cbranch_execnz .LBB445_81
; %bb.82:
	s_set_inst_prefetch_distance 0x2
	s_or_b32 exec_lo, exec_lo, s15
.LBB445_83:
	s_mov_b32 s15, 0
	s_mov_b32 s0, exec_lo
	s_delay_alu instid0(VALU_DEP_1)
	v_cmpx_ne_u64_e64 s[22:23], v[7:8]
	s_cbranch_execz .LBB445_85
; %bb.84:
	v_lshlrev_b64 v[7:8], 3, v[7:8]
	s_delay_alu instid0(VALU_DEP_1) | instskip(NEXT) | instid1(VALU_DEP_2)
	v_add_co_u32 v7, vcc_lo, s20, v7
	v_add_co_ci_u32_e32 v8, vcc_lo, s21, v8, vcc_lo
	global_load_b64 v[7:8], v[7:8], off
	s_waitcnt vmcnt(0) lgkmcnt(2)
	v_cmp_le_u64_e32 vcc_lo, v[7:8], v[5:6]
	s_and_b32 s15, vcc_lo, exec_lo
.LBB445_85:
	s_or_b32 exec_lo, exec_lo, s0
	v_cmp_ne_u32_e32 vcc_lo, 1, v35
	s_waitcnt vmcnt(2) lgkmcnt(2)
	v_mov_b32_e32 v5, 0
	v_mov_b32_e32 v6, 0
	s_cbranch_vccnz .LBB445_89
; %bb.86:
	v_dual_mov_b32 v7, s22 :: v_dual_mov_b32 v8, s23
	s_mov_b32 s19, 0
	s_set_inst_prefetch_distance 0x1
	.p2align	6
.LBB445_87:                             ; =>This Inner Loop Header: Depth=1
	s_delay_alu instid0(VALU_DEP_1) | instskip(NEXT) | instid1(VALU_DEP_2)
	v_sub_co_u32 v9, vcc_lo, v7, v5
	v_sub_co_ci_u32_e32 v10, vcc_lo, v8, v6, vcc_lo
	s_delay_alu instid0(VALU_DEP_1) | instskip(SKIP_1) | instid1(VALU_DEP_2)
	v_lshrrev_b64 v[11:12], 1, v[9:10]
	v_lshrrev_b64 v[9:10], 6, v[9:10]
	v_add_co_u32 v11, vcc_lo, v11, v5
	s_delay_alu instid0(VALU_DEP_3) | instskip(NEXT) | instid1(VALU_DEP_2)
	v_add_co_ci_u32_e32 v12, vcc_lo, v12, v6, vcc_lo
	v_add_co_u32 v9, vcc_lo, v11, v9
	s_delay_alu instid0(VALU_DEP_2) | instskip(NEXT) | instid1(VALU_DEP_1)
	v_add_co_ci_u32_e32 v10, vcc_lo, v12, v10, vcc_lo
	v_lshlrev_b64 v[11:12], 3, v[9:10]
	s_delay_alu instid0(VALU_DEP_1) | instskip(NEXT) | instid1(VALU_DEP_2)
	v_add_co_u32 v11, vcc_lo, s20, v11
	v_add_co_ci_u32_e32 v12, vcc_lo, s21, v12, vcc_lo
	v_add_co_u32 v13, vcc_lo, v9, 1
	global_load_b64 v[11:12], v[11:12], off
	s_waitcnt vmcnt(0) lgkmcnt(1)
	v_cmp_lt_u64_e64 s0, v[11:12], v[3:4]
	v_add_co_ci_u32_e32 v11, vcc_lo, 0, v10, vcc_lo
	s_delay_alu instid0(VALU_DEP_2) | instskip(SKIP_1) | instid1(VALU_DEP_3)
	v_cndmask_b32_e64 v8, v10, v8, s0
	v_cndmask_b32_e64 v7, v9, v7, s0
	;; [unrolled: 1-line block ×4, first 2 shown]
	s_delay_alu instid0(VALU_DEP_1) | instskip(SKIP_1) | instid1(SALU_CYCLE_1)
	v_cmp_ge_u64_e32 vcc_lo, v[5:6], v[7:8]
	s_or_b32 s19, vcc_lo, s19
	s_and_not1_b32 exec_lo, exec_lo, s19
	s_cbranch_execnz .LBB445_87
; %bb.88:
	s_set_inst_prefetch_distance 0x2
	s_or_b32 exec_lo, exec_lo, s19
.LBB445_89:
	s_mov_b32 s19, 0
	s_mov_b32 s0, exec_lo
	s_delay_alu instid0(VALU_DEP_1)
	v_cmpx_ne_u64_e64 s[22:23], v[5:6]
	s_cbranch_execz .LBB445_91
; %bb.90:
	v_lshlrev_b64 v[5:6], 3, v[5:6]
	s_delay_alu instid0(VALU_DEP_1) | instskip(NEXT) | instid1(VALU_DEP_2)
	v_add_co_u32 v5, vcc_lo, s20, v5
	v_add_co_ci_u32_e32 v6, vcc_lo, s21, v6, vcc_lo
	global_load_b64 v[5:6], v[5:6], off
	s_waitcnt vmcnt(0) lgkmcnt(1)
	v_cmp_le_u64_e32 vcc_lo, v[5:6], v[3:4]
	s_and_b32 s19, vcc_lo, exec_lo
.LBB445_91:
	s_or_b32 exec_lo, exec_lo, s0
	v_cmp_ne_u32_e32 vcc_lo, 1, v35
	s_waitcnt vmcnt(1) lgkmcnt(1)
	v_mov_b32_e32 v3, 0
	v_mov_b32_e32 v4, 0
	s_cbranch_vccnz .LBB445_95
; %bb.92:
	v_dual_mov_b32 v5, s22 :: v_dual_mov_b32 v6, s23
	s_mov_b32 s26, 0
	s_set_inst_prefetch_distance 0x1
	.p2align	6
.LBB445_93:                             ; =>This Inner Loop Header: Depth=1
	s_delay_alu instid0(VALU_DEP_1) | instskip(NEXT) | instid1(VALU_DEP_2)
	v_sub_co_u32 v7, vcc_lo, v5, v3
	v_sub_co_ci_u32_e32 v8, vcc_lo, v6, v4, vcc_lo
	s_delay_alu instid0(VALU_DEP_1) | instskip(SKIP_1) | instid1(VALU_DEP_2)
	v_lshrrev_b64 v[9:10], 1, v[7:8]
	v_lshrrev_b64 v[7:8], 6, v[7:8]
	v_add_co_u32 v9, vcc_lo, v9, v3
	s_delay_alu instid0(VALU_DEP_3) | instskip(NEXT) | instid1(VALU_DEP_2)
	v_add_co_ci_u32_e32 v10, vcc_lo, v10, v4, vcc_lo
	v_add_co_u32 v7, vcc_lo, v9, v7
	s_delay_alu instid0(VALU_DEP_2) | instskip(NEXT) | instid1(VALU_DEP_1)
	v_add_co_ci_u32_e32 v8, vcc_lo, v10, v8, vcc_lo
	v_lshlrev_b64 v[9:10], 3, v[7:8]
	s_delay_alu instid0(VALU_DEP_1) | instskip(NEXT) | instid1(VALU_DEP_2)
	v_add_co_u32 v9, vcc_lo, s20, v9
	v_add_co_ci_u32_e32 v10, vcc_lo, s21, v10, vcc_lo
	v_add_co_u32 v11, vcc_lo, v7, 1
	global_load_b64 v[9:10], v[9:10], off
	s_waitcnt vmcnt(0) lgkmcnt(0)
	v_cmp_lt_u64_e64 s0, v[9:10], v[1:2]
	v_add_co_ci_u32_e32 v9, vcc_lo, 0, v8, vcc_lo
	s_delay_alu instid0(VALU_DEP_2) | instskip(SKIP_1) | instid1(VALU_DEP_3)
	v_cndmask_b32_e64 v6, v8, v6, s0
	v_cndmask_b32_e64 v5, v7, v5, s0
	;; [unrolled: 1-line block ×4, first 2 shown]
	s_delay_alu instid0(VALU_DEP_1) | instskip(SKIP_1) | instid1(SALU_CYCLE_1)
	v_cmp_ge_u64_e32 vcc_lo, v[3:4], v[5:6]
	s_or_b32 s26, vcc_lo, s26
	s_and_not1_b32 exec_lo, exec_lo, s26
	s_cbranch_execnz .LBB445_93
; %bb.94:
	s_set_inst_prefetch_distance 0x2
	s_or_b32 exec_lo, exec_lo, s26
.LBB445_95:
	s_mov_b32 s0, 0
	s_mov_b32 s26, 0
	s_mov_b32 s27, exec_lo
	v_cmpx_ne_u64_e64 s[22:23], v[3:4]
	s_cbranch_execz .LBB445_97
; %bb.96:
	v_lshlrev_b64 v[3:4], 3, v[3:4]
	s_delay_alu instid0(VALU_DEP_1) | instskip(NEXT) | instid1(VALU_DEP_2)
	v_add_co_u32 v3, vcc_lo, s20, v3
	v_add_co_ci_u32_e32 v4, vcc_lo, s21, v4, vcc_lo
	global_load_b64 v[3:4], v[3:4], off
	s_waitcnt vmcnt(0) lgkmcnt(0)
	v_cmp_le_u64_e32 vcc_lo, v[3:4], v[1:2]
	s_and_b32 s26, vcc_lo, exec_lo
.LBB445_97:
	s_or_b32 exec_lo, exec_lo, s27
	v_cndmask_b32_e64 v15, 0, 1, s1
	s_add_u32 s1, s17, s18
	v_cndmask_b32_e64 v14, 0, 1, s5
	s_addc_u32 s5, s24, 0
	s_waitcnt vmcnt(0) lgkmcnt(0)
	v_add_co_u32 v1, s1, s1, v0
	v_cndmask_b32_e64 v10, 0, 1, s10
	v_add_co_ci_u32_e64 v2, null, s5, 0, s1
	v_cndmask_b32_e64 v9, 0, 1, s11
	v_cndmask_b32_e64 v16, 0, 1, s2
	;; [unrolled: 1-line block ×13, first 2 shown]
	s_clause 0x7
	flat_store_b8 v[1:2], v15
	flat_store_b8 v[1:2], v16 offset:64
	flat_store_b8 v[1:2], v17 offset:128
	;; [unrolled: 1-line block ×7, first 2 shown]
	s_mov_b32 s19, -1
	s_clause 0x6
	flat_store_b8 v[1:2], v10 offset:512
	flat_store_b8 v[1:2], v9 offset:576
	;; [unrolled: 1-line block ×7, first 2 shown]
	s_and_b32 vcc_lo, exec_lo, s0
	s_cbranch_vccnz .LBB445_99
	s_branch .LBB445_277
.LBB445_98:
                                        ; implicit-def: $vgpr3
                                        ; implicit-def: $vgpr1_vgpr2
	s_and_b32 vcc_lo, exec_lo, s0
	s_cbranch_vccz .LBB445_277
.LBB445_99:
	s_sub_i32 s15, s8, s18
                                        ; implicit-def: $vgpr31_vgpr32
	s_delay_alu instid0(SALU_CYCLE_1) | instskip(NEXT) | instid1(VALU_DEP_1)
	v_cmp_gt_u32_e64 s0, s15, v0
	s_and_saveexec_b32 s1, s0
	s_cbranch_execz .LBB445_101
; %bb.100:
	v_lshlrev_b32_e32 v1, 3, v0
	s_delay_alu instid0(VALU_DEP_1) | instskip(NEXT) | instid1(VALU_DEP_1)
	v_add_co_u32 v1, s2, s16, v1
	v_add_co_ci_u32_e64 v2, null, s25, 0, s2
	flat_load_b64 v[31:32], v[1:2]
.LBB445_101:
	s_or_b32 exec_lo, exec_lo, s1
	v_or_b32_e32 v1, 64, v0
                                        ; implicit-def: $vgpr29_vgpr30
	s_delay_alu instid0(VALU_DEP_1) | instskip(NEXT) | instid1(VALU_DEP_1)
	v_cmp_gt_u32_e64 s1, s15, v1
	s_and_saveexec_b32 s2, s1
	s_cbranch_execz .LBB445_103
; %bb.102:
	v_lshlrev_b32_e32 v1, 3, v0
	s_delay_alu instid0(VALU_DEP_1) | instskip(NEXT) | instid1(VALU_DEP_1)
	v_add_co_u32 v1, s3, s16, v1
	v_add_co_ci_u32_e64 v2, null, s25, 0, s3
	flat_load_b64 v[29:30], v[1:2] offset:512
.LBB445_103:
	s_or_b32 exec_lo, exec_lo, s2
	v_or_b32_e32 v1, 0x80, v0
                                        ; implicit-def: $vgpr27_vgpr28
	s_delay_alu instid0(VALU_DEP_1) | instskip(NEXT) | instid1(VALU_DEP_1)
	v_cmp_gt_u32_e64 s2, s15, v1
	s_and_saveexec_b32 s3, s2
	s_cbranch_execz .LBB445_105
; %bb.104:
	v_lshlrev_b32_e32 v1, 3, v0
	s_delay_alu instid0(VALU_DEP_1) | instskip(NEXT) | instid1(VALU_DEP_1)
	v_add_co_u32 v1, s4, s16, v1
	v_add_co_ci_u32_e64 v2, null, s25, 0, s4
	flat_load_b64 v[27:28], v[1:2] offset:1024
.LBB445_105:
	s_or_b32 exec_lo, exec_lo, s3
	v_or_b32_e32 v1, 0xc0, v0
                                        ; implicit-def: $vgpr25_vgpr26
	s_delay_alu instid0(VALU_DEP_1) | instskip(NEXT) | instid1(VALU_DEP_1)
	v_cmp_gt_u32_e64 s3, s15, v1
	s_and_saveexec_b32 s4, s3
	s_cbranch_execz .LBB445_107
; %bb.106:
	v_lshlrev_b32_e32 v1, 3, v0
	s_delay_alu instid0(VALU_DEP_1) | instskip(NEXT) | instid1(VALU_DEP_1)
	v_add_co_u32 v1, s5, s16, v1
	v_add_co_ci_u32_e64 v2, null, s25, 0, s5
	flat_load_b64 v[25:26], v[1:2] offset:1536
.LBB445_107:
	s_or_b32 exec_lo, exec_lo, s4
	v_or_b32_e32 v1, 0x100, v0
                                        ; implicit-def: $vgpr23_vgpr24
	s_delay_alu instid0(VALU_DEP_1) | instskip(NEXT) | instid1(VALU_DEP_1)
	v_cmp_gt_u32_e64 s4, s15, v1
	s_and_saveexec_b32 s5, s4
	s_cbranch_execz .LBB445_109
; %bb.108:
	v_lshlrev_b32_e32 v1, 3, v0
	s_delay_alu instid0(VALU_DEP_1) | instskip(NEXT) | instid1(VALU_DEP_1)
	v_add_co_u32 v1, s6, s16, v1
	v_add_co_ci_u32_e64 v2, null, s25, 0, s6
	flat_load_b64 v[23:24], v[1:2] offset:2048
.LBB445_109:
	s_or_b32 exec_lo, exec_lo, s5
	v_or_b32_e32 v1, 0x140, v0
                                        ; implicit-def: $vgpr21_vgpr22
	s_delay_alu instid0(VALU_DEP_1) | instskip(NEXT) | instid1(VALU_DEP_1)
	v_cmp_gt_u32_e64 s5, s15, v1
	s_and_saveexec_b32 s6, s5
	s_cbranch_execz .LBB445_111
; %bb.110:
	v_lshlrev_b32_e32 v1, 3, v0
	s_delay_alu instid0(VALU_DEP_1) | instskip(NEXT) | instid1(VALU_DEP_1)
	v_add_co_u32 v1, s7, s16, v1
	v_add_co_ci_u32_e64 v2, null, s25, 0, s7
	flat_load_b64 v[21:22], v[1:2] offset:2560
.LBB445_111:
	s_or_b32 exec_lo, exec_lo, s6
	v_or_b32_e32 v1, 0x180, v0
                                        ; implicit-def: $vgpr19_vgpr20
	s_delay_alu instid0(VALU_DEP_1) | instskip(NEXT) | instid1(VALU_DEP_1)
	v_cmp_gt_u32_e64 s6, s15, v1
	s_and_saveexec_b32 s7, s6
	s_cbranch_execz .LBB445_113
; %bb.112:
	v_lshlrev_b32_e32 v1, 3, v0
	s_delay_alu instid0(VALU_DEP_1) | instskip(NEXT) | instid1(VALU_DEP_1)
	v_add_co_u32 v1, s8, s16, v1
	v_add_co_ci_u32_e64 v2, null, s25, 0, s8
	flat_load_b64 v[19:20], v[1:2] offset:3072
.LBB445_113:
	s_or_b32 exec_lo, exec_lo, s7
	v_or_b32_e32 v1, 0x1c0, v0
                                        ; implicit-def: $vgpr17_vgpr18
	s_delay_alu instid0(VALU_DEP_1) | instskip(NEXT) | instid1(VALU_DEP_1)
	v_cmp_gt_u32_e64 s7, s15, v1
	s_and_saveexec_b32 s8, s7
	s_cbranch_execz .LBB445_115
; %bb.114:
	v_lshlrev_b32_e32 v1, 3, v0
	s_delay_alu instid0(VALU_DEP_1) | instskip(NEXT) | instid1(VALU_DEP_1)
	v_add_co_u32 v1, s9, s16, v1
	v_add_co_ci_u32_e64 v2, null, s25, 0, s9
	flat_load_b64 v[17:18], v[1:2] offset:3584
.LBB445_115:
	s_or_b32 exec_lo, exec_lo, s8
	v_or_b32_e32 v1, 0x200, v0
                                        ; implicit-def: $vgpr15_vgpr16
	s_delay_alu instid0(VALU_DEP_1) | instskip(NEXT) | instid1(VALU_DEP_1)
	v_cmp_gt_u32_e64 s8, s15, v1
	s_and_saveexec_b32 s9, s8
	s_cbranch_execz .LBB445_117
; %bb.116:
	v_lshlrev_b32_e32 v1, 3, v1
	s_delay_alu instid0(VALU_DEP_1) | instskip(NEXT) | instid1(VALU_DEP_1)
	v_add_co_u32 v1, s10, s16, v1
	v_add_co_ci_u32_e64 v2, null, s25, 0, s10
	flat_load_b64 v[15:16], v[1:2]
.LBB445_117:
	s_or_b32 exec_lo, exec_lo, s9
	v_or_b32_e32 v1, 0x240, v0
                                        ; implicit-def: $vgpr13_vgpr14
	s_delay_alu instid0(VALU_DEP_1) | instskip(NEXT) | instid1(VALU_DEP_1)
	v_cmp_gt_u32_e64 s9, s15, v1
	s_and_saveexec_b32 s10, s9
	s_cbranch_execz .LBB445_119
; %bb.118:
	v_lshlrev_b32_e32 v1, 3, v1
	s_delay_alu instid0(VALU_DEP_1) | instskip(NEXT) | instid1(VALU_DEP_1)
	v_add_co_u32 v1, s11, s16, v1
	v_add_co_ci_u32_e64 v2, null, s25, 0, s11
	flat_load_b64 v[13:14], v[1:2]
.LBB445_119:
	s_or_b32 exec_lo, exec_lo, s10
	v_or_b32_e32 v1, 0x280, v0
                                        ; implicit-def: $vgpr11_vgpr12
	s_delay_alu instid0(VALU_DEP_1) | instskip(NEXT) | instid1(VALU_DEP_1)
	v_cmp_gt_u32_e64 s10, s15, v1
	s_and_saveexec_b32 s11, s10
	s_cbranch_execz .LBB445_121
; %bb.120:
	v_lshlrev_b32_e32 v1, 3, v1
	s_delay_alu instid0(VALU_DEP_1) | instskip(NEXT) | instid1(VALU_DEP_1)
	v_add_co_u32 v1, s12, s16, v1
	v_add_co_ci_u32_e64 v2, null, s25, 0, s12
	flat_load_b64 v[11:12], v[1:2]
.LBB445_121:
	s_or_b32 exec_lo, exec_lo, s11
	v_or_b32_e32 v1, 0x2c0, v0
                                        ; implicit-def: $vgpr9_vgpr10
	s_delay_alu instid0(VALU_DEP_1) | instskip(NEXT) | instid1(VALU_DEP_1)
	v_cmp_gt_u32_e64 s11, s15, v1
	s_and_saveexec_b32 s12, s11
	s_cbranch_execz .LBB445_123
; %bb.122:
	v_lshlrev_b32_e32 v1, 3, v1
	s_delay_alu instid0(VALU_DEP_1) | instskip(NEXT) | instid1(VALU_DEP_1)
	v_add_co_u32 v1, s13, s16, v1
	v_add_co_ci_u32_e64 v2, null, s25, 0, s13
	flat_load_b64 v[9:10], v[1:2]
.LBB445_123:
	s_or_b32 exec_lo, exec_lo, s12
	v_or_b32_e32 v1, 0x300, v0
                                        ; implicit-def: $vgpr7_vgpr8
	s_delay_alu instid0(VALU_DEP_1) | instskip(NEXT) | instid1(VALU_DEP_1)
	v_cmp_gt_u32_e64 s12, s15, v1
	s_and_saveexec_b32 s13, s12
	s_cbranch_execz .LBB445_125
; %bb.124:
	v_lshlrev_b32_e32 v1, 3, v1
	s_delay_alu instid0(VALU_DEP_1) | instskip(NEXT) | instid1(VALU_DEP_1)
	v_add_co_u32 v1, s14, s16, v1
	v_add_co_ci_u32_e64 v2, null, s25, 0, s14
	flat_load_b64 v[7:8], v[1:2]
.LBB445_125:
	s_or_b32 exec_lo, exec_lo, s13
	v_or_b32_e32 v1, 0x340, v0
                                        ; implicit-def: $vgpr5_vgpr6
	s_delay_alu instid0(VALU_DEP_1) | instskip(NEXT) | instid1(VALU_DEP_1)
	v_cmp_gt_u32_e64 s13, s15, v1
	s_and_saveexec_b32 s14, s13
	s_cbranch_execz .LBB445_127
; %bb.126:
	v_lshlrev_b32_e32 v1, 3, v1
	s_delay_alu instid0(VALU_DEP_1) | instskip(NEXT) | instid1(VALU_DEP_1)
	v_add_co_u32 v1, s26, s16, v1
	v_add_co_ci_u32_e64 v2, null, s25, 0, s26
	flat_load_b64 v[5:6], v[1:2]
.LBB445_127:
	s_or_b32 exec_lo, exec_lo, s14
	v_or_b32_e32 v1, 0x380, v0
                                        ; implicit-def: $vgpr3_vgpr4
	s_delay_alu instid0(VALU_DEP_1) | instskip(NEXT) | instid1(VALU_DEP_1)
	v_cmp_gt_u32_e64 s14, s15, v1
	s_and_saveexec_b32 s26, s14
	s_cbranch_execz .LBB445_129
; %bb.128:
	v_lshlrev_b32_e32 v1, 3, v1
	s_delay_alu instid0(VALU_DEP_1) | instskip(NEXT) | instid1(VALU_DEP_1)
	v_add_co_u32 v1, s27, s16, v1
	v_add_co_ci_u32_e64 v2, null, s25, 0, s27
	flat_load_b64 v[3:4], v[1:2]
.LBB445_129:
	s_or_b32 exec_lo, exec_lo, s26
	v_or_b32_e32 v33, 0x3c0, v0
                                        ; implicit-def: $vgpr1_vgpr2
	s_delay_alu instid0(VALU_DEP_1) | instskip(NEXT) | instid1(VALU_DEP_1)
	v_cmp_gt_u32_e64 s15, s15, v33
	s_and_saveexec_b32 s26, s15
	s_cbranch_execz .LBB445_131
; %bb.130:
	v_lshlrev_b32_e32 v1, 3, v33
	s_delay_alu instid0(VALU_DEP_1) | instskip(NEXT) | instid1(VALU_DEP_1)
	v_add_co_u32 v1, s16, s16, v1
	v_add_co_ci_u32_e64 v2, null, s25, 0, s16
	flat_load_b64 v[1:2], v[1:2]
.LBB445_131:
	s_or_b32 exec_lo, exec_lo, s26
	s_cmp_lg_u64 s[22:23], 0
                                        ; implicit-def: $vgpr35
	s_cselect_b32 s25, -1, 0
	s_and_saveexec_b32 s26, s0
	s_cbranch_execnz .LBB445_147
; %bb.132:
	s_or_b32 exec_lo, exec_lo, s26
                                        ; implicit-def: $vgpr33
	s_and_saveexec_b32 s26, s1
	s_cbranch_execnz .LBB445_154
.LBB445_133:
	s_or_b32 exec_lo, exec_lo, s26
                                        ; implicit-def: $vgpr31
	s_and_saveexec_b32 s26, s2
	s_cbranch_execnz .LBB445_161
.LBB445_134:
	s_or_b32 exec_lo, exec_lo, s26
                                        ; implicit-def: $vgpr29
	s_and_saveexec_b32 s26, s3
	s_cbranch_execnz .LBB445_168
.LBB445_135:
	s_or_b32 exec_lo, exec_lo, s26
                                        ; implicit-def: $vgpr27
	s_and_saveexec_b32 s26, s4
	s_cbranch_execnz .LBB445_175
.LBB445_136:
	s_or_b32 exec_lo, exec_lo, s26
                                        ; implicit-def: $vgpr25
	s_and_saveexec_b32 s26, s5
	s_cbranch_execnz .LBB445_182
.LBB445_137:
	s_or_b32 exec_lo, exec_lo, s26
                                        ; implicit-def: $vgpr23
	s_and_saveexec_b32 s26, s6
	s_cbranch_execnz .LBB445_189
.LBB445_138:
	s_or_b32 exec_lo, exec_lo, s26
                                        ; implicit-def: $vgpr21
	s_and_saveexec_b32 s26, s7
	s_cbranch_execnz .LBB445_196
.LBB445_139:
	s_or_b32 exec_lo, exec_lo, s26
                                        ; implicit-def: $vgpr19
	s_and_saveexec_b32 s26, s8
	s_cbranch_execnz .LBB445_203
.LBB445_140:
	s_or_b32 exec_lo, exec_lo, s26
                                        ; implicit-def: $vgpr17
	s_and_saveexec_b32 s26, s9
	s_cbranch_execnz .LBB445_210
.LBB445_141:
	s_or_b32 exec_lo, exec_lo, s26
                                        ; implicit-def: $vgpr15
	s_and_saveexec_b32 s26, s10
	s_cbranch_execnz .LBB445_217
.LBB445_142:
	s_or_b32 exec_lo, exec_lo, s26
                                        ; implicit-def: $vgpr13
	s_and_saveexec_b32 s26, s11
	s_cbranch_execnz .LBB445_224
.LBB445_143:
	s_or_b32 exec_lo, exec_lo, s26
                                        ; implicit-def: $vgpr11
	s_and_saveexec_b32 s26, s12
	s_cbranch_execnz .LBB445_231
.LBB445_144:
	s_or_b32 exec_lo, exec_lo, s26
                                        ; implicit-def: $vgpr9
	s_and_saveexec_b32 s26, s13
	s_cbranch_execnz .LBB445_238
.LBB445_145:
	s_or_b32 exec_lo, exec_lo, s26
                                        ; implicit-def: $vgpr7
	s_and_saveexec_b32 s26, s14
	s_cbranch_execnz .LBB445_245
.LBB445_146:
	s_or_b32 exec_lo, exec_lo, s26
                                        ; implicit-def: $vgpr3
	s_and_saveexec_b32 s26, s15
	s_cbranch_execnz .LBB445_252
	s_branch .LBB445_259
.LBB445_147:
	v_mov_b32_e32 v33, 0
	v_mov_b32_e32 v34, 0
	s_and_not1_b32 vcc_lo, exec_lo, s25
	s_cbranch_vccnz .LBB445_151
; %bb.148:
	v_dual_mov_b32 v36, s23 :: v_dual_mov_b32 v35, s22
	s_mov_b32 s27, 0
	s_set_inst_prefetch_distance 0x1
	.p2align	6
.LBB445_149:                            ; =>This Inner Loop Header: Depth=1
	s_delay_alu instid0(VALU_DEP_1) | instskip(NEXT) | instid1(VALU_DEP_2)
	v_sub_co_u32 v37, vcc_lo, v35, v33
	v_sub_co_ci_u32_e32 v38, vcc_lo, v36, v34, vcc_lo
	s_delay_alu instid0(VALU_DEP_1) | instskip(SKIP_1) | instid1(VALU_DEP_2)
	v_lshrrev_b64 v[39:40], 1, v[37:38]
	v_lshrrev_b64 v[37:38], 6, v[37:38]
	v_add_co_u32 v39, vcc_lo, v39, v33
	s_delay_alu instid0(VALU_DEP_3) | instskip(NEXT) | instid1(VALU_DEP_2)
	v_add_co_ci_u32_e32 v40, vcc_lo, v40, v34, vcc_lo
	v_add_co_u32 v37, vcc_lo, v39, v37
	s_delay_alu instid0(VALU_DEP_2) | instskip(NEXT) | instid1(VALU_DEP_1)
	v_add_co_ci_u32_e32 v38, vcc_lo, v40, v38, vcc_lo
	v_lshlrev_b64 v[39:40], 3, v[37:38]
	s_delay_alu instid0(VALU_DEP_1) | instskip(NEXT) | instid1(VALU_DEP_2)
	v_add_co_u32 v39, vcc_lo, s20, v39
	v_add_co_ci_u32_e32 v40, vcc_lo, s21, v40, vcc_lo
	v_add_co_u32 v41, vcc_lo, v37, 1
	global_load_b64 v[39:40], v[39:40], off
	s_waitcnt vmcnt(0) lgkmcnt(0)
	v_cmp_lt_u64_e64 s16, v[39:40], v[31:32]
	v_add_co_ci_u32_e32 v39, vcc_lo, 0, v38, vcc_lo
	s_delay_alu instid0(VALU_DEP_2) | instskip(SKIP_1) | instid1(VALU_DEP_3)
	v_cndmask_b32_e64 v36, v38, v36, s16
	v_cndmask_b32_e64 v35, v37, v35, s16
	;; [unrolled: 1-line block ×4, first 2 shown]
	s_delay_alu instid0(VALU_DEP_1) | instskip(SKIP_1) | instid1(SALU_CYCLE_1)
	v_cmp_ge_u64_e32 vcc_lo, v[33:34], v[35:36]
	s_or_b32 s27, vcc_lo, s27
	s_and_not1_b32 exec_lo, exec_lo, s27
	s_cbranch_execnz .LBB445_149
; %bb.150:
	s_set_inst_prefetch_distance 0x2
	s_or_b32 exec_lo, exec_lo, s27
.LBB445_151:
	s_mov_b32 s27, 0
	s_mov_b32 s16, exec_lo
	v_cmpx_ne_u64_e64 s[22:23], v[33:34]
	s_cbranch_execz .LBB445_153
; %bb.152:
	v_lshlrev_b64 v[33:34], 3, v[33:34]
	s_delay_alu instid0(VALU_DEP_1) | instskip(NEXT) | instid1(VALU_DEP_2)
	v_add_co_u32 v33, vcc_lo, s20, v33
	v_add_co_ci_u32_e32 v34, vcc_lo, s21, v34, vcc_lo
	global_load_b64 v[33:34], v[33:34], off
	s_waitcnt vmcnt(0) lgkmcnt(0)
	v_cmp_le_u64_e32 vcc_lo, v[33:34], v[31:32]
	s_and_b32 s27, vcc_lo, exec_lo
.LBB445_153:
	s_or_b32 exec_lo, exec_lo, s16
	v_cndmask_b32_e64 v35, 0, 1, s27
	s_or_b32 exec_lo, exec_lo, s26
                                        ; implicit-def: $vgpr33
	s_and_saveexec_b32 s26, s1
	s_cbranch_execz .LBB445_133
.LBB445_154:
	s_waitcnt vmcnt(0) lgkmcnt(0)
	v_mov_b32_e32 v31, 0
	v_mov_b32_e32 v32, 0
	s_and_not1_b32 vcc_lo, exec_lo, s25
	s_cbranch_vccnz .LBB445_158
; %bb.155:
	v_dual_mov_b32 v34, s23 :: v_dual_mov_b32 v33, s22
	s_mov_b32 s27, 0
	s_set_inst_prefetch_distance 0x1
	.p2align	6
.LBB445_156:                            ; =>This Inner Loop Header: Depth=1
	s_delay_alu instid0(VALU_DEP_1) | instskip(NEXT) | instid1(VALU_DEP_2)
	v_sub_co_u32 v36, vcc_lo, v33, v31
	v_sub_co_ci_u32_e32 v37, vcc_lo, v34, v32, vcc_lo
	s_delay_alu instid0(VALU_DEP_1) | instskip(SKIP_1) | instid1(VALU_DEP_2)
	v_lshrrev_b64 v[38:39], 1, v[36:37]
	v_lshrrev_b64 v[36:37], 6, v[36:37]
	v_add_co_u32 v38, vcc_lo, v38, v31
	s_delay_alu instid0(VALU_DEP_3) | instskip(NEXT) | instid1(VALU_DEP_2)
	v_add_co_ci_u32_e32 v39, vcc_lo, v39, v32, vcc_lo
	v_add_co_u32 v36, vcc_lo, v38, v36
	s_delay_alu instid0(VALU_DEP_2) | instskip(NEXT) | instid1(VALU_DEP_1)
	v_add_co_ci_u32_e32 v37, vcc_lo, v39, v37, vcc_lo
	v_lshlrev_b64 v[38:39], 3, v[36:37]
	s_delay_alu instid0(VALU_DEP_1) | instskip(NEXT) | instid1(VALU_DEP_2)
	v_add_co_u32 v38, vcc_lo, s20, v38
	v_add_co_ci_u32_e32 v39, vcc_lo, s21, v39, vcc_lo
	v_add_co_u32 v40, vcc_lo, v36, 1
	global_load_b64 v[38:39], v[38:39], off
	s_waitcnt vmcnt(0)
	v_cmp_lt_u64_e64 s16, v[38:39], v[29:30]
	v_add_co_ci_u32_e32 v38, vcc_lo, 0, v37, vcc_lo
	s_delay_alu instid0(VALU_DEP_2) | instskip(SKIP_1) | instid1(VALU_DEP_3)
	v_cndmask_b32_e64 v34, v37, v34, s16
	v_cndmask_b32_e64 v33, v36, v33, s16
	;; [unrolled: 1-line block ×4, first 2 shown]
	s_delay_alu instid0(VALU_DEP_1) | instskip(SKIP_1) | instid1(SALU_CYCLE_1)
	v_cmp_ge_u64_e32 vcc_lo, v[31:32], v[33:34]
	s_or_b32 s27, vcc_lo, s27
	s_and_not1_b32 exec_lo, exec_lo, s27
	s_cbranch_execnz .LBB445_156
; %bb.157:
	s_set_inst_prefetch_distance 0x2
	s_or_b32 exec_lo, exec_lo, s27
.LBB445_158:
	s_mov_b32 s27, 0
	s_mov_b32 s16, exec_lo
	v_cmpx_ne_u64_e64 s[22:23], v[31:32]
	s_cbranch_execz .LBB445_160
; %bb.159:
	v_lshlrev_b64 v[31:32], 3, v[31:32]
	s_delay_alu instid0(VALU_DEP_1) | instskip(NEXT) | instid1(VALU_DEP_2)
	v_add_co_u32 v31, vcc_lo, s20, v31
	v_add_co_ci_u32_e32 v32, vcc_lo, s21, v32, vcc_lo
	global_load_b64 v[31:32], v[31:32], off
	s_waitcnt vmcnt(0)
	v_cmp_le_u64_e32 vcc_lo, v[31:32], v[29:30]
	s_and_b32 s27, vcc_lo, exec_lo
.LBB445_160:
	s_or_b32 exec_lo, exec_lo, s16
	v_cndmask_b32_e64 v33, 0, 1, s27
	s_or_b32 exec_lo, exec_lo, s26
                                        ; implicit-def: $vgpr31
	s_and_saveexec_b32 s26, s2
	s_cbranch_execz .LBB445_134
.LBB445_161:
	s_waitcnt vmcnt(0) lgkmcnt(0)
	v_mov_b32_e32 v29, 0
	v_mov_b32_e32 v30, 0
	s_and_not1_b32 vcc_lo, exec_lo, s25
	s_cbranch_vccnz .LBB445_165
; %bb.162:
	v_dual_mov_b32 v32, s23 :: v_dual_mov_b32 v31, s22
	s_mov_b32 s27, 0
	s_set_inst_prefetch_distance 0x1
	.p2align	6
.LBB445_163:                            ; =>This Inner Loop Header: Depth=1
	s_delay_alu instid0(VALU_DEP_1) | instskip(NEXT) | instid1(VALU_DEP_2)
	v_sub_co_u32 v36, vcc_lo, v31, v29
	v_sub_co_ci_u32_e32 v37, vcc_lo, v32, v30, vcc_lo
	s_delay_alu instid0(VALU_DEP_1) | instskip(SKIP_1) | instid1(VALU_DEP_2)
	v_lshrrev_b64 v[38:39], 1, v[36:37]
	v_lshrrev_b64 v[36:37], 6, v[36:37]
	v_add_co_u32 v34, vcc_lo, v38, v29
	s_delay_alu instid0(VALU_DEP_3) | instskip(NEXT) | instid1(VALU_DEP_2)
	v_add_co_ci_u32_e32 v38, vcc_lo, v39, v30, vcc_lo
	v_add_co_u32 v36, vcc_lo, v34, v36
	s_delay_alu instid0(VALU_DEP_2) | instskip(NEXT) | instid1(VALU_DEP_1)
	v_add_co_ci_u32_e32 v37, vcc_lo, v38, v37, vcc_lo
	v_lshlrev_b64 v[38:39], 3, v[36:37]
	s_delay_alu instid0(VALU_DEP_1) | instskip(NEXT) | instid1(VALU_DEP_2)
	v_add_co_u32 v38, vcc_lo, s20, v38
	v_add_co_ci_u32_e32 v39, vcc_lo, s21, v39, vcc_lo
	v_add_co_u32 v34, vcc_lo, v36, 1
	global_load_b64 v[38:39], v[38:39], off
	s_waitcnt vmcnt(0)
	v_cmp_lt_u64_e64 s16, v[38:39], v[27:28]
	v_add_co_ci_u32_e32 v38, vcc_lo, 0, v37, vcc_lo
	s_delay_alu instid0(VALU_DEP_2) | instskip(SKIP_1) | instid1(VALU_DEP_3)
	v_cndmask_b32_e64 v32, v37, v32, s16
	v_cndmask_b32_e64 v31, v36, v31, s16
	v_cndmask_b32_e64 v30, v30, v38, s16
	v_cndmask_b32_e64 v29, v29, v34, s16
	s_delay_alu instid0(VALU_DEP_1) | instskip(SKIP_1) | instid1(SALU_CYCLE_1)
	v_cmp_ge_u64_e32 vcc_lo, v[29:30], v[31:32]
	s_or_b32 s27, vcc_lo, s27
	s_and_not1_b32 exec_lo, exec_lo, s27
	s_cbranch_execnz .LBB445_163
; %bb.164:
	s_set_inst_prefetch_distance 0x2
	s_or_b32 exec_lo, exec_lo, s27
.LBB445_165:
	s_mov_b32 s27, 0
	s_mov_b32 s16, exec_lo
	v_cmpx_ne_u64_e64 s[22:23], v[29:30]
	s_cbranch_execz .LBB445_167
; %bb.166:
	v_lshlrev_b64 v[29:30], 3, v[29:30]
	s_delay_alu instid0(VALU_DEP_1) | instskip(NEXT) | instid1(VALU_DEP_2)
	v_add_co_u32 v29, vcc_lo, s20, v29
	v_add_co_ci_u32_e32 v30, vcc_lo, s21, v30, vcc_lo
	global_load_b64 v[29:30], v[29:30], off
	s_waitcnt vmcnt(0)
	v_cmp_le_u64_e32 vcc_lo, v[29:30], v[27:28]
	s_and_b32 s27, vcc_lo, exec_lo
.LBB445_167:
	s_or_b32 exec_lo, exec_lo, s16
	v_cndmask_b32_e64 v31, 0, 1, s27
	s_or_b32 exec_lo, exec_lo, s26
                                        ; implicit-def: $vgpr29
	s_and_saveexec_b32 s26, s3
	s_cbranch_execz .LBB445_135
.LBB445_168:
	s_waitcnt vmcnt(0) lgkmcnt(0)
	v_mov_b32_e32 v27, 0
	v_mov_b32_e32 v28, 0
	s_and_not1_b32 vcc_lo, exec_lo, s25
	s_cbranch_vccnz .LBB445_172
; %bb.169:
	v_dual_mov_b32 v30, s23 :: v_dual_mov_b32 v29, s22
	s_mov_b32 s27, 0
	s_set_inst_prefetch_distance 0x1
	.p2align	6
.LBB445_170:                            ; =>This Inner Loop Header: Depth=1
	s_delay_alu instid0(VALU_DEP_1) | instskip(NEXT) | instid1(VALU_DEP_2)
	v_sub_co_u32 v36, vcc_lo, v29, v27
	v_sub_co_ci_u32_e32 v37, vcc_lo, v30, v28, vcc_lo
	s_delay_alu instid0(VALU_DEP_1) | instskip(SKIP_1) | instid1(VALU_DEP_2)
	v_lshrrev_b64 v[38:39], 1, v[36:37]
	v_lshrrev_b64 v[36:37], 6, v[36:37]
	v_add_co_u32 v32, vcc_lo, v38, v27
	s_delay_alu instid0(VALU_DEP_3) | instskip(NEXT) | instid1(VALU_DEP_2)
	v_add_co_ci_u32_e32 v34, vcc_lo, v39, v28, vcc_lo
	v_add_co_u32 v36, vcc_lo, v32, v36
	s_delay_alu instid0(VALU_DEP_2) | instskip(NEXT) | instid1(VALU_DEP_1)
	v_add_co_ci_u32_e32 v37, vcc_lo, v34, v37, vcc_lo
	v_lshlrev_b64 v[38:39], 3, v[36:37]
	s_delay_alu instid0(VALU_DEP_1) | instskip(NEXT) | instid1(VALU_DEP_2)
	v_add_co_u32 v38, vcc_lo, s20, v38
	v_add_co_ci_u32_e32 v39, vcc_lo, s21, v39, vcc_lo
	v_add_co_u32 v32, vcc_lo, v36, 1
	v_add_co_ci_u32_e32 v34, vcc_lo, 0, v37, vcc_lo
	global_load_b64 v[38:39], v[38:39], off
	s_waitcnt vmcnt(0)
	v_cmp_lt_u64_e64 s16, v[38:39], v[25:26]
	s_delay_alu instid0(VALU_DEP_1) | instskip(SKIP_3) | instid1(VALU_DEP_1)
	v_cndmask_b32_e64 v30, v37, v30, s16
	v_cndmask_b32_e64 v29, v36, v29, s16
	;; [unrolled: 1-line block ×4, first 2 shown]
	v_cmp_ge_u64_e32 vcc_lo, v[27:28], v[29:30]
	s_or_b32 s27, vcc_lo, s27
	s_delay_alu instid0(SALU_CYCLE_1)
	s_and_not1_b32 exec_lo, exec_lo, s27
	s_cbranch_execnz .LBB445_170
; %bb.171:
	s_set_inst_prefetch_distance 0x2
	s_or_b32 exec_lo, exec_lo, s27
.LBB445_172:
	s_mov_b32 s27, 0
	s_mov_b32 s16, exec_lo
	v_cmpx_ne_u64_e64 s[22:23], v[27:28]
	s_cbranch_execz .LBB445_174
; %bb.173:
	v_lshlrev_b64 v[27:28], 3, v[27:28]
	s_delay_alu instid0(VALU_DEP_1) | instskip(NEXT) | instid1(VALU_DEP_2)
	v_add_co_u32 v27, vcc_lo, s20, v27
	v_add_co_ci_u32_e32 v28, vcc_lo, s21, v28, vcc_lo
	global_load_b64 v[27:28], v[27:28], off
	s_waitcnt vmcnt(0)
	v_cmp_le_u64_e32 vcc_lo, v[27:28], v[25:26]
	s_and_b32 s27, vcc_lo, exec_lo
.LBB445_174:
	s_or_b32 exec_lo, exec_lo, s16
	v_cndmask_b32_e64 v29, 0, 1, s27
	s_or_b32 exec_lo, exec_lo, s26
                                        ; implicit-def: $vgpr27
	s_and_saveexec_b32 s26, s4
	s_cbranch_execz .LBB445_136
.LBB445_175:
	s_waitcnt vmcnt(0) lgkmcnt(0)
	v_mov_b32_e32 v25, 0
	v_mov_b32_e32 v26, 0
	s_and_not1_b32 vcc_lo, exec_lo, s25
	s_cbranch_vccnz .LBB445_179
; %bb.176:
	v_dual_mov_b32 v28, s23 :: v_dual_mov_b32 v27, s22
	s_mov_b32 s27, 0
	s_set_inst_prefetch_distance 0x1
	.p2align	6
.LBB445_177:                            ; =>This Inner Loop Header: Depth=1
	s_delay_alu instid0(VALU_DEP_1) | instskip(NEXT) | instid1(VALU_DEP_2)
	v_sub_co_u32 v36, vcc_lo, v27, v25
	v_sub_co_ci_u32_e32 v37, vcc_lo, v28, v26, vcc_lo
	s_delay_alu instid0(VALU_DEP_1) | instskip(SKIP_1) | instid1(VALU_DEP_2)
	v_lshrrev_b64 v[38:39], 1, v[36:37]
	v_lshrrev_b64 v[36:37], 6, v[36:37]
	v_add_co_u32 v30, vcc_lo, v38, v25
	s_delay_alu instid0(VALU_DEP_3) | instskip(NEXT) | instid1(VALU_DEP_2)
	v_add_co_ci_u32_e32 v32, vcc_lo, v39, v26, vcc_lo
	v_add_co_u32 v36, vcc_lo, v30, v36
	s_delay_alu instid0(VALU_DEP_2) | instskip(NEXT) | instid1(VALU_DEP_1)
	v_add_co_ci_u32_e32 v37, vcc_lo, v32, v37, vcc_lo
	v_lshlrev_b64 v[38:39], 3, v[36:37]
	s_delay_alu instid0(VALU_DEP_1) | instskip(NEXT) | instid1(VALU_DEP_2)
	v_add_co_u32 v38, vcc_lo, s20, v38
	v_add_co_ci_u32_e32 v39, vcc_lo, s21, v39, vcc_lo
	v_add_co_u32 v30, vcc_lo, v36, 1
	v_add_co_ci_u32_e32 v32, vcc_lo, 0, v37, vcc_lo
	global_load_b64 v[38:39], v[38:39], off
	s_waitcnt vmcnt(0)
	v_cmp_lt_u64_e64 s16, v[38:39], v[23:24]
	s_delay_alu instid0(VALU_DEP_1) | instskip(SKIP_3) | instid1(VALU_DEP_1)
	v_cndmask_b32_e64 v28, v37, v28, s16
	v_cndmask_b32_e64 v27, v36, v27, s16
	v_cndmask_b32_e64 v26, v26, v32, s16
	v_cndmask_b32_e64 v25, v25, v30, s16
	v_cmp_ge_u64_e32 vcc_lo, v[25:26], v[27:28]
	s_or_b32 s27, vcc_lo, s27
	s_delay_alu instid0(SALU_CYCLE_1)
	s_and_not1_b32 exec_lo, exec_lo, s27
	s_cbranch_execnz .LBB445_177
; %bb.178:
	s_set_inst_prefetch_distance 0x2
	s_or_b32 exec_lo, exec_lo, s27
.LBB445_179:
	s_mov_b32 s27, 0
	s_mov_b32 s16, exec_lo
	v_cmpx_ne_u64_e64 s[22:23], v[25:26]
	s_cbranch_execz .LBB445_181
; %bb.180:
	v_lshlrev_b64 v[25:26], 3, v[25:26]
	s_delay_alu instid0(VALU_DEP_1) | instskip(NEXT) | instid1(VALU_DEP_2)
	v_add_co_u32 v25, vcc_lo, s20, v25
	v_add_co_ci_u32_e32 v26, vcc_lo, s21, v26, vcc_lo
	global_load_b64 v[25:26], v[25:26], off
	s_waitcnt vmcnt(0)
	v_cmp_le_u64_e32 vcc_lo, v[25:26], v[23:24]
	s_and_b32 s27, vcc_lo, exec_lo
.LBB445_181:
	s_or_b32 exec_lo, exec_lo, s16
	v_cndmask_b32_e64 v27, 0, 1, s27
	s_or_b32 exec_lo, exec_lo, s26
                                        ; implicit-def: $vgpr25
	s_and_saveexec_b32 s26, s5
	s_cbranch_execz .LBB445_137
.LBB445_182:
	s_waitcnt vmcnt(0) lgkmcnt(0)
	v_mov_b32_e32 v23, 0
	v_mov_b32_e32 v24, 0
	s_and_not1_b32 vcc_lo, exec_lo, s25
	s_cbranch_vccnz .LBB445_186
; %bb.183:
	v_dual_mov_b32 v26, s23 :: v_dual_mov_b32 v25, s22
	s_mov_b32 s27, 0
	s_set_inst_prefetch_distance 0x1
	.p2align	6
.LBB445_184:                            ; =>This Inner Loop Header: Depth=1
	s_delay_alu instid0(VALU_DEP_1) | instskip(NEXT) | instid1(VALU_DEP_2)
	v_sub_co_u32 v36, vcc_lo, v25, v23
	v_sub_co_ci_u32_e32 v37, vcc_lo, v26, v24, vcc_lo
	s_delay_alu instid0(VALU_DEP_1) | instskip(SKIP_1) | instid1(VALU_DEP_2)
	v_lshrrev_b64 v[38:39], 1, v[36:37]
	v_lshrrev_b64 v[36:37], 6, v[36:37]
	v_add_co_u32 v28, vcc_lo, v38, v23
	s_delay_alu instid0(VALU_DEP_3) | instskip(NEXT) | instid1(VALU_DEP_2)
	v_add_co_ci_u32_e32 v30, vcc_lo, v39, v24, vcc_lo
	v_add_co_u32 v36, vcc_lo, v28, v36
	s_delay_alu instid0(VALU_DEP_2) | instskip(NEXT) | instid1(VALU_DEP_1)
	v_add_co_ci_u32_e32 v37, vcc_lo, v30, v37, vcc_lo
	v_lshlrev_b64 v[38:39], 3, v[36:37]
	s_delay_alu instid0(VALU_DEP_1) | instskip(NEXT) | instid1(VALU_DEP_2)
	v_add_co_u32 v38, vcc_lo, s20, v38
	v_add_co_ci_u32_e32 v39, vcc_lo, s21, v39, vcc_lo
	v_add_co_u32 v28, vcc_lo, v36, 1
	v_add_co_ci_u32_e32 v30, vcc_lo, 0, v37, vcc_lo
	global_load_b64 v[38:39], v[38:39], off
	s_waitcnt vmcnt(0)
	v_cmp_lt_u64_e64 s16, v[38:39], v[21:22]
	s_delay_alu instid0(VALU_DEP_1) | instskip(SKIP_3) | instid1(VALU_DEP_1)
	v_cndmask_b32_e64 v26, v37, v26, s16
	v_cndmask_b32_e64 v25, v36, v25, s16
	v_cndmask_b32_e64 v24, v24, v30, s16
	v_cndmask_b32_e64 v23, v23, v28, s16
	v_cmp_ge_u64_e32 vcc_lo, v[23:24], v[25:26]
	s_or_b32 s27, vcc_lo, s27
	s_delay_alu instid0(SALU_CYCLE_1)
	s_and_not1_b32 exec_lo, exec_lo, s27
	s_cbranch_execnz .LBB445_184
; %bb.185:
	s_set_inst_prefetch_distance 0x2
	s_or_b32 exec_lo, exec_lo, s27
.LBB445_186:
	s_mov_b32 s27, 0
	s_mov_b32 s16, exec_lo
	v_cmpx_ne_u64_e64 s[22:23], v[23:24]
	s_cbranch_execz .LBB445_188
; %bb.187:
	v_lshlrev_b64 v[23:24], 3, v[23:24]
	s_delay_alu instid0(VALU_DEP_1) | instskip(NEXT) | instid1(VALU_DEP_2)
	v_add_co_u32 v23, vcc_lo, s20, v23
	v_add_co_ci_u32_e32 v24, vcc_lo, s21, v24, vcc_lo
	global_load_b64 v[23:24], v[23:24], off
	s_waitcnt vmcnt(0)
	v_cmp_le_u64_e32 vcc_lo, v[23:24], v[21:22]
	s_and_b32 s27, vcc_lo, exec_lo
.LBB445_188:
	s_or_b32 exec_lo, exec_lo, s16
	v_cndmask_b32_e64 v25, 0, 1, s27
	s_or_b32 exec_lo, exec_lo, s26
                                        ; implicit-def: $vgpr23
	s_and_saveexec_b32 s26, s6
	s_cbranch_execz .LBB445_138
.LBB445_189:
	s_waitcnt vmcnt(0) lgkmcnt(0)
	v_mov_b32_e32 v21, 0
	v_mov_b32_e32 v22, 0
	s_and_not1_b32 vcc_lo, exec_lo, s25
	s_cbranch_vccnz .LBB445_193
; %bb.190:
	v_dual_mov_b32 v24, s23 :: v_dual_mov_b32 v23, s22
	s_mov_b32 s27, 0
	s_set_inst_prefetch_distance 0x1
	.p2align	6
.LBB445_191:                            ; =>This Inner Loop Header: Depth=1
	s_delay_alu instid0(VALU_DEP_1) | instskip(NEXT) | instid1(VALU_DEP_2)
	v_sub_co_u32 v36, vcc_lo, v23, v21
	v_sub_co_ci_u32_e32 v37, vcc_lo, v24, v22, vcc_lo
	s_delay_alu instid0(VALU_DEP_1) | instskip(SKIP_1) | instid1(VALU_DEP_2)
	v_lshrrev_b64 v[38:39], 1, v[36:37]
	v_lshrrev_b64 v[36:37], 6, v[36:37]
	v_add_co_u32 v26, vcc_lo, v38, v21
	s_delay_alu instid0(VALU_DEP_3) | instskip(NEXT) | instid1(VALU_DEP_2)
	v_add_co_ci_u32_e32 v28, vcc_lo, v39, v22, vcc_lo
	v_add_co_u32 v36, vcc_lo, v26, v36
	s_delay_alu instid0(VALU_DEP_2) | instskip(NEXT) | instid1(VALU_DEP_1)
	v_add_co_ci_u32_e32 v37, vcc_lo, v28, v37, vcc_lo
	v_lshlrev_b64 v[38:39], 3, v[36:37]
	s_delay_alu instid0(VALU_DEP_1) | instskip(NEXT) | instid1(VALU_DEP_2)
	v_add_co_u32 v38, vcc_lo, s20, v38
	v_add_co_ci_u32_e32 v39, vcc_lo, s21, v39, vcc_lo
	v_add_co_u32 v26, vcc_lo, v36, 1
	v_add_co_ci_u32_e32 v28, vcc_lo, 0, v37, vcc_lo
	global_load_b64 v[38:39], v[38:39], off
	s_waitcnt vmcnt(0)
	v_cmp_lt_u64_e64 s16, v[38:39], v[19:20]
	s_delay_alu instid0(VALU_DEP_1) | instskip(SKIP_3) | instid1(VALU_DEP_1)
	v_cndmask_b32_e64 v24, v37, v24, s16
	v_cndmask_b32_e64 v23, v36, v23, s16
	;; [unrolled: 1-line block ×4, first 2 shown]
	v_cmp_ge_u64_e32 vcc_lo, v[21:22], v[23:24]
	s_or_b32 s27, vcc_lo, s27
	s_delay_alu instid0(SALU_CYCLE_1)
	s_and_not1_b32 exec_lo, exec_lo, s27
	s_cbranch_execnz .LBB445_191
; %bb.192:
	s_set_inst_prefetch_distance 0x2
	s_or_b32 exec_lo, exec_lo, s27
.LBB445_193:
	s_mov_b32 s27, 0
	s_mov_b32 s16, exec_lo
	v_cmpx_ne_u64_e64 s[22:23], v[21:22]
	s_cbranch_execz .LBB445_195
; %bb.194:
	v_lshlrev_b64 v[21:22], 3, v[21:22]
	s_delay_alu instid0(VALU_DEP_1) | instskip(NEXT) | instid1(VALU_DEP_2)
	v_add_co_u32 v21, vcc_lo, s20, v21
	v_add_co_ci_u32_e32 v22, vcc_lo, s21, v22, vcc_lo
	global_load_b64 v[21:22], v[21:22], off
	s_waitcnt vmcnt(0)
	v_cmp_le_u64_e32 vcc_lo, v[21:22], v[19:20]
	s_and_b32 s27, vcc_lo, exec_lo
.LBB445_195:
	s_or_b32 exec_lo, exec_lo, s16
	v_cndmask_b32_e64 v23, 0, 1, s27
	s_or_b32 exec_lo, exec_lo, s26
                                        ; implicit-def: $vgpr21
	s_and_saveexec_b32 s26, s7
	s_cbranch_execz .LBB445_139
.LBB445_196:
	s_waitcnt vmcnt(0) lgkmcnt(0)
	v_mov_b32_e32 v19, 0
	v_mov_b32_e32 v20, 0
	s_and_not1_b32 vcc_lo, exec_lo, s25
	s_cbranch_vccnz .LBB445_200
; %bb.197:
	v_dual_mov_b32 v21, s22 :: v_dual_mov_b32 v22, s23
	s_mov_b32 s27, 0
	s_set_inst_prefetch_distance 0x1
	.p2align	6
.LBB445_198:                            ; =>This Inner Loop Header: Depth=1
	s_delay_alu instid0(VALU_DEP_1) | instskip(NEXT) | instid1(VALU_DEP_2)
	v_sub_co_u32 v36, vcc_lo, v21, v19
	v_sub_co_ci_u32_e32 v37, vcc_lo, v22, v20, vcc_lo
	s_delay_alu instid0(VALU_DEP_1) | instskip(SKIP_1) | instid1(VALU_DEP_2)
	v_lshrrev_b64 v[38:39], 1, v[36:37]
	v_lshrrev_b64 v[36:37], 6, v[36:37]
	v_add_co_u32 v24, vcc_lo, v38, v19
	s_delay_alu instid0(VALU_DEP_3) | instskip(NEXT) | instid1(VALU_DEP_2)
	v_add_co_ci_u32_e32 v26, vcc_lo, v39, v20, vcc_lo
	v_add_co_u32 v36, vcc_lo, v24, v36
	s_delay_alu instid0(VALU_DEP_2) | instskip(NEXT) | instid1(VALU_DEP_1)
	v_add_co_ci_u32_e32 v37, vcc_lo, v26, v37, vcc_lo
	v_lshlrev_b64 v[38:39], 3, v[36:37]
	s_delay_alu instid0(VALU_DEP_1) | instskip(NEXT) | instid1(VALU_DEP_2)
	v_add_co_u32 v38, vcc_lo, s20, v38
	v_add_co_ci_u32_e32 v39, vcc_lo, s21, v39, vcc_lo
	v_add_co_u32 v24, vcc_lo, v36, 1
	v_add_co_ci_u32_e32 v26, vcc_lo, 0, v37, vcc_lo
	global_load_b64 v[38:39], v[38:39], off
	s_waitcnt vmcnt(0)
	v_cmp_lt_u64_e64 s16, v[38:39], v[17:18]
	s_delay_alu instid0(VALU_DEP_1) | instskip(SKIP_3) | instid1(VALU_DEP_1)
	v_cndmask_b32_e64 v22, v37, v22, s16
	v_cndmask_b32_e64 v21, v36, v21, s16
	;; [unrolled: 1-line block ×4, first 2 shown]
	v_cmp_ge_u64_e32 vcc_lo, v[19:20], v[21:22]
	s_or_b32 s27, vcc_lo, s27
	s_delay_alu instid0(SALU_CYCLE_1)
	s_and_not1_b32 exec_lo, exec_lo, s27
	s_cbranch_execnz .LBB445_198
; %bb.199:
	s_set_inst_prefetch_distance 0x2
	s_or_b32 exec_lo, exec_lo, s27
.LBB445_200:
	s_mov_b32 s27, 0
	s_mov_b32 s16, exec_lo
	v_cmpx_ne_u64_e64 s[22:23], v[19:20]
	s_cbranch_execz .LBB445_202
; %bb.201:
	v_lshlrev_b64 v[19:20], 3, v[19:20]
	s_delay_alu instid0(VALU_DEP_1) | instskip(NEXT) | instid1(VALU_DEP_2)
	v_add_co_u32 v19, vcc_lo, s20, v19
	v_add_co_ci_u32_e32 v20, vcc_lo, s21, v20, vcc_lo
	global_load_b64 v[19:20], v[19:20], off
	s_waitcnt vmcnt(0)
	v_cmp_le_u64_e32 vcc_lo, v[19:20], v[17:18]
	s_and_b32 s27, vcc_lo, exec_lo
.LBB445_202:
	s_or_b32 exec_lo, exec_lo, s16
	v_cndmask_b32_e64 v21, 0, 1, s27
	s_or_b32 exec_lo, exec_lo, s26
                                        ; implicit-def: $vgpr19
	s_and_saveexec_b32 s26, s8
	s_cbranch_execz .LBB445_140
.LBB445_203:
	s_waitcnt vmcnt(0) lgkmcnt(0)
	v_mov_b32_e32 v17, 0
	v_mov_b32_e32 v18, 0
	s_and_not1_b32 vcc_lo, exec_lo, s25
	s_cbranch_vccnz .LBB445_207
; %bb.204:
	v_dual_mov_b32 v19, s22 :: v_dual_mov_b32 v20, s23
	s_mov_b32 s27, 0
	s_set_inst_prefetch_distance 0x1
	.p2align	6
.LBB445_205:                            ; =>This Inner Loop Header: Depth=1
	s_delay_alu instid0(VALU_DEP_1) | instskip(NEXT) | instid1(VALU_DEP_2)
	v_sub_co_u32 v36, vcc_lo, v19, v17
	v_sub_co_ci_u32_e32 v37, vcc_lo, v20, v18, vcc_lo
	s_delay_alu instid0(VALU_DEP_1) | instskip(SKIP_1) | instid1(VALU_DEP_2)
	v_lshrrev_b64 v[38:39], 1, v[36:37]
	v_lshrrev_b64 v[36:37], 6, v[36:37]
	v_add_co_u32 v22, vcc_lo, v38, v17
	s_delay_alu instid0(VALU_DEP_3) | instskip(NEXT) | instid1(VALU_DEP_2)
	v_add_co_ci_u32_e32 v24, vcc_lo, v39, v18, vcc_lo
	v_add_co_u32 v36, vcc_lo, v22, v36
	s_delay_alu instid0(VALU_DEP_2) | instskip(NEXT) | instid1(VALU_DEP_1)
	v_add_co_ci_u32_e32 v37, vcc_lo, v24, v37, vcc_lo
	v_lshlrev_b64 v[38:39], 3, v[36:37]
	s_delay_alu instid0(VALU_DEP_1) | instskip(NEXT) | instid1(VALU_DEP_2)
	v_add_co_u32 v38, vcc_lo, s20, v38
	v_add_co_ci_u32_e32 v39, vcc_lo, s21, v39, vcc_lo
	v_add_co_u32 v22, vcc_lo, v36, 1
	v_add_co_ci_u32_e32 v24, vcc_lo, 0, v37, vcc_lo
	global_load_b64 v[38:39], v[38:39], off
	s_waitcnt vmcnt(0)
	v_cmp_lt_u64_e64 s16, v[38:39], v[15:16]
	s_delay_alu instid0(VALU_DEP_1) | instskip(SKIP_3) | instid1(VALU_DEP_1)
	v_cndmask_b32_e64 v20, v37, v20, s16
	v_cndmask_b32_e64 v19, v36, v19, s16
	;; [unrolled: 1-line block ×4, first 2 shown]
	v_cmp_ge_u64_e32 vcc_lo, v[17:18], v[19:20]
	s_or_b32 s27, vcc_lo, s27
	s_delay_alu instid0(SALU_CYCLE_1)
	s_and_not1_b32 exec_lo, exec_lo, s27
	s_cbranch_execnz .LBB445_205
; %bb.206:
	s_set_inst_prefetch_distance 0x2
	s_or_b32 exec_lo, exec_lo, s27
.LBB445_207:
	s_mov_b32 s27, 0
	s_mov_b32 s16, exec_lo
	v_cmpx_ne_u64_e64 s[22:23], v[17:18]
	s_cbranch_execz .LBB445_209
; %bb.208:
	v_lshlrev_b64 v[17:18], 3, v[17:18]
	s_delay_alu instid0(VALU_DEP_1) | instskip(NEXT) | instid1(VALU_DEP_2)
	v_add_co_u32 v17, vcc_lo, s20, v17
	v_add_co_ci_u32_e32 v18, vcc_lo, s21, v18, vcc_lo
	global_load_b64 v[17:18], v[17:18], off
	s_waitcnt vmcnt(0)
	v_cmp_le_u64_e32 vcc_lo, v[17:18], v[15:16]
	s_and_b32 s27, vcc_lo, exec_lo
.LBB445_209:
	s_or_b32 exec_lo, exec_lo, s16
	v_cndmask_b32_e64 v19, 0, 1, s27
	s_or_b32 exec_lo, exec_lo, s26
                                        ; implicit-def: $vgpr17
	s_and_saveexec_b32 s26, s9
	s_cbranch_execz .LBB445_141
.LBB445_210:
	s_waitcnt vmcnt(0) lgkmcnt(0)
	v_mov_b32_e32 v15, 0
	v_mov_b32_e32 v16, 0
	s_and_not1_b32 vcc_lo, exec_lo, s25
	s_cbranch_vccnz .LBB445_214
; %bb.211:
	v_dual_mov_b32 v17, s22 :: v_dual_mov_b32 v18, s23
	s_mov_b32 s27, 0
	s_set_inst_prefetch_distance 0x1
	.p2align	6
.LBB445_212:                            ; =>This Inner Loop Header: Depth=1
	s_delay_alu instid0(VALU_DEP_1) | instskip(NEXT) | instid1(VALU_DEP_2)
	v_sub_co_u32 v36, vcc_lo, v17, v15
	v_sub_co_ci_u32_e32 v37, vcc_lo, v18, v16, vcc_lo
	s_delay_alu instid0(VALU_DEP_1) | instskip(SKIP_1) | instid1(VALU_DEP_2)
	v_lshrrev_b64 v[38:39], 1, v[36:37]
	v_lshrrev_b64 v[36:37], 6, v[36:37]
	v_add_co_u32 v20, vcc_lo, v38, v15
	s_delay_alu instid0(VALU_DEP_3) | instskip(NEXT) | instid1(VALU_DEP_2)
	v_add_co_ci_u32_e32 v22, vcc_lo, v39, v16, vcc_lo
	v_add_co_u32 v36, vcc_lo, v20, v36
	s_delay_alu instid0(VALU_DEP_2) | instskip(NEXT) | instid1(VALU_DEP_1)
	v_add_co_ci_u32_e32 v37, vcc_lo, v22, v37, vcc_lo
	v_lshlrev_b64 v[38:39], 3, v[36:37]
	s_delay_alu instid0(VALU_DEP_1) | instskip(NEXT) | instid1(VALU_DEP_2)
	v_add_co_u32 v38, vcc_lo, s20, v38
	v_add_co_ci_u32_e32 v39, vcc_lo, s21, v39, vcc_lo
	v_add_co_u32 v20, vcc_lo, v36, 1
	v_add_co_ci_u32_e32 v22, vcc_lo, 0, v37, vcc_lo
	global_load_b64 v[38:39], v[38:39], off
	s_waitcnt vmcnt(0)
	v_cmp_lt_u64_e64 s16, v[38:39], v[13:14]
	s_delay_alu instid0(VALU_DEP_1) | instskip(SKIP_3) | instid1(VALU_DEP_1)
	v_cndmask_b32_e64 v18, v37, v18, s16
	v_cndmask_b32_e64 v17, v36, v17, s16
	;; [unrolled: 1-line block ×4, first 2 shown]
	v_cmp_ge_u64_e32 vcc_lo, v[15:16], v[17:18]
	s_or_b32 s27, vcc_lo, s27
	s_delay_alu instid0(SALU_CYCLE_1)
	s_and_not1_b32 exec_lo, exec_lo, s27
	s_cbranch_execnz .LBB445_212
; %bb.213:
	s_set_inst_prefetch_distance 0x2
	s_or_b32 exec_lo, exec_lo, s27
.LBB445_214:
	s_mov_b32 s27, 0
	s_mov_b32 s16, exec_lo
	v_cmpx_ne_u64_e64 s[22:23], v[15:16]
	s_cbranch_execz .LBB445_216
; %bb.215:
	v_lshlrev_b64 v[15:16], 3, v[15:16]
	s_delay_alu instid0(VALU_DEP_1) | instskip(NEXT) | instid1(VALU_DEP_2)
	v_add_co_u32 v15, vcc_lo, s20, v15
	v_add_co_ci_u32_e32 v16, vcc_lo, s21, v16, vcc_lo
	global_load_b64 v[15:16], v[15:16], off
	s_waitcnt vmcnt(0)
	v_cmp_le_u64_e32 vcc_lo, v[15:16], v[13:14]
	s_and_b32 s27, vcc_lo, exec_lo
.LBB445_216:
	s_or_b32 exec_lo, exec_lo, s16
	v_cndmask_b32_e64 v17, 0, 1, s27
	s_or_b32 exec_lo, exec_lo, s26
                                        ; implicit-def: $vgpr15
	s_and_saveexec_b32 s26, s10
	s_cbranch_execz .LBB445_142
.LBB445_217:
	s_waitcnt vmcnt(0) lgkmcnt(0)
	v_mov_b32_e32 v13, 0
	v_mov_b32_e32 v14, 0
	s_and_not1_b32 vcc_lo, exec_lo, s25
	s_cbranch_vccnz .LBB445_221
; %bb.218:
	v_dual_mov_b32 v15, s22 :: v_dual_mov_b32 v16, s23
	s_mov_b32 s27, 0
	s_set_inst_prefetch_distance 0x1
	.p2align	6
.LBB445_219:                            ; =>This Inner Loop Header: Depth=1
	s_delay_alu instid0(VALU_DEP_1) | instskip(NEXT) | instid1(VALU_DEP_2)
	v_sub_co_u32 v36, vcc_lo, v15, v13
	v_sub_co_ci_u32_e32 v37, vcc_lo, v16, v14, vcc_lo
	s_delay_alu instid0(VALU_DEP_1) | instskip(SKIP_1) | instid1(VALU_DEP_2)
	v_lshrrev_b64 v[38:39], 1, v[36:37]
	v_lshrrev_b64 v[36:37], 6, v[36:37]
	v_add_co_u32 v18, vcc_lo, v38, v13
	s_delay_alu instid0(VALU_DEP_3) | instskip(NEXT) | instid1(VALU_DEP_2)
	v_add_co_ci_u32_e32 v20, vcc_lo, v39, v14, vcc_lo
	v_add_co_u32 v36, vcc_lo, v18, v36
	s_delay_alu instid0(VALU_DEP_2) | instskip(NEXT) | instid1(VALU_DEP_1)
	v_add_co_ci_u32_e32 v37, vcc_lo, v20, v37, vcc_lo
	v_lshlrev_b64 v[38:39], 3, v[36:37]
	s_delay_alu instid0(VALU_DEP_1) | instskip(NEXT) | instid1(VALU_DEP_2)
	v_add_co_u32 v38, vcc_lo, s20, v38
	v_add_co_ci_u32_e32 v39, vcc_lo, s21, v39, vcc_lo
	v_add_co_u32 v18, vcc_lo, v36, 1
	v_add_co_ci_u32_e32 v20, vcc_lo, 0, v37, vcc_lo
	global_load_b64 v[38:39], v[38:39], off
	s_waitcnt vmcnt(0)
	v_cmp_lt_u64_e64 s16, v[38:39], v[11:12]
	s_delay_alu instid0(VALU_DEP_1) | instskip(SKIP_3) | instid1(VALU_DEP_1)
	v_cndmask_b32_e64 v16, v37, v16, s16
	v_cndmask_b32_e64 v15, v36, v15, s16
	;; [unrolled: 1-line block ×4, first 2 shown]
	v_cmp_ge_u64_e32 vcc_lo, v[13:14], v[15:16]
	s_or_b32 s27, vcc_lo, s27
	s_delay_alu instid0(SALU_CYCLE_1)
	s_and_not1_b32 exec_lo, exec_lo, s27
	s_cbranch_execnz .LBB445_219
; %bb.220:
	s_set_inst_prefetch_distance 0x2
	s_or_b32 exec_lo, exec_lo, s27
.LBB445_221:
	s_mov_b32 s27, 0
	s_mov_b32 s16, exec_lo
	v_cmpx_ne_u64_e64 s[22:23], v[13:14]
	s_cbranch_execz .LBB445_223
; %bb.222:
	v_lshlrev_b64 v[13:14], 3, v[13:14]
	s_delay_alu instid0(VALU_DEP_1) | instskip(NEXT) | instid1(VALU_DEP_2)
	v_add_co_u32 v13, vcc_lo, s20, v13
	v_add_co_ci_u32_e32 v14, vcc_lo, s21, v14, vcc_lo
	global_load_b64 v[13:14], v[13:14], off
	s_waitcnt vmcnt(0)
	v_cmp_le_u64_e32 vcc_lo, v[13:14], v[11:12]
	s_and_b32 s27, vcc_lo, exec_lo
.LBB445_223:
	s_or_b32 exec_lo, exec_lo, s16
	v_cndmask_b32_e64 v15, 0, 1, s27
	s_or_b32 exec_lo, exec_lo, s26
                                        ; implicit-def: $vgpr13
	s_and_saveexec_b32 s26, s11
	s_cbranch_execz .LBB445_143
.LBB445_224:
	s_waitcnt vmcnt(0) lgkmcnt(0)
	v_mov_b32_e32 v11, 0
	v_mov_b32_e32 v12, 0
	s_and_not1_b32 vcc_lo, exec_lo, s25
	s_cbranch_vccnz .LBB445_228
; %bb.225:
	v_dual_mov_b32 v13, s22 :: v_dual_mov_b32 v14, s23
	s_mov_b32 s27, 0
	s_set_inst_prefetch_distance 0x1
	.p2align	6
.LBB445_226:                            ; =>This Inner Loop Header: Depth=1
	s_delay_alu instid0(VALU_DEP_1) | instskip(NEXT) | instid1(VALU_DEP_2)
	v_sub_co_u32 v36, vcc_lo, v13, v11
	v_sub_co_ci_u32_e32 v37, vcc_lo, v14, v12, vcc_lo
	s_delay_alu instid0(VALU_DEP_1) | instskip(SKIP_1) | instid1(VALU_DEP_2)
	v_lshrrev_b64 v[38:39], 1, v[36:37]
	v_lshrrev_b64 v[36:37], 6, v[36:37]
	v_add_co_u32 v16, vcc_lo, v38, v11
	s_delay_alu instid0(VALU_DEP_3) | instskip(NEXT) | instid1(VALU_DEP_2)
	v_add_co_ci_u32_e32 v18, vcc_lo, v39, v12, vcc_lo
	v_add_co_u32 v36, vcc_lo, v16, v36
	s_delay_alu instid0(VALU_DEP_2) | instskip(NEXT) | instid1(VALU_DEP_1)
	v_add_co_ci_u32_e32 v37, vcc_lo, v18, v37, vcc_lo
	v_lshlrev_b64 v[38:39], 3, v[36:37]
	s_delay_alu instid0(VALU_DEP_1) | instskip(NEXT) | instid1(VALU_DEP_2)
	v_add_co_u32 v38, vcc_lo, s20, v38
	v_add_co_ci_u32_e32 v39, vcc_lo, s21, v39, vcc_lo
	v_add_co_u32 v16, vcc_lo, v36, 1
	v_add_co_ci_u32_e32 v18, vcc_lo, 0, v37, vcc_lo
	global_load_b64 v[38:39], v[38:39], off
	s_waitcnt vmcnt(0)
	v_cmp_lt_u64_e64 s16, v[38:39], v[9:10]
	s_delay_alu instid0(VALU_DEP_1) | instskip(SKIP_3) | instid1(VALU_DEP_1)
	v_cndmask_b32_e64 v14, v37, v14, s16
	v_cndmask_b32_e64 v13, v36, v13, s16
	;; [unrolled: 1-line block ×4, first 2 shown]
	v_cmp_ge_u64_e32 vcc_lo, v[11:12], v[13:14]
	s_or_b32 s27, vcc_lo, s27
	s_delay_alu instid0(SALU_CYCLE_1)
	s_and_not1_b32 exec_lo, exec_lo, s27
	s_cbranch_execnz .LBB445_226
; %bb.227:
	s_set_inst_prefetch_distance 0x2
	s_or_b32 exec_lo, exec_lo, s27
.LBB445_228:
	s_mov_b32 s27, 0
	s_mov_b32 s16, exec_lo
	v_cmpx_ne_u64_e64 s[22:23], v[11:12]
	s_cbranch_execz .LBB445_230
; %bb.229:
	v_lshlrev_b64 v[11:12], 3, v[11:12]
	s_delay_alu instid0(VALU_DEP_1) | instskip(NEXT) | instid1(VALU_DEP_2)
	v_add_co_u32 v11, vcc_lo, s20, v11
	v_add_co_ci_u32_e32 v12, vcc_lo, s21, v12, vcc_lo
	global_load_b64 v[11:12], v[11:12], off
	s_waitcnt vmcnt(0)
	v_cmp_le_u64_e32 vcc_lo, v[11:12], v[9:10]
	s_and_b32 s27, vcc_lo, exec_lo
.LBB445_230:
	s_or_b32 exec_lo, exec_lo, s16
	v_cndmask_b32_e64 v13, 0, 1, s27
	s_or_b32 exec_lo, exec_lo, s26
                                        ; implicit-def: $vgpr11
	s_and_saveexec_b32 s26, s12
	s_cbranch_execz .LBB445_144
.LBB445_231:
	s_waitcnt vmcnt(0) lgkmcnt(0)
	v_mov_b32_e32 v9, 0
	v_mov_b32_e32 v10, 0
	s_and_not1_b32 vcc_lo, exec_lo, s25
	s_cbranch_vccnz .LBB445_235
; %bb.232:
	v_dual_mov_b32 v11, s22 :: v_dual_mov_b32 v12, s23
	s_mov_b32 s27, 0
	s_set_inst_prefetch_distance 0x1
	.p2align	6
.LBB445_233:                            ; =>This Inner Loop Header: Depth=1
	s_delay_alu instid0(VALU_DEP_1) | instskip(NEXT) | instid1(VALU_DEP_2)
	v_sub_co_u32 v36, vcc_lo, v11, v9
	v_sub_co_ci_u32_e32 v37, vcc_lo, v12, v10, vcc_lo
	s_delay_alu instid0(VALU_DEP_1) | instskip(SKIP_1) | instid1(VALU_DEP_2)
	v_lshrrev_b64 v[38:39], 1, v[36:37]
	v_lshrrev_b64 v[36:37], 6, v[36:37]
	v_add_co_u32 v14, vcc_lo, v38, v9
	s_delay_alu instid0(VALU_DEP_3) | instskip(NEXT) | instid1(VALU_DEP_2)
	v_add_co_ci_u32_e32 v16, vcc_lo, v39, v10, vcc_lo
	v_add_co_u32 v36, vcc_lo, v14, v36
	s_delay_alu instid0(VALU_DEP_2) | instskip(NEXT) | instid1(VALU_DEP_1)
	v_add_co_ci_u32_e32 v37, vcc_lo, v16, v37, vcc_lo
	v_lshlrev_b64 v[38:39], 3, v[36:37]
	s_delay_alu instid0(VALU_DEP_1) | instskip(NEXT) | instid1(VALU_DEP_2)
	v_add_co_u32 v38, vcc_lo, s20, v38
	v_add_co_ci_u32_e32 v39, vcc_lo, s21, v39, vcc_lo
	v_add_co_u32 v14, vcc_lo, v36, 1
	v_add_co_ci_u32_e32 v16, vcc_lo, 0, v37, vcc_lo
	global_load_b64 v[38:39], v[38:39], off
	s_waitcnt vmcnt(0)
	v_cmp_lt_u64_e64 s16, v[38:39], v[7:8]
	s_delay_alu instid0(VALU_DEP_1) | instskip(SKIP_3) | instid1(VALU_DEP_1)
	v_cndmask_b32_e64 v12, v37, v12, s16
	v_cndmask_b32_e64 v11, v36, v11, s16
	;; [unrolled: 1-line block ×4, first 2 shown]
	v_cmp_ge_u64_e32 vcc_lo, v[9:10], v[11:12]
	s_or_b32 s27, vcc_lo, s27
	s_delay_alu instid0(SALU_CYCLE_1)
	s_and_not1_b32 exec_lo, exec_lo, s27
	s_cbranch_execnz .LBB445_233
; %bb.234:
	s_set_inst_prefetch_distance 0x2
	s_or_b32 exec_lo, exec_lo, s27
.LBB445_235:
	s_mov_b32 s27, 0
	s_mov_b32 s16, exec_lo
	v_cmpx_ne_u64_e64 s[22:23], v[9:10]
	s_cbranch_execz .LBB445_237
; %bb.236:
	v_lshlrev_b64 v[9:10], 3, v[9:10]
	s_delay_alu instid0(VALU_DEP_1) | instskip(NEXT) | instid1(VALU_DEP_2)
	v_add_co_u32 v9, vcc_lo, s20, v9
	v_add_co_ci_u32_e32 v10, vcc_lo, s21, v10, vcc_lo
	global_load_b64 v[9:10], v[9:10], off
	s_waitcnt vmcnt(0)
	v_cmp_le_u64_e32 vcc_lo, v[9:10], v[7:8]
	s_and_b32 s27, vcc_lo, exec_lo
.LBB445_237:
	s_or_b32 exec_lo, exec_lo, s16
	v_cndmask_b32_e64 v11, 0, 1, s27
	s_or_b32 exec_lo, exec_lo, s26
                                        ; implicit-def: $vgpr9
	s_and_saveexec_b32 s26, s13
	s_cbranch_execz .LBB445_145
.LBB445_238:
	s_waitcnt vmcnt(0) lgkmcnt(0)
	v_mov_b32_e32 v7, 0
	v_mov_b32_e32 v8, 0
	s_and_not1_b32 vcc_lo, exec_lo, s25
	s_cbranch_vccnz .LBB445_242
; %bb.239:
	v_dual_mov_b32 v9, s22 :: v_dual_mov_b32 v10, s23
	s_mov_b32 s27, 0
	s_set_inst_prefetch_distance 0x1
	.p2align	6
.LBB445_240:                            ; =>This Inner Loop Header: Depth=1
	s_delay_alu instid0(VALU_DEP_1) | instskip(NEXT) | instid1(VALU_DEP_2)
	v_sub_co_u32 v36, vcc_lo, v9, v7
	v_sub_co_ci_u32_e32 v37, vcc_lo, v10, v8, vcc_lo
	s_delay_alu instid0(VALU_DEP_1) | instskip(SKIP_1) | instid1(VALU_DEP_2)
	v_lshrrev_b64 v[38:39], 1, v[36:37]
	v_lshrrev_b64 v[36:37], 6, v[36:37]
	v_add_co_u32 v12, vcc_lo, v38, v7
	s_delay_alu instid0(VALU_DEP_3) | instskip(NEXT) | instid1(VALU_DEP_2)
	v_add_co_ci_u32_e32 v14, vcc_lo, v39, v8, vcc_lo
	v_add_co_u32 v36, vcc_lo, v12, v36
	s_delay_alu instid0(VALU_DEP_2) | instskip(NEXT) | instid1(VALU_DEP_1)
	v_add_co_ci_u32_e32 v37, vcc_lo, v14, v37, vcc_lo
	v_lshlrev_b64 v[38:39], 3, v[36:37]
	s_delay_alu instid0(VALU_DEP_1) | instskip(NEXT) | instid1(VALU_DEP_2)
	v_add_co_u32 v38, vcc_lo, s20, v38
	v_add_co_ci_u32_e32 v39, vcc_lo, s21, v39, vcc_lo
	v_add_co_u32 v12, vcc_lo, v36, 1
	v_add_co_ci_u32_e32 v14, vcc_lo, 0, v37, vcc_lo
	global_load_b64 v[38:39], v[38:39], off
	s_waitcnt vmcnt(0)
	v_cmp_lt_u64_e64 s16, v[38:39], v[5:6]
	s_delay_alu instid0(VALU_DEP_1) | instskip(SKIP_3) | instid1(VALU_DEP_1)
	v_cndmask_b32_e64 v10, v37, v10, s16
	v_cndmask_b32_e64 v9, v36, v9, s16
	;; [unrolled: 1-line block ×4, first 2 shown]
	v_cmp_ge_u64_e32 vcc_lo, v[7:8], v[9:10]
	s_or_b32 s27, vcc_lo, s27
	s_delay_alu instid0(SALU_CYCLE_1)
	s_and_not1_b32 exec_lo, exec_lo, s27
	s_cbranch_execnz .LBB445_240
; %bb.241:
	s_set_inst_prefetch_distance 0x2
	s_or_b32 exec_lo, exec_lo, s27
.LBB445_242:
	s_mov_b32 s27, 0
	s_mov_b32 s16, exec_lo
	v_cmpx_ne_u64_e64 s[22:23], v[7:8]
	s_cbranch_execz .LBB445_244
; %bb.243:
	v_lshlrev_b64 v[7:8], 3, v[7:8]
	s_delay_alu instid0(VALU_DEP_1) | instskip(NEXT) | instid1(VALU_DEP_2)
	v_add_co_u32 v7, vcc_lo, s20, v7
	v_add_co_ci_u32_e32 v8, vcc_lo, s21, v8, vcc_lo
	global_load_b64 v[7:8], v[7:8], off
	s_waitcnt vmcnt(0)
	v_cmp_le_u64_e32 vcc_lo, v[7:8], v[5:6]
	s_and_b32 s27, vcc_lo, exec_lo
.LBB445_244:
	s_or_b32 exec_lo, exec_lo, s16
	v_cndmask_b32_e64 v9, 0, 1, s27
	s_or_b32 exec_lo, exec_lo, s26
                                        ; implicit-def: $vgpr7
	s_and_saveexec_b32 s26, s14
	s_cbranch_execz .LBB445_146
.LBB445_245:
	s_waitcnt vmcnt(0) lgkmcnt(0)
	v_mov_b32_e32 v5, 0
	v_mov_b32_e32 v6, 0
	s_and_not1_b32 vcc_lo, exec_lo, s25
	s_cbranch_vccnz .LBB445_249
; %bb.246:
	v_dual_mov_b32 v7, s22 :: v_dual_mov_b32 v8, s23
	s_mov_b32 s27, 0
	s_set_inst_prefetch_distance 0x1
	.p2align	6
.LBB445_247:                            ; =>This Inner Loop Header: Depth=1
	s_delay_alu instid0(VALU_DEP_1) | instskip(NEXT) | instid1(VALU_DEP_2)
	v_sub_co_u32 v36, vcc_lo, v7, v5
	v_sub_co_ci_u32_e32 v37, vcc_lo, v8, v6, vcc_lo
	s_delay_alu instid0(VALU_DEP_1) | instskip(SKIP_1) | instid1(VALU_DEP_2)
	v_lshrrev_b64 v[38:39], 1, v[36:37]
	v_lshrrev_b64 v[36:37], 6, v[36:37]
	v_add_co_u32 v10, vcc_lo, v38, v5
	s_delay_alu instid0(VALU_DEP_3) | instskip(NEXT) | instid1(VALU_DEP_2)
	v_add_co_ci_u32_e32 v12, vcc_lo, v39, v6, vcc_lo
	v_add_co_u32 v36, vcc_lo, v10, v36
	s_delay_alu instid0(VALU_DEP_2) | instskip(NEXT) | instid1(VALU_DEP_1)
	v_add_co_ci_u32_e32 v37, vcc_lo, v12, v37, vcc_lo
	v_lshlrev_b64 v[38:39], 3, v[36:37]
	s_delay_alu instid0(VALU_DEP_1) | instskip(NEXT) | instid1(VALU_DEP_2)
	v_add_co_u32 v38, vcc_lo, s20, v38
	v_add_co_ci_u32_e32 v39, vcc_lo, s21, v39, vcc_lo
	v_add_co_u32 v10, vcc_lo, v36, 1
	v_add_co_ci_u32_e32 v12, vcc_lo, 0, v37, vcc_lo
	global_load_b64 v[38:39], v[38:39], off
	s_waitcnt vmcnt(0)
	v_cmp_lt_u64_e64 s16, v[38:39], v[3:4]
	s_delay_alu instid0(VALU_DEP_1) | instskip(SKIP_3) | instid1(VALU_DEP_1)
	v_cndmask_b32_e64 v8, v37, v8, s16
	v_cndmask_b32_e64 v7, v36, v7, s16
	;; [unrolled: 1-line block ×4, first 2 shown]
	v_cmp_ge_u64_e32 vcc_lo, v[5:6], v[7:8]
	s_or_b32 s27, vcc_lo, s27
	s_delay_alu instid0(SALU_CYCLE_1)
	s_and_not1_b32 exec_lo, exec_lo, s27
	s_cbranch_execnz .LBB445_247
; %bb.248:
	s_set_inst_prefetch_distance 0x2
	s_or_b32 exec_lo, exec_lo, s27
.LBB445_249:
	s_mov_b32 s27, 0
	s_mov_b32 s16, exec_lo
	v_cmpx_ne_u64_e64 s[22:23], v[5:6]
	s_cbranch_execz .LBB445_251
; %bb.250:
	v_lshlrev_b64 v[5:6], 3, v[5:6]
	s_delay_alu instid0(VALU_DEP_1) | instskip(NEXT) | instid1(VALU_DEP_2)
	v_add_co_u32 v5, vcc_lo, s20, v5
	v_add_co_ci_u32_e32 v6, vcc_lo, s21, v6, vcc_lo
	global_load_b64 v[5:6], v[5:6], off
	s_waitcnt vmcnt(0)
	v_cmp_le_u64_e32 vcc_lo, v[5:6], v[3:4]
	s_and_b32 s27, vcc_lo, exec_lo
.LBB445_251:
	s_or_b32 exec_lo, exec_lo, s16
	v_cndmask_b32_e64 v7, 0, 1, s27
	s_or_b32 exec_lo, exec_lo, s26
                                        ; implicit-def: $vgpr3
	s_and_saveexec_b32 s26, s15
	s_cbranch_execz .LBB445_259
.LBB445_252:
	s_waitcnt vmcnt(0) lgkmcnt(0)
	v_mov_b32_e32 v3, 0
	v_mov_b32_e32 v4, 0
	s_and_not1_b32 vcc_lo, exec_lo, s25
	s_cbranch_vccnz .LBB445_256
; %bb.253:
	v_dual_mov_b32 v5, s22 :: v_dual_mov_b32 v6, s23
	s_mov_b32 s25, 0
	s_set_inst_prefetch_distance 0x1
	.p2align	6
.LBB445_254:                            ; =>This Inner Loop Header: Depth=1
	s_delay_alu instid0(VALU_DEP_1) | instskip(NEXT) | instid1(VALU_DEP_2)
	v_sub_co_u32 v36, vcc_lo, v5, v3
	v_sub_co_ci_u32_e32 v37, vcc_lo, v6, v4, vcc_lo
	s_delay_alu instid0(VALU_DEP_1) | instskip(SKIP_1) | instid1(VALU_DEP_2)
	v_lshrrev_b64 v[38:39], 1, v[36:37]
	v_lshrrev_b64 v[36:37], 6, v[36:37]
	v_add_co_u32 v8, vcc_lo, v38, v3
	s_delay_alu instid0(VALU_DEP_3) | instskip(NEXT) | instid1(VALU_DEP_2)
	v_add_co_ci_u32_e32 v10, vcc_lo, v39, v4, vcc_lo
	v_add_co_u32 v36, vcc_lo, v8, v36
	s_delay_alu instid0(VALU_DEP_2) | instskip(NEXT) | instid1(VALU_DEP_1)
	v_add_co_ci_u32_e32 v37, vcc_lo, v10, v37, vcc_lo
	v_lshlrev_b64 v[38:39], 3, v[36:37]
	s_delay_alu instid0(VALU_DEP_1) | instskip(NEXT) | instid1(VALU_DEP_2)
	v_add_co_u32 v38, vcc_lo, s20, v38
	v_add_co_ci_u32_e32 v39, vcc_lo, s21, v39, vcc_lo
	v_add_co_u32 v8, vcc_lo, v36, 1
	v_add_co_ci_u32_e32 v10, vcc_lo, 0, v37, vcc_lo
	global_load_b64 v[38:39], v[38:39], off
	s_waitcnt vmcnt(0)
	v_cmp_lt_u64_e64 s16, v[38:39], v[1:2]
	s_delay_alu instid0(VALU_DEP_1) | instskip(SKIP_3) | instid1(VALU_DEP_1)
	v_cndmask_b32_e64 v6, v37, v6, s16
	v_cndmask_b32_e64 v5, v36, v5, s16
	;; [unrolled: 1-line block ×4, first 2 shown]
	v_cmp_ge_u64_e32 vcc_lo, v[3:4], v[5:6]
	s_or_b32 s25, vcc_lo, s25
	s_delay_alu instid0(SALU_CYCLE_1)
	s_and_not1_b32 exec_lo, exec_lo, s25
	s_cbranch_execnz .LBB445_254
; %bb.255:
	s_set_inst_prefetch_distance 0x2
	s_or_b32 exec_lo, exec_lo, s25
.LBB445_256:
	s_delay_alu instid0(VALU_DEP_1)
	v_cmp_ne_u64_e32 vcc_lo, s[22:23], v[3:4]
	s_mov_b32 s22, 0
	s_and_saveexec_b32 s16, vcc_lo
	s_cbranch_execz .LBB445_258
; %bb.257:
	v_lshlrev_b64 v[3:4], 3, v[3:4]
	s_delay_alu instid0(VALU_DEP_1) | instskip(NEXT) | instid1(VALU_DEP_2)
	v_add_co_u32 v3, vcc_lo, s20, v3
	v_add_co_ci_u32_e32 v4, vcc_lo, s21, v4, vcc_lo
	global_load_b64 v[3:4], v[3:4], off
	s_waitcnt vmcnt(0)
	v_cmp_le_u64_e32 vcc_lo, v[3:4], v[1:2]
	s_and_b32 s22, vcc_lo, exec_lo
.LBB445_258:
	s_or_b32 exec_lo, exec_lo, s16
	v_cndmask_b32_e64 v3, 0, 1, s22
.LBB445_259:
	s_or_b32 exec_lo, exec_lo, s26
	s_add_u32 s16, s17, s18
	s_addc_u32 s17, s24, 0
	s_waitcnt vmcnt(0) lgkmcnt(0)
	v_add_co_u32 v1, s16, s16, v0
	s_delay_alu instid0(VALU_DEP_1) | instskip(SKIP_1) | instid1(SALU_CYCLE_1)
	v_add_co_ci_u32_e64 v2, null, s17, 0, s16
	s_and_saveexec_b32 s16, s0
	s_xor_b32 s0, exec_lo, s16
	s_cbranch_execnz .LBB445_280
; %bb.260:
	s_or_b32 exec_lo, exec_lo, s0
	s_and_saveexec_b32 s0, s1
	s_cbranch_execnz .LBB445_281
.LBB445_261:
	s_or_b32 exec_lo, exec_lo, s0
	s_and_saveexec_b32 s0, s2
	s_cbranch_execnz .LBB445_282
.LBB445_262:
	s_or_b32 exec_lo, exec_lo, s0
	s_and_saveexec_b32 s0, s3
	s_cbranch_execnz .LBB445_283
.LBB445_263:
	s_or_b32 exec_lo, exec_lo, s0
	s_and_saveexec_b32 s0, s4
	s_cbranch_execnz .LBB445_284
.LBB445_264:
	s_or_b32 exec_lo, exec_lo, s0
	s_and_saveexec_b32 s0, s5
	s_cbranch_execnz .LBB445_285
.LBB445_265:
	s_or_b32 exec_lo, exec_lo, s0
	s_and_saveexec_b32 s0, s6
	s_cbranch_execnz .LBB445_286
.LBB445_266:
	s_or_b32 exec_lo, exec_lo, s0
	s_and_saveexec_b32 s0, s7
	s_cbranch_execnz .LBB445_287
.LBB445_267:
	s_or_b32 exec_lo, exec_lo, s0
	s_and_saveexec_b32 s0, s8
	s_cbranch_execnz .LBB445_288
.LBB445_268:
	s_or_b32 exec_lo, exec_lo, s0
	s_and_saveexec_b32 s0, s9
	s_cbranch_execnz .LBB445_289
.LBB445_269:
	s_or_b32 exec_lo, exec_lo, s0
	s_and_saveexec_b32 s0, s10
	s_cbranch_execnz .LBB445_290
.LBB445_270:
	s_or_b32 exec_lo, exec_lo, s0
	s_and_saveexec_b32 s0, s11
	s_cbranch_execnz .LBB445_291
.LBB445_271:
	s_or_b32 exec_lo, exec_lo, s0
	s_and_saveexec_b32 s0, s12
	s_cbranch_execnz .LBB445_292
.LBB445_272:
	s_or_b32 exec_lo, exec_lo, s0
	s_and_saveexec_b32 s0, s13
	s_cbranch_execnz .LBB445_293
.LBB445_273:
	s_or_b32 exec_lo, exec_lo, s0
	s_and_saveexec_b32 s0, s14
	s_cbranch_execnz .LBB445_294
.LBB445_274:
	s_or_b32 exec_lo, exec_lo, s0
	s_and_saveexec_b32 s0, s15
.LBB445_275:
	s_or_b32 s19, s19, exec_lo
.LBB445_276:
	s_or_b32 exec_lo, exec_lo, s0
.LBB445_277:
	s_and_saveexec_b32 s0, s19
	s_cbranch_execnz .LBB445_279
; %bb.278:
	s_endpgm
.LBB445_279:
	flat_store_b8 v[1:2], v3 offset:960
	s_endpgm
.LBB445_280:
	flat_store_b8 v[1:2], v35
	s_or_b32 exec_lo, exec_lo, s0
	s_and_saveexec_b32 s0, s1
	s_cbranch_execz .LBB445_261
.LBB445_281:
	flat_store_b8 v[1:2], v33 offset:64
	s_or_b32 exec_lo, exec_lo, s0
	s_and_saveexec_b32 s0, s2
	s_cbranch_execz .LBB445_262
.LBB445_282:
	flat_store_b8 v[1:2], v31 offset:128
	s_or_b32 exec_lo, exec_lo, s0
	s_and_saveexec_b32 s0, s3
	s_cbranch_execz .LBB445_263
.LBB445_283:
	flat_store_b8 v[1:2], v29 offset:192
	s_or_b32 exec_lo, exec_lo, s0
	s_and_saveexec_b32 s0, s4
	s_cbranch_execz .LBB445_264
.LBB445_284:
	flat_store_b8 v[1:2], v27 offset:256
	s_or_b32 exec_lo, exec_lo, s0
	s_and_saveexec_b32 s0, s5
	s_cbranch_execz .LBB445_265
.LBB445_285:
	flat_store_b8 v[1:2], v25 offset:320
	s_or_b32 exec_lo, exec_lo, s0
	s_and_saveexec_b32 s0, s6
	s_cbranch_execz .LBB445_266
.LBB445_286:
	flat_store_b8 v[1:2], v23 offset:384
	s_or_b32 exec_lo, exec_lo, s0
	s_and_saveexec_b32 s0, s7
	s_cbranch_execz .LBB445_267
.LBB445_287:
	flat_store_b8 v[1:2], v21 offset:448
	s_or_b32 exec_lo, exec_lo, s0
	s_and_saveexec_b32 s0, s8
	s_cbranch_execz .LBB445_268
.LBB445_288:
	flat_store_b8 v[1:2], v19 offset:512
	s_or_b32 exec_lo, exec_lo, s0
	s_and_saveexec_b32 s0, s9
	s_cbranch_execz .LBB445_269
.LBB445_289:
	flat_store_b8 v[1:2], v17 offset:576
	s_or_b32 exec_lo, exec_lo, s0
	s_and_saveexec_b32 s0, s10
	s_cbranch_execz .LBB445_270
.LBB445_290:
	flat_store_b8 v[1:2], v15 offset:640
	s_or_b32 exec_lo, exec_lo, s0
	s_and_saveexec_b32 s0, s11
	s_cbranch_execz .LBB445_271
.LBB445_291:
	flat_store_b8 v[1:2], v13 offset:704
	s_or_b32 exec_lo, exec_lo, s0
	s_and_saveexec_b32 s0, s12
	s_cbranch_execz .LBB445_272
.LBB445_292:
	flat_store_b8 v[1:2], v11 offset:768
	s_or_b32 exec_lo, exec_lo, s0
	s_and_saveexec_b32 s0, s13
	s_cbranch_execz .LBB445_273
.LBB445_293:
	flat_store_b8 v[1:2], v9 offset:832
	s_or_b32 exec_lo, exec_lo, s0
	s_and_saveexec_b32 s0, s14
	s_cbranch_execz .LBB445_274
.LBB445_294:
	flat_store_b8 v[1:2], v7 offset:896
	s_or_b32 exec_lo, exec_lo, s0
	s_and_saveexec_b32 s0, s15
	s_cbranch_execnz .LBB445_275
	s_branch .LBB445_276
	.section	.rodata,"a",@progbits
	.p2align	6, 0x0
	.amdhsa_kernel _ZN7rocprim17ROCPRIM_400000_NS6detail17trampoline_kernelINS0_14default_configENS1_29binary_search_config_selectorIybEEZNS1_14transform_implILb0ES3_S5_N6thrust23THRUST_200600_302600_NS6detail15normal_iteratorINS8_10device_ptrIyEEEENSA_INSB_IbEEEEZNS1_13binary_searchIS3_S5_SD_SD_SF_NS1_16binary_search_opENS9_16wrapped_functionINS0_4lessIvEEbEEEE10hipError_tPvRmT1_T2_T3_mmT4_T5_P12ihipStream_tbEUlRKyE_EESM_SQ_SR_mSS_SV_bEUlT_E_NS1_11comp_targetILNS1_3genE9ELNS1_11target_archE1100ELNS1_3gpuE3ELNS1_3repE0EEENS1_30default_config_static_selectorELNS0_4arch9wavefront6targetE0EEEvSP_
		.amdhsa_group_segment_fixed_size 0
		.amdhsa_private_segment_fixed_size 0
		.amdhsa_kernarg_size 312
		.amdhsa_user_sgpr_count 15
		.amdhsa_user_sgpr_dispatch_ptr 0
		.amdhsa_user_sgpr_queue_ptr 0
		.amdhsa_user_sgpr_kernarg_segment_ptr 1
		.amdhsa_user_sgpr_dispatch_id 0
		.amdhsa_user_sgpr_private_segment_size 0
		.amdhsa_wavefront_size32 1
		.amdhsa_uses_dynamic_stack 0
		.amdhsa_enable_private_segment 0
		.amdhsa_system_sgpr_workgroup_id_x 1
		.amdhsa_system_sgpr_workgroup_id_y 0
		.amdhsa_system_sgpr_workgroup_id_z 0
		.amdhsa_system_sgpr_workgroup_info 0
		.amdhsa_system_vgpr_workitem_id 0
		.amdhsa_next_free_vgpr 42
		.amdhsa_next_free_sgpr 28
		.amdhsa_reserve_vcc 1
		.amdhsa_float_round_mode_32 0
		.amdhsa_float_round_mode_16_64 0
		.amdhsa_float_denorm_mode_32 3
		.amdhsa_float_denorm_mode_16_64 3
		.amdhsa_dx10_clamp 1
		.amdhsa_ieee_mode 1
		.amdhsa_fp16_overflow 0
		.amdhsa_workgroup_processor_mode 1
		.amdhsa_memory_ordered 1
		.amdhsa_forward_progress 0
		.amdhsa_shared_vgpr_count 0
		.amdhsa_exception_fp_ieee_invalid_op 0
		.amdhsa_exception_fp_denorm_src 0
		.amdhsa_exception_fp_ieee_div_zero 0
		.amdhsa_exception_fp_ieee_overflow 0
		.amdhsa_exception_fp_ieee_underflow 0
		.amdhsa_exception_fp_ieee_inexact 0
		.amdhsa_exception_int_div_zero 0
	.end_amdhsa_kernel
	.section	.text._ZN7rocprim17ROCPRIM_400000_NS6detail17trampoline_kernelINS0_14default_configENS1_29binary_search_config_selectorIybEEZNS1_14transform_implILb0ES3_S5_N6thrust23THRUST_200600_302600_NS6detail15normal_iteratorINS8_10device_ptrIyEEEENSA_INSB_IbEEEEZNS1_13binary_searchIS3_S5_SD_SD_SF_NS1_16binary_search_opENS9_16wrapped_functionINS0_4lessIvEEbEEEE10hipError_tPvRmT1_T2_T3_mmT4_T5_P12ihipStream_tbEUlRKyE_EESM_SQ_SR_mSS_SV_bEUlT_E_NS1_11comp_targetILNS1_3genE9ELNS1_11target_archE1100ELNS1_3gpuE3ELNS1_3repE0EEENS1_30default_config_static_selectorELNS0_4arch9wavefront6targetE0EEEvSP_,"axG",@progbits,_ZN7rocprim17ROCPRIM_400000_NS6detail17trampoline_kernelINS0_14default_configENS1_29binary_search_config_selectorIybEEZNS1_14transform_implILb0ES3_S5_N6thrust23THRUST_200600_302600_NS6detail15normal_iteratorINS8_10device_ptrIyEEEENSA_INSB_IbEEEEZNS1_13binary_searchIS3_S5_SD_SD_SF_NS1_16binary_search_opENS9_16wrapped_functionINS0_4lessIvEEbEEEE10hipError_tPvRmT1_T2_T3_mmT4_T5_P12ihipStream_tbEUlRKyE_EESM_SQ_SR_mSS_SV_bEUlT_E_NS1_11comp_targetILNS1_3genE9ELNS1_11target_archE1100ELNS1_3gpuE3ELNS1_3repE0EEENS1_30default_config_static_selectorELNS0_4arch9wavefront6targetE0EEEvSP_,comdat
.Lfunc_end445:
	.size	_ZN7rocprim17ROCPRIM_400000_NS6detail17trampoline_kernelINS0_14default_configENS1_29binary_search_config_selectorIybEEZNS1_14transform_implILb0ES3_S5_N6thrust23THRUST_200600_302600_NS6detail15normal_iteratorINS8_10device_ptrIyEEEENSA_INSB_IbEEEEZNS1_13binary_searchIS3_S5_SD_SD_SF_NS1_16binary_search_opENS9_16wrapped_functionINS0_4lessIvEEbEEEE10hipError_tPvRmT1_T2_T3_mmT4_T5_P12ihipStream_tbEUlRKyE_EESM_SQ_SR_mSS_SV_bEUlT_E_NS1_11comp_targetILNS1_3genE9ELNS1_11target_archE1100ELNS1_3gpuE3ELNS1_3repE0EEENS1_30default_config_static_selectorELNS0_4arch9wavefront6targetE0EEEvSP_, .Lfunc_end445-_ZN7rocprim17ROCPRIM_400000_NS6detail17trampoline_kernelINS0_14default_configENS1_29binary_search_config_selectorIybEEZNS1_14transform_implILb0ES3_S5_N6thrust23THRUST_200600_302600_NS6detail15normal_iteratorINS8_10device_ptrIyEEEENSA_INSB_IbEEEEZNS1_13binary_searchIS3_S5_SD_SD_SF_NS1_16binary_search_opENS9_16wrapped_functionINS0_4lessIvEEbEEEE10hipError_tPvRmT1_T2_T3_mmT4_T5_P12ihipStream_tbEUlRKyE_EESM_SQ_SR_mSS_SV_bEUlT_E_NS1_11comp_targetILNS1_3genE9ELNS1_11target_archE1100ELNS1_3gpuE3ELNS1_3repE0EEENS1_30default_config_static_selectorELNS0_4arch9wavefront6targetE0EEEvSP_
                                        ; -- End function
	.section	.AMDGPU.csdata,"",@progbits
; Kernel info:
; codeLenInByte = 12084
; NumSgprs: 30
; NumVgprs: 42
; ScratchSize: 0
; MemoryBound: 0
; FloatMode: 240
; IeeeMode: 1
; LDSByteSize: 0 bytes/workgroup (compile time only)
; SGPRBlocks: 3
; VGPRBlocks: 5
; NumSGPRsForWavesPerEU: 30
; NumVGPRsForWavesPerEU: 42
; Occupancy: 16
; WaveLimiterHint : 1
; COMPUTE_PGM_RSRC2:SCRATCH_EN: 0
; COMPUTE_PGM_RSRC2:USER_SGPR: 15
; COMPUTE_PGM_RSRC2:TRAP_HANDLER: 0
; COMPUTE_PGM_RSRC2:TGID_X_EN: 1
; COMPUTE_PGM_RSRC2:TGID_Y_EN: 0
; COMPUTE_PGM_RSRC2:TGID_Z_EN: 0
; COMPUTE_PGM_RSRC2:TIDIG_COMP_CNT: 0
	.section	.text._ZN7rocprim17ROCPRIM_400000_NS6detail17trampoline_kernelINS0_14default_configENS1_29binary_search_config_selectorIybEEZNS1_14transform_implILb0ES3_S5_N6thrust23THRUST_200600_302600_NS6detail15normal_iteratorINS8_10device_ptrIyEEEENSA_INSB_IbEEEEZNS1_13binary_searchIS3_S5_SD_SD_SF_NS1_16binary_search_opENS9_16wrapped_functionINS0_4lessIvEEbEEEE10hipError_tPvRmT1_T2_T3_mmT4_T5_P12ihipStream_tbEUlRKyE_EESM_SQ_SR_mSS_SV_bEUlT_E_NS1_11comp_targetILNS1_3genE8ELNS1_11target_archE1030ELNS1_3gpuE2ELNS1_3repE0EEENS1_30default_config_static_selectorELNS0_4arch9wavefront6targetE0EEEvSP_,"axG",@progbits,_ZN7rocprim17ROCPRIM_400000_NS6detail17trampoline_kernelINS0_14default_configENS1_29binary_search_config_selectorIybEEZNS1_14transform_implILb0ES3_S5_N6thrust23THRUST_200600_302600_NS6detail15normal_iteratorINS8_10device_ptrIyEEEENSA_INSB_IbEEEEZNS1_13binary_searchIS3_S5_SD_SD_SF_NS1_16binary_search_opENS9_16wrapped_functionINS0_4lessIvEEbEEEE10hipError_tPvRmT1_T2_T3_mmT4_T5_P12ihipStream_tbEUlRKyE_EESM_SQ_SR_mSS_SV_bEUlT_E_NS1_11comp_targetILNS1_3genE8ELNS1_11target_archE1030ELNS1_3gpuE2ELNS1_3repE0EEENS1_30default_config_static_selectorELNS0_4arch9wavefront6targetE0EEEvSP_,comdat
	.protected	_ZN7rocprim17ROCPRIM_400000_NS6detail17trampoline_kernelINS0_14default_configENS1_29binary_search_config_selectorIybEEZNS1_14transform_implILb0ES3_S5_N6thrust23THRUST_200600_302600_NS6detail15normal_iteratorINS8_10device_ptrIyEEEENSA_INSB_IbEEEEZNS1_13binary_searchIS3_S5_SD_SD_SF_NS1_16binary_search_opENS9_16wrapped_functionINS0_4lessIvEEbEEEE10hipError_tPvRmT1_T2_T3_mmT4_T5_P12ihipStream_tbEUlRKyE_EESM_SQ_SR_mSS_SV_bEUlT_E_NS1_11comp_targetILNS1_3genE8ELNS1_11target_archE1030ELNS1_3gpuE2ELNS1_3repE0EEENS1_30default_config_static_selectorELNS0_4arch9wavefront6targetE0EEEvSP_ ; -- Begin function _ZN7rocprim17ROCPRIM_400000_NS6detail17trampoline_kernelINS0_14default_configENS1_29binary_search_config_selectorIybEEZNS1_14transform_implILb0ES3_S5_N6thrust23THRUST_200600_302600_NS6detail15normal_iteratorINS8_10device_ptrIyEEEENSA_INSB_IbEEEEZNS1_13binary_searchIS3_S5_SD_SD_SF_NS1_16binary_search_opENS9_16wrapped_functionINS0_4lessIvEEbEEEE10hipError_tPvRmT1_T2_T3_mmT4_T5_P12ihipStream_tbEUlRKyE_EESM_SQ_SR_mSS_SV_bEUlT_E_NS1_11comp_targetILNS1_3genE8ELNS1_11target_archE1030ELNS1_3gpuE2ELNS1_3repE0EEENS1_30default_config_static_selectorELNS0_4arch9wavefront6targetE0EEEvSP_
	.globl	_ZN7rocprim17ROCPRIM_400000_NS6detail17trampoline_kernelINS0_14default_configENS1_29binary_search_config_selectorIybEEZNS1_14transform_implILb0ES3_S5_N6thrust23THRUST_200600_302600_NS6detail15normal_iteratorINS8_10device_ptrIyEEEENSA_INSB_IbEEEEZNS1_13binary_searchIS3_S5_SD_SD_SF_NS1_16binary_search_opENS9_16wrapped_functionINS0_4lessIvEEbEEEE10hipError_tPvRmT1_T2_T3_mmT4_T5_P12ihipStream_tbEUlRKyE_EESM_SQ_SR_mSS_SV_bEUlT_E_NS1_11comp_targetILNS1_3genE8ELNS1_11target_archE1030ELNS1_3gpuE2ELNS1_3repE0EEENS1_30default_config_static_selectorELNS0_4arch9wavefront6targetE0EEEvSP_
	.p2align	8
	.type	_ZN7rocprim17ROCPRIM_400000_NS6detail17trampoline_kernelINS0_14default_configENS1_29binary_search_config_selectorIybEEZNS1_14transform_implILb0ES3_S5_N6thrust23THRUST_200600_302600_NS6detail15normal_iteratorINS8_10device_ptrIyEEEENSA_INSB_IbEEEEZNS1_13binary_searchIS3_S5_SD_SD_SF_NS1_16binary_search_opENS9_16wrapped_functionINS0_4lessIvEEbEEEE10hipError_tPvRmT1_T2_T3_mmT4_T5_P12ihipStream_tbEUlRKyE_EESM_SQ_SR_mSS_SV_bEUlT_E_NS1_11comp_targetILNS1_3genE8ELNS1_11target_archE1030ELNS1_3gpuE2ELNS1_3repE0EEENS1_30default_config_static_selectorELNS0_4arch9wavefront6targetE0EEEvSP_,@function
_ZN7rocprim17ROCPRIM_400000_NS6detail17trampoline_kernelINS0_14default_configENS1_29binary_search_config_selectorIybEEZNS1_14transform_implILb0ES3_S5_N6thrust23THRUST_200600_302600_NS6detail15normal_iteratorINS8_10device_ptrIyEEEENSA_INSB_IbEEEEZNS1_13binary_searchIS3_S5_SD_SD_SF_NS1_16binary_search_opENS9_16wrapped_functionINS0_4lessIvEEbEEEE10hipError_tPvRmT1_T2_T3_mmT4_T5_P12ihipStream_tbEUlRKyE_EESM_SQ_SR_mSS_SV_bEUlT_E_NS1_11comp_targetILNS1_3genE8ELNS1_11target_archE1030ELNS1_3gpuE2ELNS1_3repE0EEENS1_30default_config_static_selectorELNS0_4arch9wavefront6targetE0EEEvSP_: ; @_ZN7rocprim17ROCPRIM_400000_NS6detail17trampoline_kernelINS0_14default_configENS1_29binary_search_config_selectorIybEEZNS1_14transform_implILb0ES3_S5_N6thrust23THRUST_200600_302600_NS6detail15normal_iteratorINS8_10device_ptrIyEEEENSA_INSB_IbEEEEZNS1_13binary_searchIS3_S5_SD_SD_SF_NS1_16binary_search_opENS9_16wrapped_functionINS0_4lessIvEEbEEEE10hipError_tPvRmT1_T2_T3_mmT4_T5_P12ihipStream_tbEUlRKyE_EESM_SQ_SR_mSS_SV_bEUlT_E_NS1_11comp_targetILNS1_3genE8ELNS1_11target_archE1030ELNS1_3gpuE2ELNS1_3repE0EEENS1_30default_config_static_selectorELNS0_4arch9wavefront6targetE0EEEvSP_
; %bb.0:
	.section	.rodata,"a",@progbits
	.p2align	6, 0x0
	.amdhsa_kernel _ZN7rocprim17ROCPRIM_400000_NS6detail17trampoline_kernelINS0_14default_configENS1_29binary_search_config_selectorIybEEZNS1_14transform_implILb0ES3_S5_N6thrust23THRUST_200600_302600_NS6detail15normal_iteratorINS8_10device_ptrIyEEEENSA_INSB_IbEEEEZNS1_13binary_searchIS3_S5_SD_SD_SF_NS1_16binary_search_opENS9_16wrapped_functionINS0_4lessIvEEbEEEE10hipError_tPvRmT1_T2_T3_mmT4_T5_P12ihipStream_tbEUlRKyE_EESM_SQ_SR_mSS_SV_bEUlT_E_NS1_11comp_targetILNS1_3genE8ELNS1_11target_archE1030ELNS1_3gpuE2ELNS1_3repE0EEENS1_30default_config_static_selectorELNS0_4arch9wavefront6targetE0EEEvSP_
		.amdhsa_group_segment_fixed_size 0
		.amdhsa_private_segment_fixed_size 0
		.amdhsa_kernarg_size 56
		.amdhsa_user_sgpr_count 15
		.amdhsa_user_sgpr_dispatch_ptr 0
		.amdhsa_user_sgpr_queue_ptr 0
		.amdhsa_user_sgpr_kernarg_segment_ptr 1
		.amdhsa_user_sgpr_dispatch_id 0
		.amdhsa_user_sgpr_private_segment_size 0
		.amdhsa_wavefront_size32 1
		.amdhsa_uses_dynamic_stack 0
		.amdhsa_enable_private_segment 0
		.amdhsa_system_sgpr_workgroup_id_x 1
		.amdhsa_system_sgpr_workgroup_id_y 0
		.amdhsa_system_sgpr_workgroup_id_z 0
		.amdhsa_system_sgpr_workgroup_info 0
		.amdhsa_system_vgpr_workitem_id 0
		.amdhsa_next_free_vgpr 1
		.amdhsa_next_free_sgpr 1
		.amdhsa_reserve_vcc 0
		.amdhsa_float_round_mode_32 0
		.amdhsa_float_round_mode_16_64 0
		.amdhsa_float_denorm_mode_32 3
		.amdhsa_float_denorm_mode_16_64 3
		.amdhsa_dx10_clamp 1
		.amdhsa_ieee_mode 1
		.amdhsa_fp16_overflow 0
		.amdhsa_workgroup_processor_mode 1
		.amdhsa_memory_ordered 1
		.amdhsa_forward_progress 0
		.amdhsa_shared_vgpr_count 0
		.amdhsa_exception_fp_ieee_invalid_op 0
		.amdhsa_exception_fp_denorm_src 0
		.amdhsa_exception_fp_ieee_div_zero 0
		.amdhsa_exception_fp_ieee_overflow 0
		.amdhsa_exception_fp_ieee_underflow 0
		.amdhsa_exception_fp_ieee_inexact 0
		.amdhsa_exception_int_div_zero 0
	.end_amdhsa_kernel
	.section	.text._ZN7rocprim17ROCPRIM_400000_NS6detail17trampoline_kernelINS0_14default_configENS1_29binary_search_config_selectorIybEEZNS1_14transform_implILb0ES3_S5_N6thrust23THRUST_200600_302600_NS6detail15normal_iteratorINS8_10device_ptrIyEEEENSA_INSB_IbEEEEZNS1_13binary_searchIS3_S5_SD_SD_SF_NS1_16binary_search_opENS9_16wrapped_functionINS0_4lessIvEEbEEEE10hipError_tPvRmT1_T2_T3_mmT4_T5_P12ihipStream_tbEUlRKyE_EESM_SQ_SR_mSS_SV_bEUlT_E_NS1_11comp_targetILNS1_3genE8ELNS1_11target_archE1030ELNS1_3gpuE2ELNS1_3repE0EEENS1_30default_config_static_selectorELNS0_4arch9wavefront6targetE0EEEvSP_,"axG",@progbits,_ZN7rocprim17ROCPRIM_400000_NS6detail17trampoline_kernelINS0_14default_configENS1_29binary_search_config_selectorIybEEZNS1_14transform_implILb0ES3_S5_N6thrust23THRUST_200600_302600_NS6detail15normal_iteratorINS8_10device_ptrIyEEEENSA_INSB_IbEEEEZNS1_13binary_searchIS3_S5_SD_SD_SF_NS1_16binary_search_opENS9_16wrapped_functionINS0_4lessIvEEbEEEE10hipError_tPvRmT1_T2_T3_mmT4_T5_P12ihipStream_tbEUlRKyE_EESM_SQ_SR_mSS_SV_bEUlT_E_NS1_11comp_targetILNS1_3genE8ELNS1_11target_archE1030ELNS1_3gpuE2ELNS1_3repE0EEENS1_30default_config_static_selectorELNS0_4arch9wavefront6targetE0EEEvSP_,comdat
.Lfunc_end446:
	.size	_ZN7rocprim17ROCPRIM_400000_NS6detail17trampoline_kernelINS0_14default_configENS1_29binary_search_config_selectorIybEEZNS1_14transform_implILb0ES3_S5_N6thrust23THRUST_200600_302600_NS6detail15normal_iteratorINS8_10device_ptrIyEEEENSA_INSB_IbEEEEZNS1_13binary_searchIS3_S5_SD_SD_SF_NS1_16binary_search_opENS9_16wrapped_functionINS0_4lessIvEEbEEEE10hipError_tPvRmT1_T2_T3_mmT4_T5_P12ihipStream_tbEUlRKyE_EESM_SQ_SR_mSS_SV_bEUlT_E_NS1_11comp_targetILNS1_3genE8ELNS1_11target_archE1030ELNS1_3gpuE2ELNS1_3repE0EEENS1_30default_config_static_selectorELNS0_4arch9wavefront6targetE0EEEvSP_, .Lfunc_end446-_ZN7rocprim17ROCPRIM_400000_NS6detail17trampoline_kernelINS0_14default_configENS1_29binary_search_config_selectorIybEEZNS1_14transform_implILb0ES3_S5_N6thrust23THRUST_200600_302600_NS6detail15normal_iteratorINS8_10device_ptrIyEEEENSA_INSB_IbEEEEZNS1_13binary_searchIS3_S5_SD_SD_SF_NS1_16binary_search_opENS9_16wrapped_functionINS0_4lessIvEEbEEEE10hipError_tPvRmT1_T2_T3_mmT4_T5_P12ihipStream_tbEUlRKyE_EESM_SQ_SR_mSS_SV_bEUlT_E_NS1_11comp_targetILNS1_3genE8ELNS1_11target_archE1030ELNS1_3gpuE2ELNS1_3repE0EEENS1_30default_config_static_selectorELNS0_4arch9wavefront6targetE0EEEvSP_
                                        ; -- End function
	.section	.AMDGPU.csdata,"",@progbits
; Kernel info:
; codeLenInByte = 0
; NumSgprs: 0
; NumVgprs: 0
; ScratchSize: 0
; MemoryBound: 0
; FloatMode: 240
; IeeeMode: 1
; LDSByteSize: 0 bytes/workgroup (compile time only)
; SGPRBlocks: 0
; VGPRBlocks: 0
; NumSGPRsForWavesPerEU: 1
; NumVGPRsForWavesPerEU: 1
; Occupancy: 16
; WaveLimiterHint : 0
; COMPUTE_PGM_RSRC2:SCRATCH_EN: 0
; COMPUTE_PGM_RSRC2:USER_SGPR: 15
; COMPUTE_PGM_RSRC2:TRAP_HANDLER: 0
; COMPUTE_PGM_RSRC2:TGID_X_EN: 1
; COMPUTE_PGM_RSRC2:TGID_Y_EN: 0
; COMPUTE_PGM_RSRC2:TGID_Z_EN: 0
; COMPUTE_PGM_RSRC2:TIDIG_COMP_CNT: 0
	.section	.text._ZN7rocprim17ROCPRIM_400000_NS6detail17trampoline_kernelINS0_14default_configENS1_29binary_search_config_selectorIyiEEZNS1_14transform_implILb0ES3_S5_N6thrust23THRUST_200600_302600_NS6detail15normal_iteratorINS8_10device_ptrIyEEEENSA_INSB_IiEEEEZNS1_13binary_searchIS3_S5_SD_SD_SF_NS1_16binary_search_opENS9_16wrapped_functionINS0_4lessIvEEbEEEE10hipError_tPvRmT1_T2_T3_mmT4_T5_P12ihipStream_tbEUlRKyE_EESM_SQ_SR_mSS_SV_bEUlT_E_NS1_11comp_targetILNS1_3genE0ELNS1_11target_archE4294967295ELNS1_3gpuE0ELNS1_3repE0EEENS1_30default_config_static_selectorELNS0_4arch9wavefront6targetE0EEEvSP_,"axG",@progbits,_ZN7rocprim17ROCPRIM_400000_NS6detail17trampoline_kernelINS0_14default_configENS1_29binary_search_config_selectorIyiEEZNS1_14transform_implILb0ES3_S5_N6thrust23THRUST_200600_302600_NS6detail15normal_iteratorINS8_10device_ptrIyEEEENSA_INSB_IiEEEEZNS1_13binary_searchIS3_S5_SD_SD_SF_NS1_16binary_search_opENS9_16wrapped_functionINS0_4lessIvEEbEEEE10hipError_tPvRmT1_T2_T3_mmT4_T5_P12ihipStream_tbEUlRKyE_EESM_SQ_SR_mSS_SV_bEUlT_E_NS1_11comp_targetILNS1_3genE0ELNS1_11target_archE4294967295ELNS1_3gpuE0ELNS1_3repE0EEENS1_30default_config_static_selectorELNS0_4arch9wavefront6targetE0EEEvSP_,comdat
	.protected	_ZN7rocprim17ROCPRIM_400000_NS6detail17trampoline_kernelINS0_14default_configENS1_29binary_search_config_selectorIyiEEZNS1_14transform_implILb0ES3_S5_N6thrust23THRUST_200600_302600_NS6detail15normal_iteratorINS8_10device_ptrIyEEEENSA_INSB_IiEEEEZNS1_13binary_searchIS3_S5_SD_SD_SF_NS1_16binary_search_opENS9_16wrapped_functionINS0_4lessIvEEbEEEE10hipError_tPvRmT1_T2_T3_mmT4_T5_P12ihipStream_tbEUlRKyE_EESM_SQ_SR_mSS_SV_bEUlT_E_NS1_11comp_targetILNS1_3genE0ELNS1_11target_archE4294967295ELNS1_3gpuE0ELNS1_3repE0EEENS1_30default_config_static_selectorELNS0_4arch9wavefront6targetE0EEEvSP_ ; -- Begin function _ZN7rocprim17ROCPRIM_400000_NS6detail17trampoline_kernelINS0_14default_configENS1_29binary_search_config_selectorIyiEEZNS1_14transform_implILb0ES3_S5_N6thrust23THRUST_200600_302600_NS6detail15normal_iteratorINS8_10device_ptrIyEEEENSA_INSB_IiEEEEZNS1_13binary_searchIS3_S5_SD_SD_SF_NS1_16binary_search_opENS9_16wrapped_functionINS0_4lessIvEEbEEEE10hipError_tPvRmT1_T2_T3_mmT4_T5_P12ihipStream_tbEUlRKyE_EESM_SQ_SR_mSS_SV_bEUlT_E_NS1_11comp_targetILNS1_3genE0ELNS1_11target_archE4294967295ELNS1_3gpuE0ELNS1_3repE0EEENS1_30default_config_static_selectorELNS0_4arch9wavefront6targetE0EEEvSP_
	.globl	_ZN7rocprim17ROCPRIM_400000_NS6detail17trampoline_kernelINS0_14default_configENS1_29binary_search_config_selectorIyiEEZNS1_14transform_implILb0ES3_S5_N6thrust23THRUST_200600_302600_NS6detail15normal_iteratorINS8_10device_ptrIyEEEENSA_INSB_IiEEEEZNS1_13binary_searchIS3_S5_SD_SD_SF_NS1_16binary_search_opENS9_16wrapped_functionINS0_4lessIvEEbEEEE10hipError_tPvRmT1_T2_T3_mmT4_T5_P12ihipStream_tbEUlRKyE_EESM_SQ_SR_mSS_SV_bEUlT_E_NS1_11comp_targetILNS1_3genE0ELNS1_11target_archE4294967295ELNS1_3gpuE0ELNS1_3repE0EEENS1_30default_config_static_selectorELNS0_4arch9wavefront6targetE0EEEvSP_
	.p2align	8
	.type	_ZN7rocprim17ROCPRIM_400000_NS6detail17trampoline_kernelINS0_14default_configENS1_29binary_search_config_selectorIyiEEZNS1_14transform_implILb0ES3_S5_N6thrust23THRUST_200600_302600_NS6detail15normal_iteratorINS8_10device_ptrIyEEEENSA_INSB_IiEEEEZNS1_13binary_searchIS3_S5_SD_SD_SF_NS1_16binary_search_opENS9_16wrapped_functionINS0_4lessIvEEbEEEE10hipError_tPvRmT1_T2_T3_mmT4_T5_P12ihipStream_tbEUlRKyE_EESM_SQ_SR_mSS_SV_bEUlT_E_NS1_11comp_targetILNS1_3genE0ELNS1_11target_archE4294967295ELNS1_3gpuE0ELNS1_3repE0EEENS1_30default_config_static_selectorELNS0_4arch9wavefront6targetE0EEEvSP_,@function
_ZN7rocprim17ROCPRIM_400000_NS6detail17trampoline_kernelINS0_14default_configENS1_29binary_search_config_selectorIyiEEZNS1_14transform_implILb0ES3_S5_N6thrust23THRUST_200600_302600_NS6detail15normal_iteratorINS8_10device_ptrIyEEEENSA_INSB_IiEEEEZNS1_13binary_searchIS3_S5_SD_SD_SF_NS1_16binary_search_opENS9_16wrapped_functionINS0_4lessIvEEbEEEE10hipError_tPvRmT1_T2_T3_mmT4_T5_P12ihipStream_tbEUlRKyE_EESM_SQ_SR_mSS_SV_bEUlT_E_NS1_11comp_targetILNS1_3genE0ELNS1_11target_archE4294967295ELNS1_3gpuE0ELNS1_3repE0EEENS1_30default_config_static_selectorELNS0_4arch9wavefront6targetE0EEEvSP_: ; @_ZN7rocprim17ROCPRIM_400000_NS6detail17trampoline_kernelINS0_14default_configENS1_29binary_search_config_selectorIyiEEZNS1_14transform_implILb0ES3_S5_N6thrust23THRUST_200600_302600_NS6detail15normal_iteratorINS8_10device_ptrIyEEEENSA_INSB_IiEEEEZNS1_13binary_searchIS3_S5_SD_SD_SF_NS1_16binary_search_opENS9_16wrapped_functionINS0_4lessIvEEbEEEE10hipError_tPvRmT1_T2_T3_mmT4_T5_P12ihipStream_tbEUlRKyE_EESM_SQ_SR_mSS_SV_bEUlT_E_NS1_11comp_targetILNS1_3genE0ELNS1_11target_archE4294967295ELNS1_3gpuE0ELNS1_3repE0EEENS1_30default_config_static_selectorELNS0_4arch9wavefront6targetE0EEEvSP_
; %bb.0:
	.section	.rodata,"a",@progbits
	.p2align	6, 0x0
	.amdhsa_kernel _ZN7rocprim17ROCPRIM_400000_NS6detail17trampoline_kernelINS0_14default_configENS1_29binary_search_config_selectorIyiEEZNS1_14transform_implILb0ES3_S5_N6thrust23THRUST_200600_302600_NS6detail15normal_iteratorINS8_10device_ptrIyEEEENSA_INSB_IiEEEEZNS1_13binary_searchIS3_S5_SD_SD_SF_NS1_16binary_search_opENS9_16wrapped_functionINS0_4lessIvEEbEEEE10hipError_tPvRmT1_T2_T3_mmT4_T5_P12ihipStream_tbEUlRKyE_EESM_SQ_SR_mSS_SV_bEUlT_E_NS1_11comp_targetILNS1_3genE0ELNS1_11target_archE4294967295ELNS1_3gpuE0ELNS1_3repE0EEENS1_30default_config_static_selectorELNS0_4arch9wavefront6targetE0EEEvSP_
		.amdhsa_group_segment_fixed_size 0
		.amdhsa_private_segment_fixed_size 0
		.amdhsa_kernarg_size 56
		.amdhsa_user_sgpr_count 15
		.amdhsa_user_sgpr_dispatch_ptr 0
		.amdhsa_user_sgpr_queue_ptr 0
		.amdhsa_user_sgpr_kernarg_segment_ptr 1
		.amdhsa_user_sgpr_dispatch_id 0
		.amdhsa_user_sgpr_private_segment_size 0
		.amdhsa_wavefront_size32 1
		.amdhsa_uses_dynamic_stack 0
		.amdhsa_enable_private_segment 0
		.amdhsa_system_sgpr_workgroup_id_x 1
		.amdhsa_system_sgpr_workgroup_id_y 0
		.amdhsa_system_sgpr_workgroup_id_z 0
		.amdhsa_system_sgpr_workgroup_info 0
		.amdhsa_system_vgpr_workitem_id 0
		.amdhsa_next_free_vgpr 1
		.amdhsa_next_free_sgpr 1
		.amdhsa_reserve_vcc 0
		.amdhsa_float_round_mode_32 0
		.amdhsa_float_round_mode_16_64 0
		.amdhsa_float_denorm_mode_32 3
		.amdhsa_float_denorm_mode_16_64 3
		.amdhsa_dx10_clamp 1
		.amdhsa_ieee_mode 1
		.amdhsa_fp16_overflow 0
		.amdhsa_workgroup_processor_mode 1
		.amdhsa_memory_ordered 1
		.amdhsa_forward_progress 0
		.amdhsa_shared_vgpr_count 0
		.amdhsa_exception_fp_ieee_invalid_op 0
		.amdhsa_exception_fp_denorm_src 0
		.amdhsa_exception_fp_ieee_div_zero 0
		.amdhsa_exception_fp_ieee_overflow 0
		.amdhsa_exception_fp_ieee_underflow 0
		.amdhsa_exception_fp_ieee_inexact 0
		.amdhsa_exception_int_div_zero 0
	.end_amdhsa_kernel
	.section	.text._ZN7rocprim17ROCPRIM_400000_NS6detail17trampoline_kernelINS0_14default_configENS1_29binary_search_config_selectorIyiEEZNS1_14transform_implILb0ES3_S5_N6thrust23THRUST_200600_302600_NS6detail15normal_iteratorINS8_10device_ptrIyEEEENSA_INSB_IiEEEEZNS1_13binary_searchIS3_S5_SD_SD_SF_NS1_16binary_search_opENS9_16wrapped_functionINS0_4lessIvEEbEEEE10hipError_tPvRmT1_T2_T3_mmT4_T5_P12ihipStream_tbEUlRKyE_EESM_SQ_SR_mSS_SV_bEUlT_E_NS1_11comp_targetILNS1_3genE0ELNS1_11target_archE4294967295ELNS1_3gpuE0ELNS1_3repE0EEENS1_30default_config_static_selectorELNS0_4arch9wavefront6targetE0EEEvSP_,"axG",@progbits,_ZN7rocprim17ROCPRIM_400000_NS6detail17trampoline_kernelINS0_14default_configENS1_29binary_search_config_selectorIyiEEZNS1_14transform_implILb0ES3_S5_N6thrust23THRUST_200600_302600_NS6detail15normal_iteratorINS8_10device_ptrIyEEEENSA_INSB_IiEEEEZNS1_13binary_searchIS3_S5_SD_SD_SF_NS1_16binary_search_opENS9_16wrapped_functionINS0_4lessIvEEbEEEE10hipError_tPvRmT1_T2_T3_mmT4_T5_P12ihipStream_tbEUlRKyE_EESM_SQ_SR_mSS_SV_bEUlT_E_NS1_11comp_targetILNS1_3genE0ELNS1_11target_archE4294967295ELNS1_3gpuE0ELNS1_3repE0EEENS1_30default_config_static_selectorELNS0_4arch9wavefront6targetE0EEEvSP_,comdat
.Lfunc_end447:
	.size	_ZN7rocprim17ROCPRIM_400000_NS6detail17trampoline_kernelINS0_14default_configENS1_29binary_search_config_selectorIyiEEZNS1_14transform_implILb0ES3_S5_N6thrust23THRUST_200600_302600_NS6detail15normal_iteratorINS8_10device_ptrIyEEEENSA_INSB_IiEEEEZNS1_13binary_searchIS3_S5_SD_SD_SF_NS1_16binary_search_opENS9_16wrapped_functionINS0_4lessIvEEbEEEE10hipError_tPvRmT1_T2_T3_mmT4_T5_P12ihipStream_tbEUlRKyE_EESM_SQ_SR_mSS_SV_bEUlT_E_NS1_11comp_targetILNS1_3genE0ELNS1_11target_archE4294967295ELNS1_3gpuE0ELNS1_3repE0EEENS1_30default_config_static_selectorELNS0_4arch9wavefront6targetE0EEEvSP_, .Lfunc_end447-_ZN7rocprim17ROCPRIM_400000_NS6detail17trampoline_kernelINS0_14default_configENS1_29binary_search_config_selectorIyiEEZNS1_14transform_implILb0ES3_S5_N6thrust23THRUST_200600_302600_NS6detail15normal_iteratorINS8_10device_ptrIyEEEENSA_INSB_IiEEEEZNS1_13binary_searchIS3_S5_SD_SD_SF_NS1_16binary_search_opENS9_16wrapped_functionINS0_4lessIvEEbEEEE10hipError_tPvRmT1_T2_T3_mmT4_T5_P12ihipStream_tbEUlRKyE_EESM_SQ_SR_mSS_SV_bEUlT_E_NS1_11comp_targetILNS1_3genE0ELNS1_11target_archE4294967295ELNS1_3gpuE0ELNS1_3repE0EEENS1_30default_config_static_selectorELNS0_4arch9wavefront6targetE0EEEvSP_
                                        ; -- End function
	.section	.AMDGPU.csdata,"",@progbits
; Kernel info:
; codeLenInByte = 0
; NumSgprs: 0
; NumVgprs: 0
; ScratchSize: 0
; MemoryBound: 0
; FloatMode: 240
; IeeeMode: 1
; LDSByteSize: 0 bytes/workgroup (compile time only)
; SGPRBlocks: 0
; VGPRBlocks: 0
; NumSGPRsForWavesPerEU: 1
; NumVGPRsForWavesPerEU: 1
; Occupancy: 16
; WaveLimiterHint : 0
; COMPUTE_PGM_RSRC2:SCRATCH_EN: 0
; COMPUTE_PGM_RSRC2:USER_SGPR: 15
; COMPUTE_PGM_RSRC2:TRAP_HANDLER: 0
; COMPUTE_PGM_RSRC2:TGID_X_EN: 1
; COMPUTE_PGM_RSRC2:TGID_Y_EN: 0
; COMPUTE_PGM_RSRC2:TGID_Z_EN: 0
; COMPUTE_PGM_RSRC2:TIDIG_COMP_CNT: 0
	.section	.text._ZN7rocprim17ROCPRIM_400000_NS6detail17trampoline_kernelINS0_14default_configENS1_29binary_search_config_selectorIyiEEZNS1_14transform_implILb0ES3_S5_N6thrust23THRUST_200600_302600_NS6detail15normal_iteratorINS8_10device_ptrIyEEEENSA_INSB_IiEEEEZNS1_13binary_searchIS3_S5_SD_SD_SF_NS1_16binary_search_opENS9_16wrapped_functionINS0_4lessIvEEbEEEE10hipError_tPvRmT1_T2_T3_mmT4_T5_P12ihipStream_tbEUlRKyE_EESM_SQ_SR_mSS_SV_bEUlT_E_NS1_11comp_targetILNS1_3genE5ELNS1_11target_archE942ELNS1_3gpuE9ELNS1_3repE0EEENS1_30default_config_static_selectorELNS0_4arch9wavefront6targetE0EEEvSP_,"axG",@progbits,_ZN7rocprim17ROCPRIM_400000_NS6detail17trampoline_kernelINS0_14default_configENS1_29binary_search_config_selectorIyiEEZNS1_14transform_implILb0ES3_S5_N6thrust23THRUST_200600_302600_NS6detail15normal_iteratorINS8_10device_ptrIyEEEENSA_INSB_IiEEEEZNS1_13binary_searchIS3_S5_SD_SD_SF_NS1_16binary_search_opENS9_16wrapped_functionINS0_4lessIvEEbEEEE10hipError_tPvRmT1_T2_T3_mmT4_T5_P12ihipStream_tbEUlRKyE_EESM_SQ_SR_mSS_SV_bEUlT_E_NS1_11comp_targetILNS1_3genE5ELNS1_11target_archE942ELNS1_3gpuE9ELNS1_3repE0EEENS1_30default_config_static_selectorELNS0_4arch9wavefront6targetE0EEEvSP_,comdat
	.protected	_ZN7rocprim17ROCPRIM_400000_NS6detail17trampoline_kernelINS0_14default_configENS1_29binary_search_config_selectorIyiEEZNS1_14transform_implILb0ES3_S5_N6thrust23THRUST_200600_302600_NS6detail15normal_iteratorINS8_10device_ptrIyEEEENSA_INSB_IiEEEEZNS1_13binary_searchIS3_S5_SD_SD_SF_NS1_16binary_search_opENS9_16wrapped_functionINS0_4lessIvEEbEEEE10hipError_tPvRmT1_T2_T3_mmT4_T5_P12ihipStream_tbEUlRKyE_EESM_SQ_SR_mSS_SV_bEUlT_E_NS1_11comp_targetILNS1_3genE5ELNS1_11target_archE942ELNS1_3gpuE9ELNS1_3repE0EEENS1_30default_config_static_selectorELNS0_4arch9wavefront6targetE0EEEvSP_ ; -- Begin function _ZN7rocprim17ROCPRIM_400000_NS6detail17trampoline_kernelINS0_14default_configENS1_29binary_search_config_selectorIyiEEZNS1_14transform_implILb0ES3_S5_N6thrust23THRUST_200600_302600_NS6detail15normal_iteratorINS8_10device_ptrIyEEEENSA_INSB_IiEEEEZNS1_13binary_searchIS3_S5_SD_SD_SF_NS1_16binary_search_opENS9_16wrapped_functionINS0_4lessIvEEbEEEE10hipError_tPvRmT1_T2_T3_mmT4_T5_P12ihipStream_tbEUlRKyE_EESM_SQ_SR_mSS_SV_bEUlT_E_NS1_11comp_targetILNS1_3genE5ELNS1_11target_archE942ELNS1_3gpuE9ELNS1_3repE0EEENS1_30default_config_static_selectorELNS0_4arch9wavefront6targetE0EEEvSP_
	.globl	_ZN7rocprim17ROCPRIM_400000_NS6detail17trampoline_kernelINS0_14default_configENS1_29binary_search_config_selectorIyiEEZNS1_14transform_implILb0ES3_S5_N6thrust23THRUST_200600_302600_NS6detail15normal_iteratorINS8_10device_ptrIyEEEENSA_INSB_IiEEEEZNS1_13binary_searchIS3_S5_SD_SD_SF_NS1_16binary_search_opENS9_16wrapped_functionINS0_4lessIvEEbEEEE10hipError_tPvRmT1_T2_T3_mmT4_T5_P12ihipStream_tbEUlRKyE_EESM_SQ_SR_mSS_SV_bEUlT_E_NS1_11comp_targetILNS1_3genE5ELNS1_11target_archE942ELNS1_3gpuE9ELNS1_3repE0EEENS1_30default_config_static_selectorELNS0_4arch9wavefront6targetE0EEEvSP_
	.p2align	8
	.type	_ZN7rocprim17ROCPRIM_400000_NS6detail17trampoline_kernelINS0_14default_configENS1_29binary_search_config_selectorIyiEEZNS1_14transform_implILb0ES3_S5_N6thrust23THRUST_200600_302600_NS6detail15normal_iteratorINS8_10device_ptrIyEEEENSA_INSB_IiEEEEZNS1_13binary_searchIS3_S5_SD_SD_SF_NS1_16binary_search_opENS9_16wrapped_functionINS0_4lessIvEEbEEEE10hipError_tPvRmT1_T2_T3_mmT4_T5_P12ihipStream_tbEUlRKyE_EESM_SQ_SR_mSS_SV_bEUlT_E_NS1_11comp_targetILNS1_3genE5ELNS1_11target_archE942ELNS1_3gpuE9ELNS1_3repE0EEENS1_30default_config_static_selectorELNS0_4arch9wavefront6targetE0EEEvSP_,@function
_ZN7rocprim17ROCPRIM_400000_NS6detail17trampoline_kernelINS0_14default_configENS1_29binary_search_config_selectorIyiEEZNS1_14transform_implILb0ES3_S5_N6thrust23THRUST_200600_302600_NS6detail15normal_iteratorINS8_10device_ptrIyEEEENSA_INSB_IiEEEEZNS1_13binary_searchIS3_S5_SD_SD_SF_NS1_16binary_search_opENS9_16wrapped_functionINS0_4lessIvEEbEEEE10hipError_tPvRmT1_T2_T3_mmT4_T5_P12ihipStream_tbEUlRKyE_EESM_SQ_SR_mSS_SV_bEUlT_E_NS1_11comp_targetILNS1_3genE5ELNS1_11target_archE942ELNS1_3gpuE9ELNS1_3repE0EEENS1_30default_config_static_selectorELNS0_4arch9wavefront6targetE0EEEvSP_: ; @_ZN7rocprim17ROCPRIM_400000_NS6detail17trampoline_kernelINS0_14default_configENS1_29binary_search_config_selectorIyiEEZNS1_14transform_implILb0ES3_S5_N6thrust23THRUST_200600_302600_NS6detail15normal_iteratorINS8_10device_ptrIyEEEENSA_INSB_IiEEEEZNS1_13binary_searchIS3_S5_SD_SD_SF_NS1_16binary_search_opENS9_16wrapped_functionINS0_4lessIvEEbEEEE10hipError_tPvRmT1_T2_T3_mmT4_T5_P12ihipStream_tbEUlRKyE_EESM_SQ_SR_mSS_SV_bEUlT_E_NS1_11comp_targetILNS1_3genE5ELNS1_11target_archE942ELNS1_3gpuE9ELNS1_3repE0EEENS1_30default_config_static_selectorELNS0_4arch9wavefront6targetE0EEEvSP_
; %bb.0:
	.section	.rodata,"a",@progbits
	.p2align	6, 0x0
	.amdhsa_kernel _ZN7rocprim17ROCPRIM_400000_NS6detail17trampoline_kernelINS0_14default_configENS1_29binary_search_config_selectorIyiEEZNS1_14transform_implILb0ES3_S5_N6thrust23THRUST_200600_302600_NS6detail15normal_iteratorINS8_10device_ptrIyEEEENSA_INSB_IiEEEEZNS1_13binary_searchIS3_S5_SD_SD_SF_NS1_16binary_search_opENS9_16wrapped_functionINS0_4lessIvEEbEEEE10hipError_tPvRmT1_T2_T3_mmT4_T5_P12ihipStream_tbEUlRKyE_EESM_SQ_SR_mSS_SV_bEUlT_E_NS1_11comp_targetILNS1_3genE5ELNS1_11target_archE942ELNS1_3gpuE9ELNS1_3repE0EEENS1_30default_config_static_selectorELNS0_4arch9wavefront6targetE0EEEvSP_
		.amdhsa_group_segment_fixed_size 0
		.amdhsa_private_segment_fixed_size 0
		.amdhsa_kernarg_size 56
		.amdhsa_user_sgpr_count 15
		.amdhsa_user_sgpr_dispatch_ptr 0
		.amdhsa_user_sgpr_queue_ptr 0
		.amdhsa_user_sgpr_kernarg_segment_ptr 1
		.amdhsa_user_sgpr_dispatch_id 0
		.amdhsa_user_sgpr_private_segment_size 0
		.amdhsa_wavefront_size32 1
		.amdhsa_uses_dynamic_stack 0
		.amdhsa_enable_private_segment 0
		.amdhsa_system_sgpr_workgroup_id_x 1
		.amdhsa_system_sgpr_workgroup_id_y 0
		.amdhsa_system_sgpr_workgroup_id_z 0
		.amdhsa_system_sgpr_workgroup_info 0
		.amdhsa_system_vgpr_workitem_id 0
		.amdhsa_next_free_vgpr 1
		.amdhsa_next_free_sgpr 1
		.amdhsa_reserve_vcc 0
		.amdhsa_float_round_mode_32 0
		.amdhsa_float_round_mode_16_64 0
		.amdhsa_float_denorm_mode_32 3
		.amdhsa_float_denorm_mode_16_64 3
		.amdhsa_dx10_clamp 1
		.amdhsa_ieee_mode 1
		.amdhsa_fp16_overflow 0
		.amdhsa_workgroup_processor_mode 1
		.amdhsa_memory_ordered 1
		.amdhsa_forward_progress 0
		.amdhsa_shared_vgpr_count 0
		.amdhsa_exception_fp_ieee_invalid_op 0
		.amdhsa_exception_fp_denorm_src 0
		.amdhsa_exception_fp_ieee_div_zero 0
		.amdhsa_exception_fp_ieee_overflow 0
		.amdhsa_exception_fp_ieee_underflow 0
		.amdhsa_exception_fp_ieee_inexact 0
		.amdhsa_exception_int_div_zero 0
	.end_amdhsa_kernel
	.section	.text._ZN7rocprim17ROCPRIM_400000_NS6detail17trampoline_kernelINS0_14default_configENS1_29binary_search_config_selectorIyiEEZNS1_14transform_implILb0ES3_S5_N6thrust23THRUST_200600_302600_NS6detail15normal_iteratorINS8_10device_ptrIyEEEENSA_INSB_IiEEEEZNS1_13binary_searchIS3_S5_SD_SD_SF_NS1_16binary_search_opENS9_16wrapped_functionINS0_4lessIvEEbEEEE10hipError_tPvRmT1_T2_T3_mmT4_T5_P12ihipStream_tbEUlRKyE_EESM_SQ_SR_mSS_SV_bEUlT_E_NS1_11comp_targetILNS1_3genE5ELNS1_11target_archE942ELNS1_3gpuE9ELNS1_3repE0EEENS1_30default_config_static_selectorELNS0_4arch9wavefront6targetE0EEEvSP_,"axG",@progbits,_ZN7rocprim17ROCPRIM_400000_NS6detail17trampoline_kernelINS0_14default_configENS1_29binary_search_config_selectorIyiEEZNS1_14transform_implILb0ES3_S5_N6thrust23THRUST_200600_302600_NS6detail15normal_iteratorINS8_10device_ptrIyEEEENSA_INSB_IiEEEEZNS1_13binary_searchIS3_S5_SD_SD_SF_NS1_16binary_search_opENS9_16wrapped_functionINS0_4lessIvEEbEEEE10hipError_tPvRmT1_T2_T3_mmT4_T5_P12ihipStream_tbEUlRKyE_EESM_SQ_SR_mSS_SV_bEUlT_E_NS1_11comp_targetILNS1_3genE5ELNS1_11target_archE942ELNS1_3gpuE9ELNS1_3repE0EEENS1_30default_config_static_selectorELNS0_4arch9wavefront6targetE0EEEvSP_,comdat
.Lfunc_end448:
	.size	_ZN7rocprim17ROCPRIM_400000_NS6detail17trampoline_kernelINS0_14default_configENS1_29binary_search_config_selectorIyiEEZNS1_14transform_implILb0ES3_S5_N6thrust23THRUST_200600_302600_NS6detail15normal_iteratorINS8_10device_ptrIyEEEENSA_INSB_IiEEEEZNS1_13binary_searchIS3_S5_SD_SD_SF_NS1_16binary_search_opENS9_16wrapped_functionINS0_4lessIvEEbEEEE10hipError_tPvRmT1_T2_T3_mmT4_T5_P12ihipStream_tbEUlRKyE_EESM_SQ_SR_mSS_SV_bEUlT_E_NS1_11comp_targetILNS1_3genE5ELNS1_11target_archE942ELNS1_3gpuE9ELNS1_3repE0EEENS1_30default_config_static_selectorELNS0_4arch9wavefront6targetE0EEEvSP_, .Lfunc_end448-_ZN7rocprim17ROCPRIM_400000_NS6detail17trampoline_kernelINS0_14default_configENS1_29binary_search_config_selectorIyiEEZNS1_14transform_implILb0ES3_S5_N6thrust23THRUST_200600_302600_NS6detail15normal_iteratorINS8_10device_ptrIyEEEENSA_INSB_IiEEEEZNS1_13binary_searchIS3_S5_SD_SD_SF_NS1_16binary_search_opENS9_16wrapped_functionINS0_4lessIvEEbEEEE10hipError_tPvRmT1_T2_T3_mmT4_T5_P12ihipStream_tbEUlRKyE_EESM_SQ_SR_mSS_SV_bEUlT_E_NS1_11comp_targetILNS1_3genE5ELNS1_11target_archE942ELNS1_3gpuE9ELNS1_3repE0EEENS1_30default_config_static_selectorELNS0_4arch9wavefront6targetE0EEEvSP_
                                        ; -- End function
	.section	.AMDGPU.csdata,"",@progbits
; Kernel info:
; codeLenInByte = 0
; NumSgprs: 0
; NumVgprs: 0
; ScratchSize: 0
; MemoryBound: 0
; FloatMode: 240
; IeeeMode: 1
; LDSByteSize: 0 bytes/workgroup (compile time only)
; SGPRBlocks: 0
; VGPRBlocks: 0
; NumSGPRsForWavesPerEU: 1
; NumVGPRsForWavesPerEU: 1
; Occupancy: 16
; WaveLimiterHint : 0
; COMPUTE_PGM_RSRC2:SCRATCH_EN: 0
; COMPUTE_PGM_RSRC2:USER_SGPR: 15
; COMPUTE_PGM_RSRC2:TRAP_HANDLER: 0
; COMPUTE_PGM_RSRC2:TGID_X_EN: 1
; COMPUTE_PGM_RSRC2:TGID_Y_EN: 0
; COMPUTE_PGM_RSRC2:TGID_Z_EN: 0
; COMPUTE_PGM_RSRC2:TIDIG_COMP_CNT: 0
	.section	.text._ZN7rocprim17ROCPRIM_400000_NS6detail17trampoline_kernelINS0_14default_configENS1_29binary_search_config_selectorIyiEEZNS1_14transform_implILb0ES3_S5_N6thrust23THRUST_200600_302600_NS6detail15normal_iteratorINS8_10device_ptrIyEEEENSA_INSB_IiEEEEZNS1_13binary_searchIS3_S5_SD_SD_SF_NS1_16binary_search_opENS9_16wrapped_functionINS0_4lessIvEEbEEEE10hipError_tPvRmT1_T2_T3_mmT4_T5_P12ihipStream_tbEUlRKyE_EESM_SQ_SR_mSS_SV_bEUlT_E_NS1_11comp_targetILNS1_3genE4ELNS1_11target_archE910ELNS1_3gpuE8ELNS1_3repE0EEENS1_30default_config_static_selectorELNS0_4arch9wavefront6targetE0EEEvSP_,"axG",@progbits,_ZN7rocprim17ROCPRIM_400000_NS6detail17trampoline_kernelINS0_14default_configENS1_29binary_search_config_selectorIyiEEZNS1_14transform_implILb0ES3_S5_N6thrust23THRUST_200600_302600_NS6detail15normal_iteratorINS8_10device_ptrIyEEEENSA_INSB_IiEEEEZNS1_13binary_searchIS3_S5_SD_SD_SF_NS1_16binary_search_opENS9_16wrapped_functionINS0_4lessIvEEbEEEE10hipError_tPvRmT1_T2_T3_mmT4_T5_P12ihipStream_tbEUlRKyE_EESM_SQ_SR_mSS_SV_bEUlT_E_NS1_11comp_targetILNS1_3genE4ELNS1_11target_archE910ELNS1_3gpuE8ELNS1_3repE0EEENS1_30default_config_static_selectorELNS0_4arch9wavefront6targetE0EEEvSP_,comdat
	.protected	_ZN7rocprim17ROCPRIM_400000_NS6detail17trampoline_kernelINS0_14default_configENS1_29binary_search_config_selectorIyiEEZNS1_14transform_implILb0ES3_S5_N6thrust23THRUST_200600_302600_NS6detail15normal_iteratorINS8_10device_ptrIyEEEENSA_INSB_IiEEEEZNS1_13binary_searchIS3_S5_SD_SD_SF_NS1_16binary_search_opENS9_16wrapped_functionINS0_4lessIvEEbEEEE10hipError_tPvRmT1_T2_T3_mmT4_T5_P12ihipStream_tbEUlRKyE_EESM_SQ_SR_mSS_SV_bEUlT_E_NS1_11comp_targetILNS1_3genE4ELNS1_11target_archE910ELNS1_3gpuE8ELNS1_3repE0EEENS1_30default_config_static_selectorELNS0_4arch9wavefront6targetE0EEEvSP_ ; -- Begin function _ZN7rocprim17ROCPRIM_400000_NS6detail17trampoline_kernelINS0_14default_configENS1_29binary_search_config_selectorIyiEEZNS1_14transform_implILb0ES3_S5_N6thrust23THRUST_200600_302600_NS6detail15normal_iteratorINS8_10device_ptrIyEEEENSA_INSB_IiEEEEZNS1_13binary_searchIS3_S5_SD_SD_SF_NS1_16binary_search_opENS9_16wrapped_functionINS0_4lessIvEEbEEEE10hipError_tPvRmT1_T2_T3_mmT4_T5_P12ihipStream_tbEUlRKyE_EESM_SQ_SR_mSS_SV_bEUlT_E_NS1_11comp_targetILNS1_3genE4ELNS1_11target_archE910ELNS1_3gpuE8ELNS1_3repE0EEENS1_30default_config_static_selectorELNS0_4arch9wavefront6targetE0EEEvSP_
	.globl	_ZN7rocprim17ROCPRIM_400000_NS6detail17trampoline_kernelINS0_14default_configENS1_29binary_search_config_selectorIyiEEZNS1_14transform_implILb0ES3_S5_N6thrust23THRUST_200600_302600_NS6detail15normal_iteratorINS8_10device_ptrIyEEEENSA_INSB_IiEEEEZNS1_13binary_searchIS3_S5_SD_SD_SF_NS1_16binary_search_opENS9_16wrapped_functionINS0_4lessIvEEbEEEE10hipError_tPvRmT1_T2_T3_mmT4_T5_P12ihipStream_tbEUlRKyE_EESM_SQ_SR_mSS_SV_bEUlT_E_NS1_11comp_targetILNS1_3genE4ELNS1_11target_archE910ELNS1_3gpuE8ELNS1_3repE0EEENS1_30default_config_static_selectorELNS0_4arch9wavefront6targetE0EEEvSP_
	.p2align	8
	.type	_ZN7rocprim17ROCPRIM_400000_NS6detail17trampoline_kernelINS0_14default_configENS1_29binary_search_config_selectorIyiEEZNS1_14transform_implILb0ES3_S5_N6thrust23THRUST_200600_302600_NS6detail15normal_iteratorINS8_10device_ptrIyEEEENSA_INSB_IiEEEEZNS1_13binary_searchIS3_S5_SD_SD_SF_NS1_16binary_search_opENS9_16wrapped_functionINS0_4lessIvEEbEEEE10hipError_tPvRmT1_T2_T3_mmT4_T5_P12ihipStream_tbEUlRKyE_EESM_SQ_SR_mSS_SV_bEUlT_E_NS1_11comp_targetILNS1_3genE4ELNS1_11target_archE910ELNS1_3gpuE8ELNS1_3repE0EEENS1_30default_config_static_selectorELNS0_4arch9wavefront6targetE0EEEvSP_,@function
_ZN7rocprim17ROCPRIM_400000_NS6detail17trampoline_kernelINS0_14default_configENS1_29binary_search_config_selectorIyiEEZNS1_14transform_implILb0ES3_S5_N6thrust23THRUST_200600_302600_NS6detail15normal_iteratorINS8_10device_ptrIyEEEENSA_INSB_IiEEEEZNS1_13binary_searchIS3_S5_SD_SD_SF_NS1_16binary_search_opENS9_16wrapped_functionINS0_4lessIvEEbEEEE10hipError_tPvRmT1_T2_T3_mmT4_T5_P12ihipStream_tbEUlRKyE_EESM_SQ_SR_mSS_SV_bEUlT_E_NS1_11comp_targetILNS1_3genE4ELNS1_11target_archE910ELNS1_3gpuE8ELNS1_3repE0EEENS1_30default_config_static_selectorELNS0_4arch9wavefront6targetE0EEEvSP_: ; @_ZN7rocprim17ROCPRIM_400000_NS6detail17trampoline_kernelINS0_14default_configENS1_29binary_search_config_selectorIyiEEZNS1_14transform_implILb0ES3_S5_N6thrust23THRUST_200600_302600_NS6detail15normal_iteratorINS8_10device_ptrIyEEEENSA_INSB_IiEEEEZNS1_13binary_searchIS3_S5_SD_SD_SF_NS1_16binary_search_opENS9_16wrapped_functionINS0_4lessIvEEbEEEE10hipError_tPvRmT1_T2_T3_mmT4_T5_P12ihipStream_tbEUlRKyE_EESM_SQ_SR_mSS_SV_bEUlT_E_NS1_11comp_targetILNS1_3genE4ELNS1_11target_archE910ELNS1_3gpuE8ELNS1_3repE0EEENS1_30default_config_static_selectorELNS0_4arch9wavefront6targetE0EEEvSP_
; %bb.0:
	.section	.rodata,"a",@progbits
	.p2align	6, 0x0
	.amdhsa_kernel _ZN7rocprim17ROCPRIM_400000_NS6detail17trampoline_kernelINS0_14default_configENS1_29binary_search_config_selectorIyiEEZNS1_14transform_implILb0ES3_S5_N6thrust23THRUST_200600_302600_NS6detail15normal_iteratorINS8_10device_ptrIyEEEENSA_INSB_IiEEEEZNS1_13binary_searchIS3_S5_SD_SD_SF_NS1_16binary_search_opENS9_16wrapped_functionINS0_4lessIvEEbEEEE10hipError_tPvRmT1_T2_T3_mmT4_T5_P12ihipStream_tbEUlRKyE_EESM_SQ_SR_mSS_SV_bEUlT_E_NS1_11comp_targetILNS1_3genE4ELNS1_11target_archE910ELNS1_3gpuE8ELNS1_3repE0EEENS1_30default_config_static_selectorELNS0_4arch9wavefront6targetE0EEEvSP_
		.amdhsa_group_segment_fixed_size 0
		.amdhsa_private_segment_fixed_size 0
		.amdhsa_kernarg_size 56
		.amdhsa_user_sgpr_count 15
		.amdhsa_user_sgpr_dispatch_ptr 0
		.amdhsa_user_sgpr_queue_ptr 0
		.amdhsa_user_sgpr_kernarg_segment_ptr 1
		.amdhsa_user_sgpr_dispatch_id 0
		.amdhsa_user_sgpr_private_segment_size 0
		.amdhsa_wavefront_size32 1
		.amdhsa_uses_dynamic_stack 0
		.amdhsa_enable_private_segment 0
		.amdhsa_system_sgpr_workgroup_id_x 1
		.amdhsa_system_sgpr_workgroup_id_y 0
		.amdhsa_system_sgpr_workgroup_id_z 0
		.amdhsa_system_sgpr_workgroup_info 0
		.amdhsa_system_vgpr_workitem_id 0
		.amdhsa_next_free_vgpr 1
		.amdhsa_next_free_sgpr 1
		.amdhsa_reserve_vcc 0
		.amdhsa_float_round_mode_32 0
		.amdhsa_float_round_mode_16_64 0
		.amdhsa_float_denorm_mode_32 3
		.amdhsa_float_denorm_mode_16_64 3
		.amdhsa_dx10_clamp 1
		.amdhsa_ieee_mode 1
		.amdhsa_fp16_overflow 0
		.amdhsa_workgroup_processor_mode 1
		.amdhsa_memory_ordered 1
		.amdhsa_forward_progress 0
		.amdhsa_shared_vgpr_count 0
		.amdhsa_exception_fp_ieee_invalid_op 0
		.amdhsa_exception_fp_denorm_src 0
		.amdhsa_exception_fp_ieee_div_zero 0
		.amdhsa_exception_fp_ieee_overflow 0
		.amdhsa_exception_fp_ieee_underflow 0
		.amdhsa_exception_fp_ieee_inexact 0
		.amdhsa_exception_int_div_zero 0
	.end_amdhsa_kernel
	.section	.text._ZN7rocprim17ROCPRIM_400000_NS6detail17trampoline_kernelINS0_14default_configENS1_29binary_search_config_selectorIyiEEZNS1_14transform_implILb0ES3_S5_N6thrust23THRUST_200600_302600_NS6detail15normal_iteratorINS8_10device_ptrIyEEEENSA_INSB_IiEEEEZNS1_13binary_searchIS3_S5_SD_SD_SF_NS1_16binary_search_opENS9_16wrapped_functionINS0_4lessIvEEbEEEE10hipError_tPvRmT1_T2_T3_mmT4_T5_P12ihipStream_tbEUlRKyE_EESM_SQ_SR_mSS_SV_bEUlT_E_NS1_11comp_targetILNS1_3genE4ELNS1_11target_archE910ELNS1_3gpuE8ELNS1_3repE0EEENS1_30default_config_static_selectorELNS0_4arch9wavefront6targetE0EEEvSP_,"axG",@progbits,_ZN7rocprim17ROCPRIM_400000_NS6detail17trampoline_kernelINS0_14default_configENS1_29binary_search_config_selectorIyiEEZNS1_14transform_implILb0ES3_S5_N6thrust23THRUST_200600_302600_NS6detail15normal_iteratorINS8_10device_ptrIyEEEENSA_INSB_IiEEEEZNS1_13binary_searchIS3_S5_SD_SD_SF_NS1_16binary_search_opENS9_16wrapped_functionINS0_4lessIvEEbEEEE10hipError_tPvRmT1_T2_T3_mmT4_T5_P12ihipStream_tbEUlRKyE_EESM_SQ_SR_mSS_SV_bEUlT_E_NS1_11comp_targetILNS1_3genE4ELNS1_11target_archE910ELNS1_3gpuE8ELNS1_3repE0EEENS1_30default_config_static_selectorELNS0_4arch9wavefront6targetE0EEEvSP_,comdat
.Lfunc_end449:
	.size	_ZN7rocprim17ROCPRIM_400000_NS6detail17trampoline_kernelINS0_14default_configENS1_29binary_search_config_selectorIyiEEZNS1_14transform_implILb0ES3_S5_N6thrust23THRUST_200600_302600_NS6detail15normal_iteratorINS8_10device_ptrIyEEEENSA_INSB_IiEEEEZNS1_13binary_searchIS3_S5_SD_SD_SF_NS1_16binary_search_opENS9_16wrapped_functionINS0_4lessIvEEbEEEE10hipError_tPvRmT1_T2_T3_mmT4_T5_P12ihipStream_tbEUlRKyE_EESM_SQ_SR_mSS_SV_bEUlT_E_NS1_11comp_targetILNS1_3genE4ELNS1_11target_archE910ELNS1_3gpuE8ELNS1_3repE0EEENS1_30default_config_static_selectorELNS0_4arch9wavefront6targetE0EEEvSP_, .Lfunc_end449-_ZN7rocprim17ROCPRIM_400000_NS6detail17trampoline_kernelINS0_14default_configENS1_29binary_search_config_selectorIyiEEZNS1_14transform_implILb0ES3_S5_N6thrust23THRUST_200600_302600_NS6detail15normal_iteratorINS8_10device_ptrIyEEEENSA_INSB_IiEEEEZNS1_13binary_searchIS3_S5_SD_SD_SF_NS1_16binary_search_opENS9_16wrapped_functionINS0_4lessIvEEbEEEE10hipError_tPvRmT1_T2_T3_mmT4_T5_P12ihipStream_tbEUlRKyE_EESM_SQ_SR_mSS_SV_bEUlT_E_NS1_11comp_targetILNS1_3genE4ELNS1_11target_archE910ELNS1_3gpuE8ELNS1_3repE0EEENS1_30default_config_static_selectorELNS0_4arch9wavefront6targetE0EEEvSP_
                                        ; -- End function
	.section	.AMDGPU.csdata,"",@progbits
; Kernel info:
; codeLenInByte = 0
; NumSgprs: 0
; NumVgprs: 0
; ScratchSize: 0
; MemoryBound: 0
; FloatMode: 240
; IeeeMode: 1
; LDSByteSize: 0 bytes/workgroup (compile time only)
; SGPRBlocks: 0
; VGPRBlocks: 0
; NumSGPRsForWavesPerEU: 1
; NumVGPRsForWavesPerEU: 1
; Occupancy: 16
; WaveLimiterHint : 0
; COMPUTE_PGM_RSRC2:SCRATCH_EN: 0
; COMPUTE_PGM_RSRC2:USER_SGPR: 15
; COMPUTE_PGM_RSRC2:TRAP_HANDLER: 0
; COMPUTE_PGM_RSRC2:TGID_X_EN: 1
; COMPUTE_PGM_RSRC2:TGID_Y_EN: 0
; COMPUTE_PGM_RSRC2:TGID_Z_EN: 0
; COMPUTE_PGM_RSRC2:TIDIG_COMP_CNT: 0
	.section	.text._ZN7rocprim17ROCPRIM_400000_NS6detail17trampoline_kernelINS0_14default_configENS1_29binary_search_config_selectorIyiEEZNS1_14transform_implILb0ES3_S5_N6thrust23THRUST_200600_302600_NS6detail15normal_iteratorINS8_10device_ptrIyEEEENSA_INSB_IiEEEEZNS1_13binary_searchIS3_S5_SD_SD_SF_NS1_16binary_search_opENS9_16wrapped_functionINS0_4lessIvEEbEEEE10hipError_tPvRmT1_T2_T3_mmT4_T5_P12ihipStream_tbEUlRKyE_EESM_SQ_SR_mSS_SV_bEUlT_E_NS1_11comp_targetILNS1_3genE3ELNS1_11target_archE908ELNS1_3gpuE7ELNS1_3repE0EEENS1_30default_config_static_selectorELNS0_4arch9wavefront6targetE0EEEvSP_,"axG",@progbits,_ZN7rocprim17ROCPRIM_400000_NS6detail17trampoline_kernelINS0_14default_configENS1_29binary_search_config_selectorIyiEEZNS1_14transform_implILb0ES3_S5_N6thrust23THRUST_200600_302600_NS6detail15normal_iteratorINS8_10device_ptrIyEEEENSA_INSB_IiEEEEZNS1_13binary_searchIS3_S5_SD_SD_SF_NS1_16binary_search_opENS9_16wrapped_functionINS0_4lessIvEEbEEEE10hipError_tPvRmT1_T2_T3_mmT4_T5_P12ihipStream_tbEUlRKyE_EESM_SQ_SR_mSS_SV_bEUlT_E_NS1_11comp_targetILNS1_3genE3ELNS1_11target_archE908ELNS1_3gpuE7ELNS1_3repE0EEENS1_30default_config_static_selectorELNS0_4arch9wavefront6targetE0EEEvSP_,comdat
	.protected	_ZN7rocprim17ROCPRIM_400000_NS6detail17trampoline_kernelINS0_14default_configENS1_29binary_search_config_selectorIyiEEZNS1_14transform_implILb0ES3_S5_N6thrust23THRUST_200600_302600_NS6detail15normal_iteratorINS8_10device_ptrIyEEEENSA_INSB_IiEEEEZNS1_13binary_searchIS3_S5_SD_SD_SF_NS1_16binary_search_opENS9_16wrapped_functionINS0_4lessIvEEbEEEE10hipError_tPvRmT1_T2_T3_mmT4_T5_P12ihipStream_tbEUlRKyE_EESM_SQ_SR_mSS_SV_bEUlT_E_NS1_11comp_targetILNS1_3genE3ELNS1_11target_archE908ELNS1_3gpuE7ELNS1_3repE0EEENS1_30default_config_static_selectorELNS0_4arch9wavefront6targetE0EEEvSP_ ; -- Begin function _ZN7rocprim17ROCPRIM_400000_NS6detail17trampoline_kernelINS0_14default_configENS1_29binary_search_config_selectorIyiEEZNS1_14transform_implILb0ES3_S5_N6thrust23THRUST_200600_302600_NS6detail15normal_iteratorINS8_10device_ptrIyEEEENSA_INSB_IiEEEEZNS1_13binary_searchIS3_S5_SD_SD_SF_NS1_16binary_search_opENS9_16wrapped_functionINS0_4lessIvEEbEEEE10hipError_tPvRmT1_T2_T3_mmT4_T5_P12ihipStream_tbEUlRKyE_EESM_SQ_SR_mSS_SV_bEUlT_E_NS1_11comp_targetILNS1_3genE3ELNS1_11target_archE908ELNS1_3gpuE7ELNS1_3repE0EEENS1_30default_config_static_selectorELNS0_4arch9wavefront6targetE0EEEvSP_
	.globl	_ZN7rocprim17ROCPRIM_400000_NS6detail17trampoline_kernelINS0_14default_configENS1_29binary_search_config_selectorIyiEEZNS1_14transform_implILb0ES3_S5_N6thrust23THRUST_200600_302600_NS6detail15normal_iteratorINS8_10device_ptrIyEEEENSA_INSB_IiEEEEZNS1_13binary_searchIS3_S5_SD_SD_SF_NS1_16binary_search_opENS9_16wrapped_functionINS0_4lessIvEEbEEEE10hipError_tPvRmT1_T2_T3_mmT4_T5_P12ihipStream_tbEUlRKyE_EESM_SQ_SR_mSS_SV_bEUlT_E_NS1_11comp_targetILNS1_3genE3ELNS1_11target_archE908ELNS1_3gpuE7ELNS1_3repE0EEENS1_30default_config_static_selectorELNS0_4arch9wavefront6targetE0EEEvSP_
	.p2align	8
	.type	_ZN7rocprim17ROCPRIM_400000_NS6detail17trampoline_kernelINS0_14default_configENS1_29binary_search_config_selectorIyiEEZNS1_14transform_implILb0ES3_S5_N6thrust23THRUST_200600_302600_NS6detail15normal_iteratorINS8_10device_ptrIyEEEENSA_INSB_IiEEEEZNS1_13binary_searchIS3_S5_SD_SD_SF_NS1_16binary_search_opENS9_16wrapped_functionINS0_4lessIvEEbEEEE10hipError_tPvRmT1_T2_T3_mmT4_T5_P12ihipStream_tbEUlRKyE_EESM_SQ_SR_mSS_SV_bEUlT_E_NS1_11comp_targetILNS1_3genE3ELNS1_11target_archE908ELNS1_3gpuE7ELNS1_3repE0EEENS1_30default_config_static_selectorELNS0_4arch9wavefront6targetE0EEEvSP_,@function
_ZN7rocprim17ROCPRIM_400000_NS6detail17trampoline_kernelINS0_14default_configENS1_29binary_search_config_selectorIyiEEZNS1_14transform_implILb0ES3_S5_N6thrust23THRUST_200600_302600_NS6detail15normal_iteratorINS8_10device_ptrIyEEEENSA_INSB_IiEEEEZNS1_13binary_searchIS3_S5_SD_SD_SF_NS1_16binary_search_opENS9_16wrapped_functionINS0_4lessIvEEbEEEE10hipError_tPvRmT1_T2_T3_mmT4_T5_P12ihipStream_tbEUlRKyE_EESM_SQ_SR_mSS_SV_bEUlT_E_NS1_11comp_targetILNS1_3genE3ELNS1_11target_archE908ELNS1_3gpuE7ELNS1_3repE0EEENS1_30default_config_static_selectorELNS0_4arch9wavefront6targetE0EEEvSP_: ; @_ZN7rocprim17ROCPRIM_400000_NS6detail17trampoline_kernelINS0_14default_configENS1_29binary_search_config_selectorIyiEEZNS1_14transform_implILb0ES3_S5_N6thrust23THRUST_200600_302600_NS6detail15normal_iteratorINS8_10device_ptrIyEEEENSA_INSB_IiEEEEZNS1_13binary_searchIS3_S5_SD_SD_SF_NS1_16binary_search_opENS9_16wrapped_functionINS0_4lessIvEEbEEEE10hipError_tPvRmT1_T2_T3_mmT4_T5_P12ihipStream_tbEUlRKyE_EESM_SQ_SR_mSS_SV_bEUlT_E_NS1_11comp_targetILNS1_3genE3ELNS1_11target_archE908ELNS1_3gpuE7ELNS1_3repE0EEENS1_30default_config_static_selectorELNS0_4arch9wavefront6targetE0EEEvSP_
; %bb.0:
	.section	.rodata,"a",@progbits
	.p2align	6, 0x0
	.amdhsa_kernel _ZN7rocprim17ROCPRIM_400000_NS6detail17trampoline_kernelINS0_14default_configENS1_29binary_search_config_selectorIyiEEZNS1_14transform_implILb0ES3_S5_N6thrust23THRUST_200600_302600_NS6detail15normal_iteratorINS8_10device_ptrIyEEEENSA_INSB_IiEEEEZNS1_13binary_searchIS3_S5_SD_SD_SF_NS1_16binary_search_opENS9_16wrapped_functionINS0_4lessIvEEbEEEE10hipError_tPvRmT1_T2_T3_mmT4_T5_P12ihipStream_tbEUlRKyE_EESM_SQ_SR_mSS_SV_bEUlT_E_NS1_11comp_targetILNS1_3genE3ELNS1_11target_archE908ELNS1_3gpuE7ELNS1_3repE0EEENS1_30default_config_static_selectorELNS0_4arch9wavefront6targetE0EEEvSP_
		.amdhsa_group_segment_fixed_size 0
		.amdhsa_private_segment_fixed_size 0
		.amdhsa_kernarg_size 56
		.amdhsa_user_sgpr_count 15
		.amdhsa_user_sgpr_dispatch_ptr 0
		.amdhsa_user_sgpr_queue_ptr 0
		.amdhsa_user_sgpr_kernarg_segment_ptr 1
		.amdhsa_user_sgpr_dispatch_id 0
		.amdhsa_user_sgpr_private_segment_size 0
		.amdhsa_wavefront_size32 1
		.amdhsa_uses_dynamic_stack 0
		.amdhsa_enable_private_segment 0
		.amdhsa_system_sgpr_workgroup_id_x 1
		.amdhsa_system_sgpr_workgroup_id_y 0
		.amdhsa_system_sgpr_workgroup_id_z 0
		.amdhsa_system_sgpr_workgroup_info 0
		.amdhsa_system_vgpr_workitem_id 0
		.amdhsa_next_free_vgpr 1
		.amdhsa_next_free_sgpr 1
		.amdhsa_reserve_vcc 0
		.amdhsa_float_round_mode_32 0
		.amdhsa_float_round_mode_16_64 0
		.amdhsa_float_denorm_mode_32 3
		.amdhsa_float_denorm_mode_16_64 3
		.amdhsa_dx10_clamp 1
		.amdhsa_ieee_mode 1
		.amdhsa_fp16_overflow 0
		.amdhsa_workgroup_processor_mode 1
		.amdhsa_memory_ordered 1
		.amdhsa_forward_progress 0
		.amdhsa_shared_vgpr_count 0
		.amdhsa_exception_fp_ieee_invalid_op 0
		.amdhsa_exception_fp_denorm_src 0
		.amdhsa_exception_fp_ieee_div_zero 0
		.amdhsa_exception_fp_ieee_overflow 0
		.amdhsa_exception_fp_ieee_underflow 0
		.amdhsa_exception_fp_ieee_inexact 0
		.amdhsa_exception_int_div_zero 0
	.end_amdhsa_kernel
	.section	.text._ZN7rocprim17ROCPRIM_400000_NS6detail17trampoline_kernelINS0_14default_configENS1_29binary_search_config_selectorIyiEEZNS1_14transform_implILb0ES3_S5_N6thrust23THRUST_200600_302600_NS6detail15normal_iteratorINS8_10device_ptrIyEEEENSA_INSB_IiEEEEZNS1_13binary_searchIS3_S5_SD_SD_SF_NS1_16binary_search_opENS9_16wrapped_functionINS0_4lessIvEEbEEEE10hipError_tPvRmT1_T2_T3_mmT4_T5_P12ihipStream_tbEUlRKyE_EESM_SQ_SR_mSS_SV_bEUlT_E_NS1_11comp_targetILNS1_3genE3ELNS1_11target_archE908ELNS1_3gpuE7ELNS1_3repE0EEENS1_30default_config_static_selectorELNS0_4arch9wavefront6targetE0EEEvSP_,"axG",@progbits,_ZN7rocprim17ROCPRIM_400000_NS6detail17trampoline_kernelINS0_14default_configENS1_29binary_search_config_selectorIyiEEZNS1_14transform_implILb0ES3_S5_N6thrust23THRUST_200600_302600_NS6detail15normal_iteratorINS8_10device_ptrIyEEEENSA_INSB_IiEEEEZNS1_13binary_searchIS3_S5_SD_SD_SF_NS1_16binary_search_opENS9_16wrapped_functionINS0_4lessIvEEbEEEE10hipError_tPvRmT1_T2_T3_mmT4_T5_P12ihipStream_tbEUlRKyE_EESM_SQ_SR_mSS_SV_bEUlT_E_NS1_11comp_targetILNS1_3genE3ELNS1_11target_archE908ELNS1_3gpuE7ELNS1_3repE0EEENS1_30default_config_static_selectorELNS0_4arch9wavefront6targetE0EEEvSP_,comdat
.Lfunc_end450:
	.size	_ZN7rocprim17ROCPRIM_400000_NS6detail17trampoline_kernelINS0_14default_configENS1_29binary_search_config_selectorIyiEEZNS1_14transform_implILb0ES3_S5_N6thrust23THRUST_200600_302600_NS6detail15normal_iteratorINS8_10device_ptrIyEEEENSA_INSB_IiEEEEZNS1_13binary_searchIS3_S5_SD_SD_SF_NS1_16binary_search_opENS9_16wrapped_functionINS0_4lessIvEEbEEEE10hipError_tPvRmT1_T2_T3_mmT4_T5_P12ihipStream_tbEUlRKyE_EESM_SQ_SR_mSS_SV_bEUlT_E_NS1_11comp_targetILNS1_3genE3ELNS1_11target_archE908ELNS1_3gpuE7ELNS1_3repE0EEENS1_30default_config_static_selectorELNS0_4arch9wavefront6targetE0EEEvSP_, .Lfunc_end450-_ZN7rocprim17ROCPRIM_400000_NS6detail17trampoline_kernelINS0_14default_configENS1_29binary_search_config_selectorIyiEEZNS1_14transform_implILb0ES3_S5_N6thrust23THRUST_200600_302600_NS6detail15normal_iteratorINS8_10device_ptrIyEEEENSA_INSB_IiEEEEZNS1_13binary_searchIS3_S5_SD_SD_SF_NS1_16binary_search_opENS9_16wrapped_functionINS0_4lessIvEEbEEEE10hipError_tPvRmT1_T2_T3_mmT4_T5_P12ihipStream_tbEUlRKyE_EESM_SQ_SR_mSS_SV_bEUlT_E_NS1_11comp_targetILNS1_3genE3ELNS1_11target_archE908ELNS1_3gpuE7ELNS1_3repE0EEENS1_30default_config_static_selectorELNS0_4arch9wavefront6targetE0EEEvSP_
                                        ; -- End function
	.section	.AMDGPU.csdata,"",@progbits
; Kernel info:
; codeLenInByte = 0
; NumSgprs: 0
; NumVgprs: 0
; ScratchSize: 0
; MemoryBound: 0
; FloatMode: 240
; IeeeMode: 1
; LDSByteSize: 0 bytes/workgroup (compile time only)
; SGPRBlocks: 0
; VGPRBlocks: 0
; NumSGPRsForWavesPerEU: 1
; NumVGPRsForWavesPerEU: 1
; Occupancy: 16
; WaveLimiterHint : 0
; COMPUTE_PGM_RSRC2:SCRATCH_EN: 0
; COMPUTE_PGM_RSRC2:USER_SGPR: 15
; COMPUTE_PGM_RSRC2:TRAP_HANDLER: 0
; COMPUTE_PGM_RSRC2:TGID_X_EN: 1
; COMPUTE_PGM_RSRC2:TGID_Y_EN: 0
; COMPUTE_PGM_RSRC2:TGID_Z_EN: 0
; COMPUTE_PGM_RSRC2:TIDIG_COMP_CNT: 0
	.section	.text._ZN7rocprim17ROCPRIM_400000_NS6detail17trampoline_kernelINS0_14default_configENS1_29binary_search_config_selectorIyiEEZNS1_14transform_implILb0ES3_S5_N6thrust23THRUST_200600_302600_NS6detail15normal_iteratorINS8_10device_ptrIyEEEENSA_INSB_IiEEEEZNS1_13binary_searchIS3_S5_SD_SD_SF_NS1_16binary_search_opENS9_16wrapped_functionINS0_4lessIvEEbEEEE10hipError_tPvRmT1_T2_T3_mmT4_T5_P12ihipStream_tbEUlRKyE_EESM_SQ_SR_mSS_SV_bEUlT_E_NS1_11comp_targetILNS1_3genE2ELNS1_11target_archE906ELNS1_3gpuE6ELNS1_3repE0EEENS1_30default_config_static_selectorELNS0_4arch9wavefront6targetE0EEEvSP_,"axG",@progbits,_ZN7rocprim17ROCPRIM_400000_NS6detail17trampoline_kernelINS0_14default_configENS1_29binary_search_config_selectorIyiEEZNS1_14transform_implILb0ES3_S5_N6thrust23THRUST_200600_302600_NS6detail15normal_iteratorINS8_10device_ptrIyEEEENSA_INSB_IiEEEEZNS1_13binary_searchIS3_S5_SD_SD_SF_NS1_16binary_search_opENS9_16wrapped_functionINS0_4lessIvEEbEEEE10hipError_tPvRmT1_T2_T3_mmT4_T5_P12ihipStream_tbEUlRKyE_EESM_SQ_SR_mSS_SV_bEUlT_E_NS1_11comp_targetILNS1_3genE2ELNS1_11target_archE906ELNS1_3gpuE6ELNS1_3repE0EEENS1_30default_config_static_selectorELNS0_4arch9wavefront6targetE0EEEvSP_,comdat
	.protected	_ZN7rocprim17ROCPRIM_400000_NS6detail17trampoline_kernelINS0_14default_configENS1_29binary_search_config_selectorIyiEEZNS1_14transform_implILb0ES3_S5_N6thrust23THRUST_200600_302600_NS6detail15normal_iteratorINS8_10device_ptrIyEEEENSA_INSB_IiEEEEZNS1_13binary_searchIS3_S5_SD_SD_SF_NS1_16binary_search_opENS9_16wrapped_functionINS0_4lessIvEEbEEEE10hipError_tPvRmT1_T2_T3_mmT4_T5_P12ihipStream_tbEUlRKyE_EESM_SQ_SR_mSS_SV_bEUlT_E_NS1_11comp_targetILNS1_3genE2ELNS1_11target_archE906ELNS1_3gpuE6ELNS1_3repE0EEENS1_30default_config_static_selectorELNS0_4arch9wavefront6targetE0EEEvSP_ ; -- Begin function _ZN7rocprim17ROCPRIM_400000_NS6detail17trampoline_kernelINS0_14default_configENS1_29binary_search_config_selectorIyiEEZNS1_14transform_implILb0ES3_S5_N6thrust23THRUST_200600_302600_NS6detail15normal_iteratorINS8_10device_ptrIyEEEENSA_INSB_IiEEEEZNS1_13binary_searchIS3_S5_SD_SD_SF_NS1_16binary_search_opENS9_16wrapped_functionINS0_4lessIvEEbEEEE10hipError_tPvRmT1_T2_T3_mmT4_T5_P12ihipStream_tbEUlRKyE_EESM_SQ_SR_mSS_SV_bEUlT_E_NS1_11comp_targetILNS1_3genE2ELNS1_11target_archE906ELNS1_3gpuE6ELNS1_3repE0EEENS1_30default_config_static_selectorELNS0_4arch9wavefront6targetE0EEEvSP_
	.globl	_ZN7rocprim17ROCPRIM_400000_NS6detail17trampoline_kernelINS0_14default_configENS1_29binary_search_config_selectorIyiEEZNS1_14transform_implILb0ES3_S5_N6thrust23THRUST_200600_302600_NS6detail15normal_iteratorINS8_10device_ptrIyEEEENSA_INSB_IiEEEEZNS1_13binary_searchIS3_S5_SD_SD_SF_NS1_16binary_search_opENS9_16wrapped_functionINS0_4lessIvEEbEEEE10hipError_tPvRmT1_T2_T3_mmT4_T5_P12ihipStream_tbEUlRKyE_EESM_SQ_SR_mSS_SV_bEUlT_E_NS1_11comp_targetILNS1_3genE2ELNS1_11target_archE906ELNS1_3gpuE6ELNS1_3repE0EEENS1_30default_config_static_selectorELNS0_4arch9wavefront6targetE0EEEvSP_
	.p2align	8
	.type	_ZN7rocprim17ROCPRIM_400000_NS6detail17trampoline_kernelINS0_14default_configENS1_29binary_search_config_selectorIyiEEZNS1_14transform_implILb0ES3_S5_N6thrust23THRUST_200600_302600_NS6detail15normal_iteratorINS8_10device_ptrIyEEEENSA_INSB_IiEEEEZNS1_13binary_searchIS3_S5_SD_SD_SF_NS1_16binary_search_opENS9_16wrapped_functionINS0_4lessIvEEbEEEE10hipError_tPvRmT1_T2_T3_mmT4_T5_P12ihipStream_tbEUlRKyE_EESM_SQ_SR_mSS_SV_bEUlT_E_NS1_11comp_targetILNS1_3genE2ELNS1_11target_archE906ELNS1_3gpuE6ELNS1_3repE0EEENS1_30default_config_static_selectorELNS0_4arch9wavefront6targetE0EEEvSP_,@function
_ZN7rocprim17ROCPRIM_400000_NS6detail17trampoline_kernelINS0_14default_configENS1_29binary_search_config_selectorIyiEEZNS1_14transform_implILb0ES3_S5_N6thrust23THRUST_200600_302600_NS6detail15normal_iteratorINS8_10device_ptrIyEEEENSA_INSB_IiEEEEZNS1_13binary_searchIS3_S5_SD_SD_SF_NS1_16binary_search_opENS9_16wrapped_functionINS0_4lessIvEEbEEEE10hipError_tPvRmT1_T2_T3_mmT4_T5_P12ihipStream_tbEUlRKyE_EESM_SQ_SR_mSS_SV_bEUlT_E_NS1_11comp_targetILNS1_3genE2ELNS1_11target_archE906ELNS1_3gpuE6ELNS1_3repE0EEENS1_30default_config_static_selectorELNS0_4arch9wavefront6targetE0EEEvSP_: ; @_ZN7rocprim17ROCPRIM_400000_NS6detail17trampoline_kernelINS0_14default_configENS1_29binary_search_config_selectorIyiEEZNS1_14transform_implILb0ES3_S5_N6thrust23THRUST_200600_302600_NS6detail15normal_iteratorINS8_10device_ptrIyEEEENSA_INSB_IiEEEEZNS1_13binary_searchIS3_S5_SD_SD_SF_NS1_16binary_search_opENS9_16wrapped_functionINS0_4lessIvEEbEEEE10hipError_tPvRmT1_T2_T3_mmT4_T5_P12ihipStream_tbEUlRKyE_EESM_SQ_SR_mSS_SV_bEUlT_E_NS1_11comp_targetILNS1_3genE2ELNS1_11target_archE906ELNS1_3gpuE6ELNS1_3repE0EEENS1_30default_config_static_selectorELNS0_4arch9wavefront6targetE0EEEvSP_
; %bb.0:
	.section	.rodata,"a",@progbits
	.p2align	6, 0x0
	.amdhsa_kernel _ZN7rocprim17ROCPRIM_400000_NS6detail17trampoline_kernelINS0_14default_configENS1_29binary_search_config_selectorIyiEEZNS1_14transform_implILb0ES3_S5_N6thrust23THRUST_200600_302600_NS6detail15normal_iteratorINS8_10device_ptrIyEEEENSA_INSB_IiEEEEZNS1_13binary_searchIS3_S5_SD_SD_SF_NS1_16binary_search_opENS9_16wrapped_functionINS0_4lessIvEEbEEEE10hipError_tPvRmT1_T2_T3_mmT4_T5_P12ihipStream_tbEUlRKyE_EESM_SQ_SR_mSS_SV_bEUlT_E_NS1_11comp_targetILNS1_3genE2ELNS1_11target_archE906ELNS1_3gpuE6ELNS1_3repE0EEENS1_30default_config_static_selectorELNS0_4arch9wavefront6targetE0EEEvSP_
		.amdhsa_group_segment_fixed_size 0
		.amdhsa_private_segment_fixed_size 0
		.amdhsa_kernarg_size 56
		.amdhsa_user_sgpr_count 15
		.amdhsa_user_sgpr_dispatch_ptr 0
		.amdhsa_user_sgpr_queue_ptr 0
		.amdhsa_user_sgpr_kernarg_segment_ptr 1
		.amdhsa_user_sgpr_dispatch_id 0
		.amdhsa_user_sgpr_private_segment_size 0
		.amdhsa_wavefront_size32 1
		.amdhsa_uses_dynamic_stack 0
		.amdhsa_enable_private_segment 0
		.amdhsa_system_sgpr_workgroup_id_x 1
		.amdhsa_system_sgpr_workgroup_id_y 0
		.amdhsa_system_sgpr_workgroup_id_z 0
		.amdhsa_system_sgpr_workgroup_info 0
		.amdhsa_system_vgpr_workitem_id 0
		.amdhsa_next_free_vgpr 1
		.amdhsa_next_free_sgpr 1
		.amdhsa_reserve_vcc 0
		.amdhsa_float_round_mode_32 0
		.amdhsa_float_round_mode_16_64 0
		.amdhsa_float_denorm_mode_32 3
		.amdhsa_float_denorm_mode_16_64 3
		.amdhsa_dx10_clamp 1
		.amdhsa_ieee_mode 1
		.amdhsa_fp16_overflow 0
		.amdhsa_workgroup_processor_mode 1
		.amdhsa_memory_ordered 1
		.amdhsa_forward_progress 0
		.amdhsa_shared_vgpr_count 0
		.amdhsa_exception_fp_ieee_invalid_op 0
		.amdhsa_exception_fp_denorm_src 0
		.amdhsa_exception_fp_ieee_div_zero 0
		.amdhsa_exception_fp_ieee_overflow 0
		.amdhsa_exception_fp_ieee_underflow 0
		.amdhsa_exception_fp_ieee_inexact 0
		.amdhsa_exception_int_div_zero 0
	.end_amdhsa_kernel
	.section	.text._ZN7rocprim17ROCPRIM_400000_NS6detail17trampoline_kernelINS0_14default_configENS1_29binary_search_config_selectorIyiEEZNS1_14transform_implILb0ES3_S5_N6thrust23THRUST_200600_302600_NS6detail15normal_iteratorINS8_10device_ptrIyEEEENSA_INSB_IiEEEEZNS1_13binary_searchIS3_S5_SD_SD_SF_NS1_16binary_search_opENS9_16wrapped_functionINS0_4lessIvEEbEEEE10hipError_tPvRmT1_T2_T3_mmT4_T5_P12ihipStream_tbEUlRKyE_EESM_SQ_SR_mSS_SV_bEUlT_E_NS1_11comp_targetILNS1_3genE2ELNS1_11target_archE906ELNS1_3gpuE6ELNS1_3repE0EEENS1_30default_config_static_selectorELNS0_4arch9wavefront6targetE0EEEvSP_,"axG",@progbits,_ZN7rocprim17ROCPRIM_400000_NS6detail17trampoline_kernelINS0_14default_configENS1_29binary_search_config_selectorIyiEEZNS1_14transform_implILb0ES3_S5_N6thrust23THRUST_200600_302600_NS6detail15normal_iteratorINS8_10device_ptrIyEEEENSA_INSB_IiEEEEZNS1_13binary_searchIS3_S5_SD_SD_SF_NS1_16binary_search_opENS9_16wrapped_functionINS0_4lessIvEEbEEEE10hipError_tPvRmT1_T2_T3_mmT4_T5_P12ihipStream_tbEUlRKyE_EESM_SQ_SR_mSS_SV_bEUlT_E_NS1_11comp_targetILNS1_3genE2ELNS1_11target_archE906ELNS1_3gpuE6ELNS1_3repE0EEENS1_30default_config_static_selectorELNS0_4arch9wavefront6targetE0EEEvSP_,comdat
.Lfunc_end451:
	.size	_ZN7rocprim17ROCPRIM_400000_NS6detail17trampoline_kernelINS0_14default_configENS1_29binary_search_config_selectorIyiEEZNS1_14transform_implILb0ES3_S5_N6thrust23THRUST_200600_302600_NS6detail15normal_iteratorINS8_10device_ptrIyEEEENSA_INSB_IiEEEEZNS1_13binary_searchIS3_S5_SD_SD_SF_NS1_16binary_search_opENS9_16wrapped_functionINS0_4lessIvEEbEEEE10hipError_tPvRmT1_T2_T3_mmT4_T5_P12ihipStream_tbEUlRKyE_EESM_SQ_SR_mSS_SV_bEUlT_E_NS1_11comp_targetILNS1_3genE2ELNS1_11target_archE906ELNS1_3gpuE6ELNS1_3repE0EEENS1_30default_config_static_selectorELNS0_4arch9wavefront6targetE0EEEvSP_, .Lfunc_end451-_ZN7rocprim17ROCPRIM_400000_NS6detail17trampoline_kernelINS0_14default_configENS1_29binary_search_config_selectorIyiEEZNS1_14transform_implILb0ES3_S5_N6thrust23THRUST_200600_302600_NS6detail15normal_iteratorINS8_10device_ptrIyEEEENSA_INSB_IiEEEEZNS1_13binary_searchIS3_S5_SD_SD_SF_NS1_16binary_search_opENS9_16wrapped_functionINS0_4lessIvEEbEEEE10hipError_tPvRmT1_T2_T3_mmT4_T5_P12ihipStream_tbEUlRKyE_EESM_SQ_SR_mSS_SV_bEUlT_E_NS1_11comp_targetILNS1_3genE2ELNS1_11target_archE906ELNS1_3gpuE6ELNS1_3repE0EEENS1_30default_config_static_selectorELNS0_4arch9wavefront6targetE0EEEvSP_
                                        ; -- End function
	.section	.AMDGPU.csdata,"",@progbits
; Kernel info:
; codeLenInByte = 0
; NumSgprs: 0
; NumVgprs: 0
; ScratchSize: 0
; MemoryBound: 0
; FloatMode: 240
; IeeeMode: 1
; LDSByteSize: 0 bytes/workgroup (compile time only)
; SGPRBlocks: 0
; VGPRBlocks: 0
; NumSGPRsForWavesPerEU: 1
; NumVGPRsForWavesPerEU: 1
; Occupancy: 16
; WaveLimiterHint : 0
; COMPUTE_PGM_RSRC2:SCRATCH_EN: 0
; COMPUTE_PGM_RSRC2:USER_SGPR: 15
; COMPUTE_PGM_RSRC2:TRAP_HANDLER: 0
; COMPUTE_PGM_RSRC2:TGID_X_EN: 1
; COMPUTE_PGM_RSRC2:TGID_Y_EN: 0
; COMPUTE_PGM_RSRC2:TGID_Z_EN: 0
; COMPUTE_PGM_RSRC2:TIDIG_COMP_CNT: 0
	.section	.text._ZN7rocprim17ROCPRIM_400000_NS6detail17trampoline_kernelINS0_14default_configENS1_29binary_search_config_selectorIyiEEZNS1_14transform_implILb0ES3_S5_N6thrust23THRUST_200600_302600_NS6detail15normal_iteratorINS8_10device_ptrIyEEEENSA_INSB_IiEEEEZNS1_13binary_searchIS3_S5_SD_SD_SF_NS1_16binary_search_opENS9_16wrapped_functionINS0_4lessIvEEbEEEE10hipError_tPvRmT1_T2_T3_mmT4_T5_P12ihipStream_tbEUlRKyE_EESM_SQ_SR_mSS_SV_bEUlT_E_NS1_11comp_targetILNS1_3genE10ELNS1_11target_archE1201ELNS1_3gpuE5ELNS1_3repE0EEENS1_30default_config_static_selectorELNS0_4arch9wavefront6targetE0EEEvSP_,"axG",@progbits,_ZN7rocprim17ROCPRIM_400000_NS6detail17trampoline_kernelINS0_14default_configENS1_29binary_search_config_selectorIyiEEZNS1_14transform_implILb0ES3_S5_N6thrust23THRUST_200600_302600_NS6detail15normal_iteratorINS8_10device_ptrIyEEEENSA_INSB_IiEEEEZNS1_13binary_searchIS3_S5_SD_SD_SF_NS1_16binary_search_opENS9_16wrapped_functionINS0_4lessIvEEbEEEE10hipError_tPvRmT1_T2_T3_mmT4_T5_P12ihipStream_tbEUlRKyE_EESM_SQ_SR_mSS_SV_bEUlT_E_NS1_11comp_targetILNS1_3genE10ELNS1_11target_archE1201ELNS1_3gpuE5ELNS1_3repE0EEENS1_30default_config_static_selectorELNS0_4arch9wavefront6targetE0EEEvSP_,comdat
	.protected	_ZN7rocprim17ROCPRIM_400000_NS6detail17trampoline_kernelINS0_14default_configENS1_29binary_search_config_selectorIyiEEZNS1_14transform_implILb0ES3_S5_N6thrust23THRUST_200600_302600_NS6detail15normal_iteratorINS8_10device_ptrIyEEEENSA_INSB_IiEEEEZNS1_13binary_searchIS3_S5_SD_SD_SF_NS1_16binary_search_opENS9_16wrapped_functionINS0_4lessIvEEbEEEE10hipError_tPvRmT1_T2_T3_mmT4_T5_P12ihipStream_tbEUlRKyE_EESM_SQ_SR_mSS_SV_bEUlT_E_NS1_11comp_targetILNS1_3genE10ELNS1_11target_archE1201ELNS1_3gpuE5ELNS1_3repE0EEENS1_30default_config_static_selectorELNS0_4arch9wavefront6targetE0EEEvSP_ ; -- Begin function _ZN7rocprim17ROCPRIM_400000_NS6detail17trampoline_kernelINS0_14default_configENS1_29binary_search_config_selectorIyiEEZNS1_14transform_implILb0ES3_S5_N6thrust23THRUST_200600_302600_NS6detail15normal_iteratorINS8_10device_ptrIyEEEENSA_INSB_IiEEEEZNS1_13binary_searchIS3_S5_SD_SD_SF_NS1_16binary_search_opENS9_16wrapped_functionINS0_4lessIvEEbEEEE10hipError_tPvRmT1_T2_T3_mmT4_T5_P12ihipStream_tbEUlRKyE_EESM_SQ_SR_mSS_SV_bEUlT_E_NS1_11comp_targetILNS1_3genE10ELNS1_11target_archE1201ELNS1_3gpuE5ELNS1_3repE0EEENS1_30default_config_static_selectorELNS0_4arch9wavefront6targetE0EEEvSP_
	.globl	_ZN7rocprim17ROCPRIM_400000_NS6detail17trampoline_kernelINS0_14default_configENS1_29binary_search_config_selectorIyiEEZNS1_14transform_implILb0ES3_S5_N6thrust23THRUST_200600_302600_NS6detail15normal_iteratorINS8_10device_ptrIyEEEENSA_INSB_IiEEEEZNS1_13binary_searchIS3_S5_SD_SD_SF_NS1_16binary_search_opENS9_16wrapped_functionINS0_4lessIvEEbEEEE10hipError_tPvRmT1_T2_T3_mmT4_T5_P12ihipStream_tbEUlRKyE_EESM_SQ_SR_mSS_SV_bEUlT_E_NS1_11comp_targetILNS1_3genE10ELNS1_11target_archE1201ELNS1_3gpuE5ELNS1_3repE0EEENS1_30default_config_static_selectorELNS0_4arch9wavefront6targetE0EEEvSP_
	.p2align	8
	.type	_ZN7rocprim17ROCPRIM_400000_NS6detail17trampoline_kernelINS0_14default_configENS1_29binary_search_config_selectorIyiEEZNS1_14transform_implILb0ES3_S5_N6thrust23THRUST_200600_302600_NS6detail15normal_iteratorINS8_10device_ptrIyEEEENSA_INSB_IiEEEEZNS1_13binary_searchIS3_S5_SD_SD_SF_NS1_16binary_search_opENS9_16wrapped_functionINS0_4lessIvEEbEEEE10hipError_tPvRmT1_T2_T3_mmT4_T5_P12ihipStream_tbEUlRKyE_EESM_SQ_SR_mSS_SV_bEUlT_E_NS1_11comp_targetILNS1_3genE10ELNS1_11target_archE1201ELNS1_3gpuE5ELNS1_3repE0EEENS1_30default_config_static_selectorELNS0_4arch9wavefront6targetE0EEEvSP_,@function
_ZN7rocprim17ROCPRIM_400000_NS6detail17trampoline_kernelINS0_14default_configENS1_29binary_search_config_selectorIyiEEZNS1_14transform_implILb0ES3_S5_N6thrust23THRUST_200600_302600_NS6detail15normal_iteratorINS8_10device_ptrIyEEEENSA_INSB_IiEEEEZNS1_13binary_searchIS3_S5_SD_SD_SF_NS1_16binary_search_opENS9_16wrapped_functionINS0_4lessIvEEbEEEE10hipError_tPvRmT1_T2_T3_mmT4_T5_P12ihipStream_tbEUlRKyE_EESM_SQ_SR_mSS_SV_bEUlT_E_NS1_11comp_targetILNS1_3genE10ELNS1_11target_archE1201ELNS1_3gpuE5ELNS1_3repE0EEENS1_30default_config_static_selectorELNS0_4arch9wavefront6targetE0EEEvSP_: ; @_ZN7rocprim17ROCPRIM_400000_NS6detail17trampoline_kernelINS0_14default_configENS1_29binary_search_config_selectorIyiEEZNS1_14transform_implILb0ES3_S5_N6thrust23THRUST_200600_302600_NS6detail15normal_iteratorINS8_10device_ptrIyEEEENSA_INSB_IiEEEEZNS1_13binary_searchIS3_S5_SD_SD_SF_NS1_16binary_search_opENS9_16wrapped_functionINS0_4lessIvEEbEEEE10hipError_tPvRmT1_T2_T3_mmT4_T5_P12ihipStream_tbEUlRKyE_EESM_SQ_SR_mSS_SV_bEUlT_E_NS1_11comp_targetILNS1_3genE10ELNS1_11target_archE1201ELNS1_3gpuE5ELNS1_3repE0EEENS1_30default_config_static_selectorELNS0_4arch9wavefront6targetE0EEEvSP_
; %bb.0:
	.section	.rodata,"a",@progbits
	.p2align	6, 0x0
	.amdhsa_kernel _ZN7rocprim17ROCPRIM_400000_NS6detail17trampoline_kernelINS0_14default_configENS1_29binary_search_config_selectorIyiEEZNS1_14transform_implILb0ES3_S5_N6thrust23THRUST_200600_302600_NS6detail15normal_iteratorINS8_10device_ptrIyEEEENSA_INSB_IiEEEEZNS1_13binary_searchIS3_S5_SD_SD_SF_NS1_16binary_search_opENS9_16wrapped_functionINS0_4lessIvEEbEEEE10hipError_tPvRmT1_T2_T3_mmT4_T5_P12ihipStream_tbEUlRKyE_EESM_SQ_SR_mSS_SV_bEUlT_E_NS1_11comp_targetILNS1_3genE10ELNS1_11target_archE1201ELNS1_3gpuE5ELNS1_3repE0EEENS1_30default_config_static_selectorELNS0_4arch9wavefront6targetE0EEEvSP_
		.amdhsa_group_segment_fixed_size 0
		.amdhsa_private_segment_fixed_size 0
		.amdhsa_kernarg_size 56
		.amdhsa_user_sgpr_count 15
		.amdhsa_user_sgpr_dispatch_ptr 0
		.amdhsa_user_sgpr_queue_ptr 0
		.amdhsa_user_sgpr_kernarg_segment_ptr 1
		.amdhsa_user_sgpr_dispatch_id 0
		.amdhsa_user_sgpr_private_segment_size 0
		.amdhsa_wavefront_size32 1
		.amdhsa_uses_dynamic_stack 0
		.amdhsa_enable_private_segment 0
		.amdhsa_system_sgpr_workgroup_id_x 1
		.amdhsa_system_sgpr_workgroup_id_y 0
		.amdhsa_system_sgpr_workgroup_id_z 0
		.amdhsa_system_sgpr_workgroup_info 0
		.amdhsa_system_vgpr_workitem_id 0
		.amdhsa_next_free_vgpr 1
		.amdhsa_next_free_sgpr 1
		.amdhsa_reserve_vcc 0
		.amdhsa_float_round_mode_32 0
		.amdhsa_float_round_mode_16_64 0
		.amdhsa_float_denorm_mode_32 3
		.amdhsa_float_denorm_mode_16_64 3
		.amdhsa_dx10_clamp 1
		.amdhsa_ieee_mode 1
		.amdhsa_fp16_overflow 0
		.amdhsa_workgroup_processor_mode 1
		.amdhsa_memory_ordered 1
		.amdhsa_forward_progress 0
		.amdhsa_shared_vgpr_count 0
		.amdhsa_exception_fp_ieee_invalid_op 0
		.amdhsa_exception_fp_denorm_src 0
		.amdhsa_exception_fp_ieee_div_zero 0
		.amdhsa_exception_fp_ieee_overflow 0
		.amdhsa_exception_fp_ieee_underflow 0
		.amdhsa_exception_fp_ieee_inexact 0
		.amdhsa_exception_int_div_zero 0
	.end_amdhsa_kernel
	.section	.text._ZN7rocprim17ROCPRIM_400000_NS6detail17trampoline_kernelINS0_14default_configENS1_29binary_search_config_selectorIyiEEZNS1_14transform_implILb0ES3_S5_N6thrust23THRUST_200600_302600_NS6detail15normal_iteratorINS8_10device_ptrIyEEEENSA_INSB_IiEEEEZNS1_13binary_searchIS3_S5_SD_SD_SF_NS1_16binary_search_opENS9_16wrapped_functionINS0_4lessIvEEbEEEE10hipError_tPvRmT1_T2_T3_mmT4_T5_P12ihipStream_tbEUlRKyE_EESM_SQ_SR_mSS_SV_bEUlT_E_NS1_11comp_targetILNS1_3genE10ELNS1_11target_archE1201ELNS1_3gpuE5ELNS1_3repE0EEENS1_30default_config_static_selectorELNS0_4arch9wavefront6targetE0EEEvSP_,"axG",@progbits,_ZN7rocprim17ROCPRIM_400000_NS6detail17trampoline_kernelINS0_14default_configENS1_29binary_search_config_selectorIyiEEZNS1_14transform_implILb0ES3_S5_N6thrust23THRUST_200600_302600_NS6detail15normal_iteratorINS8_10device_ptrIyEEEENSA_INSB_IiEEEEZNS1_13binary_searchIS3_S5_SD_SD_SF_NS1_16binary_search_opENS9_16wrapped_functionINS0_4lessIvEEbEEEE10hipError_tPvRmT1_T2_T3_mmT4_T5_P12ihipStream_tbEUlRKyE_EESM_SQ_SR_mSS_SV_bEUlT_E_NS1_11comp_targetILNS1_3genE10ELNS1_11target_archE1201ELNS1_3gpuE5ELNS1_3repE0EEENS1_30default_config_static_selectorELNS0_4arch9wavefront6targetE0EEEvSP_,comdat
.Lfunc_end452:
	.size	_ZN7rocprim17ROCPRIM_400000_NS6detail17trampoline_kernelINS0_14default_configENS1_29binary_search_config_selectorIyiEEZNS1_14transform_implILb0ES3_S5_N6thrust23THRUST_200600_302600_NS6detail15normal_iteratorINS8_10device_ptrIyEEEENSA_INSB_IiEEEEZNS1_13binary_searchIS3_S5_SD_SD_SF_NS1_16binary_search_opENS9_16wrapped_functionINS0_4lessIvEEbEEEE10hipError_tPvRmT1_T2_T3_mmT4_T5_P12ihipStream_tbEUlRKyE_EESM_SQ_SR_mSS_SV_bEUlT_E_NS1_11comp_targetILNS1_3genE10ELNS1_11target_archE1201ELNS1_3gpuE5ELNS1_3repE0EEENS1_30default_config_static_selectorELNS0_4arch9wavefront6targetE0EEEvSP_, .Lfunc_end452-_ZN7rocprim17ROCPRIM_400000_NS6detail17trampoline_kernelINS0_14default_configENS1_29binary_search_config_selectorIyiEEZNS1_14transform_implILb0ES3_S5_N6thrust23THRUST_200600_302600_NS6detail15normal_iteratorINS8_10device_ptrIyEEEENSA_INSB_IiEEEEZNS1_13binary_searchIS3_S5_SD_SD_SF_NS1_16binary_search_opENS9_16wrapped_functionINS0_4lessIvEEbEEEE10hipError_tPvRmT1_T2_T3_mmT4_T5_P12ihipStream_tbEUlRKyE_EESM_SQ_SR_mSS_SV_bEUlT_E_NS1_11comp_targetILNS1_3genE10ELNS1_11target_archE1201ELNS1_3gpuE5ELNS1_3repE0EEENS1_30default_config_static_selectorELNS0_4arch9wavefront6targetE0EEEvSP_
                                        ; -- End function
	.section	.AMDGPU.csdata,"",@progbits
; Kernel info:
; codeLenInByte = 0
; NumSgprs: 0
; NumVgprs: 0
; ScratchSize: 0
; MemoryBound: 0
; FloatMode: 240
; IeeeMode: 1
; LDSByteSize: 0 bytes/workgroup (compile time only)
; SGPRBlocks: 0
; VGPRBlocks: 0
; NumSGPRsForWavesPerEU: 1
; NumVGPRsForWavesPerEU: 1
; Occupancy: 16
; WaveLimiterHint : 0
; COMPUTE_PGM_RSRC2:SCRATCH_EN: 0
; COMPUTE_PGM_RSRC2:USER_SGPR: 15
; COMPUTE_PGM_RSRC2:TRAP_HANDLER: 0
; COMPUTE_PGM_RSRC2:TGID_X_EN: 1
; COMPUTE_PGM_RSRC2:TGID_Y_EN: 0
; COMPUTE_PGM_RSRC2:TGID_Z_EN: 0
; COMPUTE_PGM_RSRC2:TIDIG_COMP_CNT: 0
	.section	.text._ZN7rocprim17ROCPRIM_400000_NS6detail17trampoline_kernelINS0_14default_configENS1_29binary_search_config_selectorIyiEEZNS1_14transform_implILb0ES3_S5_N6thrust23THRUST_200600_302600_NS6detail15normal_iteratorINS8_10device_ptrIyEEEENSA_INSB_IiEEEEZNS1_13binary_searchIS3_S5_SD_SD_SF_NS1_16binary_search_opENS9_16wrapped_functionINS0_4lessIvEEbEEEE10hipError_tPvRmT1_T2_T3_mmT4_T5_P12ihipStream_tbEUlRKyE_EESM_SQ_SR_mSS_SV_bEUlT_E_NS1_11comp_targetILNS1_3genE10ELNS1_11target_archE1200ELNS1_3gpuE4ELNS1_3repE0EEENS1_30default_config_static_selectorELNS0_4arch9wavefront6targetE0EEEvSP_,"axG",@progbits,_ZN7rocprim17ROCPRIM_400000_NS6detail17trampoline_kernelINS0_14default_configENS1_29binary_search_config_selectorIyiEEZNS1_14transform_implILb0ES3_S5_N6thrust23THRUST_200600_302600_NS6detail15normal_iteratorINS8_10device_ptrIyEEEENSA_INSB_IiEEEEZNS1_13binary_searchIS3_S5_SD_SD_SF_NS1_16binary_search_opENS9_16wrapped_functionINS0_4lessIvEEbEEEE10hipError_tPvRmT1_T2_T3_mmT4_T5_P12ihipStream_tbEUlRKyE_EESM_SQ_SR_mSS_SV_bEUlT_E_NS1_11comp_targetILNS1_3genE10ELNS1_11target_archE1200ELNS1_3gpuE4ELNS1_3repE0EEENS1_30default_config_static_selectorELNS0_4arch9wavefront6targetE0EEEvSP_,comdat
	.protected	_ZN7rocprim17ROCPRIM_400000_NS6detail17trampoline_kernelINS0_14default_configENS1_29binary_search_config_selectorIyiEEZNS1_14transform_implILb0ES3_S5_N6thrust23THRUST_200600_302600_NS6detail15normal_iteratorINS8_10device_ptrIyEEEENSA_INSB_IiEEEEZNS1_13binary_searchIS3_S5_SD_SD_SF_NS1_16binary_search_opENS9_16wrapped_functionINS0_4lessIvEEbEEEE10hipError_tPvRmT1_T2_T3_mmT4_T5_P12ihipStream_tbEUlRKyE_EESM_SQ_SR_mSS_SV_bEUlT_E_NS1_11comp_targetILNS1_3genE10ELNS1_11target_archE1200ELNS1_3gpuE4ELNS1_3repE0EEENS1_30default_config_static_selectorELNS0_4arch9wavefront6targetE0EEEvSP_ ; -- Begin function _ZN7rocprim17ROCPRIM_400000_NS6detail17trampoline_kernelINS0_14default_configENS1_29binary_search_config_selectorIyiEEZNS1_14transform_implILb0ES3_S5_N6thrust23THRUST_200600_302600_NS6detail15normal_iteratorINS8_10device_ptrIyEEEENSA_INSB_IiEEEEZNS1_13binary_searchIS3_S5_SD_SD_SF_NS1_16binary_search_opENS9_16wrapped_functionINS0_4lessIvEEbEEEE10hipError_tPvRmT1_T2_T3_mmT4_T5_P12ihipStream_tbEUlRKyE_EESM_SQ_SR_mSS_SV_bEUlT_E_NS1_11comp_targetILNS1_3genE10ELNS1_11target_archE1200ELNS1_3gpuE4ELNS1_3repE0EEENS1_30default_config_static_selectorELNS0_4arch9wavefront6targetE0EEEvSP_
	.globl	_ZN7rocprim17ROCPRIM_400000_NS6detail17trampoline_kernelINS0_14default_configENS1_29binary_search_config_selectorIyiEEZNS1_14transform_implILb0ES3_S5_N6thrust23THRUST_200600_302600_NS6detail15normal_iteratorINS8_10device_ptrIyEEEENSA_INSB_IiEEEEZNS1_13binary_searchIS3_S5_SD_SD_SF_NS1_16binary_search_opENS9_16wrapped_functionINS0_4lessIvEEbEEEE10hipError_tPvRmT1_T2_T3_mmT4_T5_P12ihipStream_tbEUlRKyE_EESM_SQ_SR_mSS_SV_bEUlT_E_NS1_11comp_targetILNS1_3genE10ELNS1_11target_archE1200ELNS1_3gpuE4ELNS1_3repE0EEENS1_30default_config_static_selectorELNS0_4arch9wavefront6targetE0EEEvSP_
	.p2align	8
	.type	_ZN7rocprim17ROCPRIM_400000_NS6detail17trampoline_kernelINS0_14default_configENS1_29binary_search_config_selectorIyiEEZNS1_14transform_implILb0ES3_S5_N6thrust23THRUST_200600_302600_NS6detail15normal_iteratorINS8_10device_ptrIyEEEENSA_INSB_IiEEEEZNS1_13binary_searchIS3_S5_SD_SD_SF_NS1_16binary_search_opENS9_16wrapped_functionINS0_4lessIvEEbEEEE10hipError_tPvRmT1_T2_T3_mmT4_T5_P12ihipStream_tbEUlRKyE_EESM_SQ_SR_mSS_SV_bEUlT_E_NS1_11comp_targetILNS1_3genE10ELNS1_11target_archE1200ELNS1_3gpuE4ELNS1_3repE0EEENS1_30default_config_static_selectorELNS0_4arch9wavefront6targetE0EEEvSP_,@function
_ZN7rocprim17ROCPRIM_400000_NS6detail17trampoline_kernelINS0_14default_configENS1_29binary_search_config_selectorIyiEEZNS1_14transform_implILb0ES3_S5_N6thrust23THRUST_200600_302600_NS6detail15normal_iteratorINS8_10device_ptrIyEEEENSA_INSB_IiEEEEZNS1_13binary_searchIS3_S5_SD_SD_SF_NS1_16binary_search_opENS9_16wrapped_functionINS0_4lessIvEEbEEEE10hipError_tPvRmT1_T2_T3_mmT4_T5_P12ihipStream_tbEUlRKyE_EESM_SQ_SR_mSS_SV_bEUlT_E_NS1_11comp_targetILNS1_3genE10ELNS1_11target_archE1200ELNS1_3gpuE4ELNS1_3repE0EEENS1_30default_config_static_selectorELNS0_4arch9wavefront6targetE0EEEvSP_: ; @_ZN7rocprim17ROCPRIM_400000_NS6detail17trampoline_kernelINS0_14default_configENS1_29binary_search_config_selectorIyiEEZNS1_14transform_implILb0ES3_S5_N6thrust23THRUST_200600_302600_NS6detail15normal_iteratorINS8_10device_ptrIyEEEENSA_INSB_IiEEEEZNS1_13binary_searchIS3_S5_SD_SD_SF_NS1_16binary_search_opENS9_16wrapped_functionINS0_4lessIvEEbEEEE10hipError_tPvRmT1_T2_T3_mmT4_T5_P12ihipStream_tbEUlRKyE_EESM_SQ_SR_mSS_SV_bEUlT_E_NS1_11comp_targetILNS1_3genE10ELNS1_11target_archE1200ELNS1_3gpuE4ELNS1_3repE0EEENS1_30default_config_static_selectorELNS0_4arch9wavefront6targetE0EEEvSP_
; %bb.0:
	.section	.rodata,"a",@progbits
	.p2align	6, 0x0
	.amdhsa_kernel _ZN7rocprim17ROCPRIM_400000_NS6detail17trampoline_kernelINS0_14default_configENS1_29binary_search_config_selectorIyiEEZNS1_14transform_implILb0ES3_S5_N6thrust23THRUST_200600_302600_NS6detail15normal_iteratorINS8_10device_ptrIyEEEENSA_INSB_IiEEEEZNS1_13binary_searchIS3_S5_SD_SD_SF_NS1_16binary_search_opENS9_16wrapped_functionINS0_4lessIvEEbEEEE10hipError_tPvRmT1_T2_T3_mmT4_T5_P12ihipStream_tbEUlRKyE_EESM_SQ_SR_mSS_SV_bEUlT_E_NS1_11comp_targetILNS1_3genE10ELNS1_11target_archE1200ELNS1_3gpuE4ELNS1_3repE0EEENS1_30default_config_static_selectorELNS0_4arch9wavefront6targetE0EEEvSP_
		.amdhsa_group_segment_fixed_size 0
		.amdhsa_private_segment_fixed_size 0
		.amdhsa_kernarg_size 56
		.amdhsa_user_sgpr_count 15
		.amdhsa_user_sgpr_dispatch_ptr 0
		.amdhsa_user_sgpr_queue_ptr 0
		.amdhsa_user_sgpr_kernarg_segment_ptr 1
		.amdhsa_user_sgpr_dispatch_id 0
		.amdhsa_user_sgpr_private_segment_size 0
		.amdhsa_wavefront_size32 1
		.amdhsa_uses_dynamic_stack 0
		.amdhsa_enable_private_segment 0
		.amdhsa_system_sgpr_workgroup_id_x 1
		.amdhsa_system_sgpr_workgroup_id_y 0
		.amdhsa_system_sgpr_workgroup_id_z 0
		.amdhsa_system_sgpr_workgroup_info 0
		.amdhsa_system_vgpr_workitem_id 0
		.amdhsa_next_free_vgpr 1
		.amdhsa_next_free_sgpr 1
		.amdhsa_reserve_vcc 0
		.amdhsa_float_round_mode_32 0
		.amdhsa_float_round_mode_16_64 0
		.amdhsa_float_denorm_mode_32 3
		.amdhsa_float_denorm_mode_16_64 3
		.amdhsa_dx10_clamp 1
		.amdhsa_ieee_mode 1
		.amdhsa_fp16_overflow 0
		.amdhsa_workgroup_processor_mode 1
		.amdhsa_memory_ordered 1
		.amdhsa_forward_progress 0
		.amdhsa_shared_vgpr_count 0
		.amdhsa_exception_fp_ieee_invalid_op 0
		.amdhsa_exception_fp_denorm_src 0
		.amdhsa_exception_fp_ieee_div_zero 0
		.amdhsa_exception_fp_ieee_overflow 0
		.amdhsa_exception_fp_ieee_underflow 0
		.amdhsa_exception_fp_ieee_inexact 0
		.amdhsa_exception_int_div_zero 0
	.end_amdhsa_kernel
	.section	.text._ZN7rocprim17ROCPRIM_400000_NS6detail17trampoline_kernelINS0_14default_configENS1_29binary_search_config_selectorIyiEEZNS1_14transform_implILb0ES3_S5_N6thrust23THRUST_200600_302600_NS6detail15normal_iteratorINS8_10device_ptrIyEEEENSA_INSB_IiEEEEZNS1_13binary_searchIS3_S5_SD_SD_SF_NS1_16binary_search_opENS9_16wrapped_functionINS0_4lessIvEEbEEEE10hipError_tPvRmT1_T2_T3_mmT4_T5_P12ihipStream_tbEUlRKyE_EESM_SQ_SR_mSS_SV_bEUlT_E_NS1_11comp_targetILNS1_3genE10ELNS1_11target_archE1200ELNS1_3gpuE4ELNS1_3repE0EEENS1_30default_config_static_selectorELNS0_4arch9wavefront6targetE0EEEvSP_,"axG",@progbits,_ZN7rocprim17ROCPRIM_400000_NS6detail17trampoline_kernelINS0_14default_configENS1_29binary_search_config_selectorIyiEEZNS1_14transform_implILb0ES3_S5_N6thrust23THRUST_200600_302600_NS6detail15normal_iteratorINS8_10device_ptrIyEEEENSA_INSB_IiEEEEZNS1_13binary_searchIS3_S5_SD_SD_SF_NS1_16binary_search_opENS9_16wrapped_functionINS0_4lessIvEEbEEEE10hipError_tPvRmT1_T2_T3_mmT4_T5_P12ihipStream_tbEUlRKyE_EESM_SQ_SR_mSS_SV_bEUlT_E_NS1_11comp_targetILNS1_3genE10ELNS1_11target_archE1200ELNS1_3gpuE4ELNS1_3repE0EEENS1_30default_config_static_selectorELNS0_4arch9wavefront6targetE0EEEvSP_,comdat
.Lfunc_end453:
	.size	_ZN7rocprim17ROCPRIM_400000_NS6detail17trampoline_kernelINS0_14default_configENS1_29binary_search_config_selectorIyiEEZNS1_14transform_implILb0ES3_S5_N6thrust23THRUST_200600_302600_NS6detail15normal_iteratorINS8_10device_ptrIyEEEENSA_INSB_IiEEEEZNS1_13binary_searchIS3_S5_SD_SD_SF_NS1_16binary_search_opENS9_16wrapped_functionINS0_4lessIvEEbEEEE10hipError_tPvRmT1_T2_T3_mmT4_T5_P12ihipStream_tbEUlRKyE_EESM_SQ_SR_mSS_SV_bEUlT_E_NS1_11comp_targetILNS1_3genE10ELNS1_11target_archE1200ELNS1_3gpuE4ELNS1_3repE0EEENS1_30default_config_static_selectorELNS0_4arch9wavefront6targetE0EEEvSP_, .Lfunc_end453-_ZN7rocprim17ROCPRIM_400000_NS6detail17trampoline_kernelINS0_14default_configENS1_29binary_search_config_selectorIyiEEZNS1_14transform_implILb0ES3_S5_N6thrust23THRUST_200600_302600_NS6detail15normal_iteratorINS8_10device_ptrIyEEEENSA_INSB_IiEEEEZNS1_13binary_searchIS3_S5_SD_SD_SF_NS1_16binary_search_opENS9_16wrapped_functionINS0_4lessIvEEbEEEE10hipError_tPvRmT1_T2_T3_mmT4_T5_P12ihipStream_tbEUlRKyE_EESM_SQ_SR_mSS_SV_bEUlT_E_NS1_11comp_targetILNS1_3genE10ELNS1_11target_archE1200ELNS1_3gpuE4ELNS1_3repE0EEENS1_30default_config_static_selectorELNS0_4arch9wavefront6targetE0EEEvSP_
                                        ; -- End function
	.section	.AMDGPU.csdata,"",@progbits
; Kernel info:
; codeLenInByte = 0
; NumSgprs: 0
; NumVgprs: 0
; ScratchSize: 0
; MemoryBound: 0
; FloatMode: 240
; IeeeMode: 1
; LDSByteSize: 0 bytes/workgroup (compile time only)
; SGPRBlocks: 0
; VGPRBlocks: 0
; NumSGPRsForWavesPerEU: 1
; NumVGPRsForWavesPerEU: 1
; Occupancy: 16
; WaveLimiterHint : 0
; COMPUTE_PGM_RSRC2:SCRATCH_EN: 0
; COMPUTE_PGM_RSRC2:USER_SGPR: 15
; COMPUTE_PGM_RSRC2:TRAP_HANDLER: 0
; COMPUTE_PGM_RSRC2:TGID_X_EN: 1
; COMPUTE_PGM_RSRC2:TGID_Y_EN: 0
; COMPUTE_PGM_RSRC2:TGID_Z_EN: 0
; COMPUTE_PGM_RSRC2:TIDIG_COMP_CNT: 0
	.section	.text._ZN7rocprim17ROCPRIM_400000_NS6detail17trampoline_kernelINS0_14default_configENS1_29binary_search_config_selectorIyiEEZNS1_14transform_implILb0ES3_S5_N6thrust23THRUST_200600_302600_NS6detail15normal_iteratorINS8_10device_ptrIyEEEENSA_INSB_IiEEEEZNS1_13binary_searchIS3_S5_SD_SD_SF_NS1_16binary_search_opENS9_16wrapped_functionINS0_4lessIvEEbEEEE10hipError_tPvRmT1_T2_T3_mmT4_T5_P12ihipStream_tbEUlRKyE_EESM_SQ_SR_mSS_SV_bEUlT_E_NS1_11comp_targetILNS1_3genE9ELNS1_11target_archE1100ELNS1_3gpuE3ELNS1_3repE0EEENS1_30default_config_static_selectorELNS0_4arch9wavefront6targetE0EEEvSP_,"axG",@progbits,_ZN7rocprim17ROCPRIM_400000_NS6detail17trampoline_kernelINS0_14default_configENS1_29binary_search_config_selectorIyiEEZNS1_14transform_implILb0ES3_S5_N6thrust23THRUST_200600_302600_NS6detail15normal_iteratorINS8_10device_ptrIyEEEENSA_INSB_IiEEEEZNS1_13binary_searchIS3_S5_SD_SD_SF_NS1_16binary_search_opENS9_16wrapped_functionINS0_4lessIvEEbEEEE10hipError_tPvRmT1_T2_T3_mmT4_T5_P12ihipStream_tbEUlRKyE_EESM_SQ_SR_mSS_SV_bEUlT_E_NS1_11comp_targetILNS1_3genE9ELNS1_11target_archE1100ELNS1_3gpuE3ELNS1_3repE0EEENS1_30default_config_static_selectorELNS0_4arch9wavefront6targetE0EEEvSP_,comdat
	.protected	_ZN7rocprim17ROCPRIM_400000_NS6detail17trampoline_kernelINS0_14default_configENS1_29binary_search_config_selectorIyiEEZNS1_14transform_implILb0ES3_S5_N6thrust23THRUST_200600_302600_NS6detail15normal_iteratorINS8_10device_ptrIyEEEENSA_INSB_IiEEEEZNS1_13binary_searchIS3_S5_SD_SD_SF_NS1_16binary_search_opENS9_16wrapped_functionINS0_4lessIvEEbEEEE10hipError_tPvRmT1_T2_T3_mmT4_T5_P12ihipStream_tbEUlRKyE_EESM_SQ_SR_mSS_SV_bEUlT_E_NS1_11comp_targetILNS1_3genE9ELNS1_11target_archE1100ELNS1_3gpuE3ELNS1_3repE0EEENS1_30default_config_static_selectorELNS0_4arch9wavefront6targetE0EEEvSP_ ; -- Begin function _ZN7rocprim17ROCPRIM_400000_NS6detail17trampoline_kernelINS0_14default_configENS1_29binary_search_config_selectorIyiEEZNS1_14transform_implILb0ES3_S5_N6thrust23THRUST_200600_302600_NS6detail15normal_iteratorINS8_10device_ptrIyEEEENSA_INSB_IiEEEEZNS1_13binary_searchIS3_S5_SD_SD_SF_NS1_16binary_search_opENS9_16wrapped_functionINS0_4lessIvEEbEEEE10hipError_tPvRmT1_T2_T3_mmT4_T5_P12ihipStream_tbEUlRKyE_EESM_SQ_SR_mSS_SV_bEUlT_E_NS1_11comp_targetILNS1_3genE9ELNS1_11target_archE1100ELNS1_3gpuE3ELNS1_3repE0EEENS1_30default_config_static_selectorELNS0_4arch9wavefront6targetE0EEEvSP_
	.globl	_ZN7rocprim17ROCPRIM_400000_NS6detail17trampoline_kernelINS0_14default_configENS1_29binary_search_config_selectorIyiEEZNS1_14transform_implILb0ES3_S5_N6thrust23THRUST_200600_302600_NS6detail15normal_iteratorINS8_10device_ptrIyEEEENSA_INSB_IiEEEEZNS1_13binary_searchIS3_S5_SD_SD_SF_NS1_16binary_search_opENS9_16wrapped_functionINS0_4lessIvEEbEEEE10hipError_tPvRmT1_T2_T3_mmT4_T5_P12ihipStream_tbEUlRKyE_EESM_SQ_SR_mSS_SV_bEUlT_E_NS1_11comp_targetILNS1_3genE9ELNS1_11target_archE1100ELNS1_3gpuE3ELNS1_3repE0EEENS1_30default_config_static_selectorELNS0_4arch9wavefront6targetE0EEEvSP_
	.p2align	8
	.type	_ZN7rocprim17ROCPRIM_400000_NS6detail17trampoline_kernelINS0_14default_configENS1_29binary_search_config_selectorIyiEEZNS1_14transform_implILb0ES3_S5_N6thrust23THRUST_200600_302600_NS6detail15normal_iteratorINS8_10device_ptrIyEEEENSA_INSB_IiEEEEZNS1_13binary_searchIS3_S5_SD_SD_SF_NS1_16binary_search_opENS9_16wrapped_functionINS0_4lessIvEEbEEEE10hipError_tPvRmT1_T2_T3_mmT4_T5_P12ihipStream_tbEUlRKyE_EESM_SQ_SR_mSS_SV_bEUlT_E_NS1_11comp_targetILNS1_3genE9ELNS1_11target_archE1100ELNS1_3gpuE3ELNS1_3repE0EEENS1_30default_config_static_selectorELNS0_4arch9wavefront6targetE0EEEvSP_,@function
_ZN7rocprim17ROCPRIM_400000_NS6detail17trampoline_kernelINS0_14default_configENS1_29binary_search_config_selectorIyiEEZNS1_14transform_implILb0ES3_S5_N6thrust23THRUST_200600_302600_NS6detail15normal_iteratorINS8_10device_ptrIyEEEENSA_INSB_IiEEEEZNS1_13binary_searchIS3_S5_SD_SD_SF_NS1_16binary_search_opENS9_16wrapped_functionINS0_4lessIvEEbEEEE10hipError_tPvRmT1_T2_T3_mmT4_T5_P12ihipStream_tbEUlRKyE_EESM_SQ_SR_mSS_SV_bEUlT_E_NS1_11comp_targetILNS1_3genE9ELNS1_11target_archE1100ELNS1_3gpuE3ELNS1_3repE0EEENS1_30default_config_static_selectorELNS0_4arch9wavefront6targetE0EEEvSP_: ; @_ZN7rocprim17ROCPRIM_400000_NS6detail17trampoline_kernelINS0_14default_configENS1_29binary_search_config_selectorIyiEEZNS1_14transform_implILb0ES3_S5_N6thrust23THRUST_200600_302600_NS6detail15normal_iteratorINS8_10device_ptrIyEEEENSA_INSB_IiEEEEZNS1_13binary_searchIS3_S5_SD_SD_SF_NS1_16binary_search_opENS9_16wrapped_functionINS0_4lessIvEEbEEEE10hipError_tPvRmT1_T2_T3_mmT4_T5_P12ihipStream_tbEUlRKyE_EESM_SQ_SR_mSS_SV_bEUlT_E_NS1_11comp_targetILNS1_3genE9ELNS1_11target_archE1100ELNS1_3gpuE3ELNS1_3repE0EEENS1_30default_config_static_selectorELNS0_4arch9wavefront6targetE0EEEvSP_
; %bb.0:
	s_clause 0x2
	s_load_b256 s[4:11], s[0:1], 0x0
	s_load_b32 s2, s[0:1], 0x38
	s_load_b128 s[16:19], s[0:1], 0x20
	s_mov_b32 s21, 0
	s_waitcnt lgkmcnt(0)
	s_lshl_b64 s[0:1], s[6:7], 3
	s_delay_alu instid0(SALU_CYCLE_1) | instskip(SKIP_2) | instid1(SALU_CYCLE_1)
	s_add_u32 s3, s4, s0
	s_addc_u32 s4, s5, s1
	s_lshl_b64 s[0:1], s[6:7], 2
	s_add_u32 s22, s10, s0
	s_addc_u32 s23, s11, s1
	s_lshl_b32 s20, s15, 12
	s_add_i32 s2, s2, -1
	s_lshl_b64 s[0:1], s[20:21], 3
	s_delay_alu instid0(SALU_CYCLE_1)
	s_add_u32 s25, s3, s0
	s_addc_u32 s26, s4, s1
	s_cmp_lg_u32 s15, s2
	s_mov_b32 s0, -1
	s_cbranch_scc0 .LBB454_98
; %bb.1:
	v_lshlrev_b32_e32 v1, 3, v0
	s_cmp_lg_u64 s[18:19], 0
	s_mov_b32 s1, 0
	s_cselect_b32 s2, -1, 0
	s_cmp_eq_u64 s[18:19], 0
	v_add_co_u32 v1, s0, s25, v1
	s_delay_alu instid0(VALU_DEP_1) | instskip(NEXT) | instid1(VALU_DEP_2)
	v_add_co_ci_u32_e64 v2, null, s26, 0, s0
	v_add_co_u32 v3, vcc_lo, 0x1000, v1
	s_delay_alu instid0(VALU_DEP_2)
	v_add_co_ci_u32_e32 v4, vcc_lo, 0, v2, vcc_lo
	v_add_co_u32 v5, vcc_lo, 0x2000, v1
	v_add_co_ci_u32_e32 v6, vcc_lo, 0, v2, vcc_lo
	v_add_co_u32 v7, vcc_lo, 0x3000, v1
	v_add_co_ci_u32_e32 v8, vcc_lo, 0, v2, vcc_lo
	s_clause 0x7
	flat_load_b64 v[31:32], v[1:2]
	flat_load_b64 v[29:30], v[1:2] offset:2048
	flat_load_b64 v[27:28], v[3:4]
	flat_load_b64 v[25:26], v[3:4] offset:2048
	;; [unrolled: 2-line block ×4, first 2 shown]
	v_add_co_u32 v3, vcc_lo, 0x4000, v1
	v_add_co_ci_u32_e32 v4, vcc_lo, 0, v2, vcc_lo
	v_add_co_u32 v5, vcc_lo, 0x5000, v1
	v_add_co_ci_u32_e32 v6, vcc_lo, 0, v2, vcc_lo
	;; [unrolled: 2-line block ×4, first 2 shown]
	s_clause 0x7
	flat_load_b64 v[15:16], v[3:4]
	flat_load_b64 v[13:14], v[3:4] offset:2048
	flat_load_b64 v[11:12], v[5:6]
	flat_load_b64 v[9:10], v[5:6] offset:2048
	;; [unrolled: 2-line block ×4, first 2 shown]
	v_mov_b32_e32 v33, 0
	v_mov_b32_e32 v34, 0
	s_cbranch_scc1 .LBB454_5
; %bb.2:
	v_dual_mov_b32 v33, 0 :: v_dual_mov_b32 v36, s19
	v_dual_mov_b32 v34, 0 :: v_dual_mov_b32 v35, s18
	s_set_inst_prefetch_distance 0x1
	.p2align	6
.LBB454_3:                              ; =>This Inner Loop Header: Depth=1
	s_delay_alu instid0(VALU_DEP_1) | instskip(NEXT) | instid1(VALU_DEP_2)
	v_sub_co_u32 v37, vcc_lo, v35, v33
	v_sub_co_ci_u32_e32 v38, vcc_lo, v36, v34, vcc_lo
	s_delay_alu instid0(VALU_DEP_1) | instskip(SKIP_1) | instid1(VALU_DEP_2)
	v_lshrrev_b64 v[39:40], 1, v[37:38]
	v_lshrrev_b64 v[37:38], 6, v[37:38]
	v_add_co_u32 v39, vcc_lo, v39, v33
	s_delay_alu instid0(VALU_DEP_3) | instskip(NEXT) | instid1(VALU_DEP_2)
	v_add_co_ci_u32_e32 v40, vcc_lo, v40, v34, vcc_lo
	v_add_co_u32 v37, vcc_lo, v39, v37
	s_delay_alu instid0(VALU_DEP_2) | instskip(NEXT) | instid1(VALU_DEP_1)
	v_add_co_ci_u32_e32 v38, vcc_lo, v40, v38, vcc_lo
	v_lshlrev_b64 v[39:40], 3, v[37:38]
	s_delay_alu instid0(VALU_DEP_1) | instskip(NEXT) | instid1(VALU_DEP_2)
	v_add_co_u32 v39, vcc_lo, s16, v39
	v_add_co_ci_u32_e32 v40, vcc_lo, s17, v40, vcc_lo
	v_add_co_u32 v41, vcc_lo, v37, 1
	global_load_b64 v[39:40], v[39:40], off
	s_waitcnt vmcnt(0) lgkmcnt(15)
	v_cmp_lt_u64_e64 s0, v[39:40], v[31:32]
	v_add_co_ci_u32_e32 v39, vcc_lo, 0, v38, vcc_lo
	s_delay_alu instid0(VALU_DEP_2) | instskip(SKIP_1) | instid1(VALU_DEP_3)
	v_cndmask_b32_e64 v36, v38, v36, s0
	v_cndmask_b32_e64 v35, v37, v35, s0
	;; [unrolled: 1-line block ×4, first 2 shown]
	s_delay_alu instid0(VALU_DEP_1) | instskip(SKIP_1) | instid1(SALU_CYCLE_1)
	v_cmp_ge_u64_e32 vcc_lo, v[33:34], v[35:36]
	s_or_b32 s1, vcc_lo, s1
	s_and_not1_b32 exec_lo, exec_lo, s1
	s_cbranch_execnz .LBB454_3
; %bb.4:
	s_set_inst_prefetch_distance 0x2
	s_or_b32 exec_lo, exec_lo, s1
.LBB454_5:
	s_mov_b32 s1, 0
	s_mov_b32 s0, exec_lo
	s_delay_alu instid0(VALU_DEP_1)
	v_cmpx_ne_u64_e64 s[18:19], v[33:34]
	s_cbranch_execz .LBB454_7
; %bb.6:
	v_lshlrev_b64 v[33:34], 3, v[33:34]
	s_delay_alu instid0(VALU_DEP_1) | instskip(NEXT) | instid1(VALU_DEP_2)
	v_add_co_u32 v33, vcc_lo, s16, v33
	v_add_co_ci_u32_e32 v34, vcc_lo, s17, v34, vcc_lo
	global_load_b64 v[33:34], v[33:34], off
	s_waitcnt vmcnt(0) lgkmcnt(15)
	v_cmp_le_u64_e32 vcc_lo, v[33:34], v[31:32]
	s_and_b32 s1, vcc_lo, exec_lo
.LBB454_7:
	s_or_b32 exec_lo, exec_lo, s0
	s_waitcnt vmcnt(15) lgkmcnt(15)
	v_mov_b32_e32 v31, 0
	v_cndmask_b32_e64 v35, 0, 1, s2
	v_mov_b32_e32 v32, 0
	s_and_not1_b32 vcc_lo, exec_lo, s2
	s_cbranch_vccnz .LBB454_11
; %bb.8:
	v_dual_mov_b32 v34, s19 :: v_dual_mov_b32 v33, s18
	s_mov_b32 s2, 0
	s_set_inst_prefetch_distance 0x1
	.p2align	6
.LBB454_9:                              ; =>This Inner Loop Header: Depth=1
	s_delay_alu instid0(VALU_DEP_1) | instskip(NEXT) | instid1(VALU_DEP_2)
	v_sub_co_u32 v36, vcc_lo, v33, v31
	v_sub_co_ci_u32_e32 v37, vcc_lo, v34, v32, vcc_lo
	s_delay_alu instid0(VALU_DEP_1) | instskip(SKIP_1) | instid1(VALU_DEP_2)
	v_lshrrev_b64 v[38:39], 1, v[36:37]
	v_lshrrev_b64 v[36:37], 6, v[36:37]
	v_add_co_u32 v38, vcc_lo, v38, v31
	s_delay_alu instid0(VALU_DEP_3) | instskip(NEXT) | instid1(VALU_DEP_2)
	v_add_co_ci_u32_e32 v39, vcc_lo, v39, v32, vcc_lo
	v_add_co_u32 v36, vcc_lo, v38, v36
	s_delay_alu instid0(VALU_DEP_2) | instskip(NEXT) | instid1(VALU_DEP_1)
	v_add_co_ci_u32_e32 v37, vcc_lo, v39, v37, vcc_lo
	v_lshlrev_b64 v[38:39], 3, v[36:37]
	s_delay_alu instid0(VALU_DEP_1) | instskip(NEXT) | instid1(VALU_DEP_2)
	v_add_co_u32 v38, vcc_lo, s16, v38
	v_add_co_ci_u32_e32 v39, vcc_lo, s17, v39, vcc_lo
	v_add_co_u32 v40, vcc_lo, v36, 1
	global_load_b64 v[38:39], v[38:39], off
	s_waitcnt vmcnt(0) lgkmcnt(14)
	v_cmp_lt_u64_e64 s0, v[38:39], v[29:30]
	v_add_co_ci_u32_e32 v38, vcc_lo, 0, v37, vcc_lo
	s_delay_alu instid0(VALU_DEP_2) | instskip(SKIP_1) | instid1(VALU_DEP_3)
	v_cndmask_b32_e64 v34, v37, v34, s0
	v_cndmask_b32_e64 v33, v36, v33, s0
	;; [unrolled: 1-line block ×4, first 2 shown]
	s_delay_alu instid0(VALU_DEP_1) | instskip(SKIP_1) | instid1(SALU_CYCLE_1)
	v_cmp_ge_u64_e32 vcc_lo, v[31:32], v[33:34]
	s_or_b32 s2, vcc_lo, s2
	s_and_not1_b32 exec_lo, exec_lo, s2
	s_cbranch_execnz .LBB454_9
; %bb.10:
	s_set_inst_prefetch_distance 0x2
	s_or_b32 exec_lo, exec_lo, s2
.LBB454_11:
	s_mov_b32 s2, 0
	s_mov_b32 s0, exec_lo
	v_cmpx_ne_u64_e64 s[18:19], v[31:32]
	s_cbranch_execz .LBB454_13
; %bb.12:
	v_lshlrev_b64 v[31:32], 3, v[31:32]
	s_delay_alu instid0(VALU_DEP_1) | instskip(NEXT) | instid1(VALU_DEP_2)
	v_add_co_u32 v31, vcc_lo, s16, v31
	v_add_co_ci_u32_e32 v32, vcc_lo, s17, v32, vcc_lo
	global_load_b64 v[31:32], v[31:32], off
	s_waitcnt vmcnt(0) lgkmcnt(14)
	v_cmp_le_u64_e32 vcc_lo, v[31:32], v[29:30]
	s_and_b32 s2, vcc_lo, exec_lo
.LBB454_13:
	s_or_b32 exec_lo, exec_lo, s0
	v_cmp_ne_u32_e32 vcc_lo, 1, v35
	s_waitcnt vmcnt(14) lgkmcnt(14)
	v_mov_b32_e32 v29, 0
	v_mov_b32_e32 v30, 0
	s_cbranch_vccnz .LBB454_17
; %bb.14:
	v_dual_mov_b32 v32, s19 :: v_dual_mov_b32 v31, s18
	s_mov_b32 s3, 0
	s_set_inst_prefetch_distance 0x1
	.p2align	6
.LBB454_15:                             ; =>This Inner Loop Header: Depth=1
	s_delay_alu instid0(VALU_DEP_1) | instskip(NEXT) | instid1(VALU_DEP_2)
	v_sub_co_u32 v33, vcc_lo, v31, v29
	v_sub_co_ci_u32_e32 v34, vcc_lo, v32, v30, vcc_lo
	s_delay_alu instid0(VALU_DEP_1) | instskip(SKIP_1) | instid1(VALU_DEP_2)
	v_lshrrev_b64 v[36:37], 1, v[33:34]
	v_lshrrev_b64 v[33:34], 6, v[33:34]
	v_add_co_u32 v36, vcc_lo, v36, v29
	s_delay_alu instid0(VALU_DEP_3) | instskip(NEXT) | instid1(VALU_DEP_2)
	v_add_co_ci_u32_e32 v37, vcc_lo, v37, v30, vcc_lo
	v_add_co_u32 v33, vcc_lo, v36, v33
	s_delay_alu instid0(VALU_DEP_2) | instskip(NEXT) | instid1(VALU_DEP_1)
	v_add_co_ci_u32_e32 v34, vcc_lo, v37, v34, vcc_lo
	v_lshlrev_b64 v[36:37], 3, v[33:34]
	s_delay_alu instid0(VALU_DEP_1) | instskip(NEXT) | instid1(VALU_DEP_2)
	v_add_co_u32 v36, vcc_lo, s16, v36
	v_add_co_ci_u32_e32 v37, vcc_lo, s17, v37, vcc_lo
	v_add_co_u32 v38, vcc_lo, v33, 1
	global_load_b64 v[36:37], v[36:37], off
	s_waitcnt vmcnt(0) lgkmcnt(13)
	v_cmp_lt_u64_e64 s0, v[36:37], v[27:28]
	v_add_co_ci_u32_e32 v36, vcc_lo, 0, v34, vcc_lo
	s_delay_alu instid0(VALU_DEP_2) | instskip(SKIP_1) | instid1(VALU_DEP_3)
	v_cndmask_b32_e64 v32, v34, v32, s0
	v_cndmask_b32_e64 v31, v33, v31, s0
	;; [unrolled: 1-line block ×4, first 2 shown]
	s_delay_alu instid0(VALU_DEP_1) | instskip(SKIP_1) | instid1(SALU_CYCLE_1)
	v_cmp_ge_u64_e32 vcc_lo, v[29:30], v[31:32]
	s_or_b32 s3, vcc_lo, s3
	s_and_not1_b32 exec_lo, exec_lo, s3
	s_cbranch_execnz .LBB454_15
; %bb.16:
	s_set_inst_prefetch_distance 0x2
	s_or_b32 exec_lo, exec_lo, s3
.LBB454_17:
	s_mov_b32 s3, 0
	s_mov_b32 s0, exec_lo
	s_delay_alu instid0(VALU_DEP_1)
	v_cmpx_ne_u64_e64 s[18:19], v[29:30]
	s_cbranch_execz .LBB454_19
; %bb.18:
	v_lshlrev_b64 v[29:30], 3, v[29:30]
	s_delay_alu instid0(VALU_DEP_1) | instskip(NEXT) | instid1(VALU_DEP_2)
	v_add_co_u32 v29, vcc_lo, s16, v29
	v_add_co_ci_u32_e32 v30, vcc_lo, s17, v30, vcc_lo
	global_load_b64 v[29:30], v[29:30], off
	s_waitcnt vmcnt(0) lgkmcnt(13)
	v_cmp_le_u64_e32 vcc_lo, v[29:30], v[27:28]
	s_and_b32 s3, vcc_lo, exec_lo
.LBB454_19:
	s_or_b32 exec_lo, exec_lo, s0
	v_cmp_ne_u32_e32 vcc_lo, 1, v35
	s_waitcnt vmcnt(13) lgkmcnt(13)
	v_mov_b32_e32 v27, 0
	v_mov_b32_e32 v28, 0
	s_cbranch_vccnz .LBB454_23
; %bb.20:
	v_dual_mov_b32 v30, s19 :: v_dual_mov_b32 v29, s18
	s_mov_b32 s4, 0
	s_set_inst_prefetch_distance 0x1
	.p2align	6
.LBB454_21:                             ; =>This Inner Loop Header: Depth=1
	s_delay_alu instid0(VALU_DEP_1) | instskip(NEXT) | instid1(VALU_DEP_2)
	v_sub_co_u32 v31, vcc_lo, v29, v27
	v_sub_co_ci_u32_e32 v32, vcc_lo, v30, v28, vcc_lo
	s_delay_alu instid0(VALU_DEP_1) | instskip(SKIP_1) | instid1(VALU_DEP_2)
	v_lshrrev_b64 v[33:34], 1, v[31:32]
	v_lshrrev_b64 v[31:32], 6, v[31:32]
	v_add_co_u32 v33, vcc_lo, v33, v27
	s_delay_alu instid0(VALU_DEP_3) | instskip(NEXT) | instid1(VALU_DEP_2)
	v_add_co_ci_u32_e32 v34, vcc_lo, v34, v28, vcc_lo
	v_add_co_u32 v31, vcc_lo, v33, v31
	s_delay_alu instid0(VALU_DEP_2) | instskip(NEXT) | instid1(VALU_DEP_1)
	v_add_co_ci_u32_e32 v32, vcc_lo, v34, v32, vcc_lo
	v_lshlrev_b64 v[33:34], 3, v[31:32]
	s_delay_alu instid0(VALU_DEP_1) | instskip(NEXT) | instid1(VALU_DEP_2)
	v_add_co_u32 v33, vcc_lo, s16, v33
	v_add_co_ci_u32_e32 v34, vcc_lo, s17, v34, vcc_lo
	v_add_co_u32 v36, vcc_lo, v31, 1
	global_load_b64 v[33:34], v[33:34], off
	s_waitcnt vmcnt(0) lgkmcnt(12)
	v_cmp_lt_u64_e64 s0, v[33:34], v[25:26]
	v_add_co_ci_u32_e32 v33, vcc_lo, 0, v32, vcc_lo
	s_delay_alu instid0(VALU_DEP_2) | instskip(SKIP_1) | instid1(VALU_DEP_3)
	v_cndmask_b32_e64 v30, v32, v30, s0
	v_cndmask_b32_e64 v29, v31, v29, s0
	v_cndmask_b32_e64 v28, v28, v33, s0
	v_cndmask_b32_e64 v27, v27, v36, s0
	s_delay_alu instid0(VALU_DEP_1) | instskip(SKIP_1) | instid1(SALU_CYCLE_1)
	v_cmp_ge_u64_e32 vcc_lo, v[27:28], v[29:30]
	s_or_b32 s4, vcc_lo, s4
	s_and_not1_b32 exec_lo, exec_lo, s4
	s_cbranch_execnz .LBB454_21
; %bb.22:
	s_set_inst_prefetch_distance 0x2
	s_or_b32 exec_lo, exec_lo, s4
.LBB454_23:
	s_mov_b32 s4, 0
	s_mov_b32 s0, exec_lo
	s_delay_alu instid0(VALU_DEP_1)
	v_cmpx_ne_u64_e64 s[18:19], v[27:28]
	s_cbranch_execz .LBB454_25
; %bb.24:
	v_lshlrev_b64 v[27:28], 3, v[27:28]
	s_delay_alu instid0(VALU_DEP_1) | instskip(NEXT) | instid1(VALU_DEP_2)
	v_add_co_u32 v27, vcc_lo, s16, v27
	v_add_co_ci_u32_e32 v28, vcc_lo, s17, v28, vcc_lo
	global_load_b64 v[27:28], v[27:28], off
	s_waitcnt vmcnt(0) lgkmcnt(12)
	v_cmp_le_u64_e32 vcc_lo, v[27:28], v[25:26]
	s_and_b32 s4, vcc_lo, exec_lo
.LBB454_25:
	s_or_b32 exec_lo, exec_lo, s0
	v_cmp_ne_u32_e32 vcc_lo, 1, v35
	s_waitcnt vmcnt(12) lgkmcnt(12)
	v_mov_b32_e32 v25, 0
	v_mov_b32_e32 v26, 0
	s_cbranch_vccnz .LBB454_29
; %bb.26:
	v_dual_mov_b32 v28, s19 :: v_dual_mov_b32 v27, s18
	s_mov_b32 s5, 0
	s_set_inst_prefetch_distance 0x1
	.p2align	6
.LBB454_27:                             ; =>This Inner Loop Header: Depth=1
	s_delay_alu instid0(VALU_DEP_1) | instskip(NEXT) | instid1(VALU_DEP_2)
	v_sub_co_u32 v29, vcc_lo, v27, v25
	v_sub_co_ci_u32_e32 v30, vcc_lo, v28, v26, vcc_lo
	s_delay_alu instid0(VALU_DEP_1) | instskip(SKIP_1) | instid1(VALU_DEP_2)
	v_lshrrev_b64 v[31:32], 1, v[29:30]
	v_lshrrev_b64 v[29:30], 6, v[29:30]
	v_add_co_u32 v31, vcc_lo, v31, v25
	s_delay_alu instid0(VALU_DEP_3) | instskip(NEXT) | instid1(VALU_DEP_2)
	v_add_co_ci_u32_e32 v32, vcc_lo, v32, v26, vcc_lo
	v_add_co_u32 v29, vcc_lo, v31, v29
	s_delay_alu instid0(VALU_DEP_2) | instskip(NEXT) | instid1(VALU_DEP_1)
	v_add_co_ci_u32_e32 v30, vcc_lo, v32, v30, vcc_lo
	v_lshlrev_b64 v[31:32], 3, v[29:30]
	s_delay_alu instid0(VALU_DEP_1) | instskip(NEXT) | instid1(VALU_DEP_2)
	v_add_co_u32 v31, vcc_lo, s16, v31
	v_add_co_ci_u32_e32 v32, vcc_lo, s17, v32, vcc_lo
	v_add_co_u32 v33, vcc_lo, v29, 1
	global_load_b64 v[31:32], v[31:32], off
	s_waitcnt vmcnt(0) lgkmcnt(11)
	v_cmp_lt_u64_e64 s0, v[31:32], v[23:24]
	v_add_co_ci_u32_e32 v31, vcc_lo, 0, v30, vcc_lo
	s_delay_alu instid0(VALU_DEP_2) | instskip(SKIP_1) | instid1(VALU_DEP_3)
	v_cndmask_b32_e64 v28, v30, v28, s0
	v_cndmask_b32_e64 v27, v29, v27, s0
	;; [unrolled: 1-line block ×4, first 2 shown]
	s_delay_alu instid0(VALU_DEP_1) | instskip(SKIP_1) | instid1(SALU_CYCLE_1)
	v_cmp_ge_u64_e32 vcc_lo, v[25:26], v[27:28]
	s_or_b32 s5, vcc_lo, s5
	s_and_not1_b32 exec_lo, exec_lo, s5
	s_cbranch_execnz .LBB454_27
; %bb.28:
	s_set_inst_prefetch_distance 0x2
	s_or_b32 exec_lo, exec_lo, s5
.LBB454_29:
	s_mov_b32 s5, 0
	s_mov_b32 s0, exec_lo
	s_delay_alu instid0(VALU_DEP_1)
	v_cmpx_ne_u64_e64 s[18:19], v[25:26]
	s_cbranch_execz .LBB454_31
; %bb.30:
	v_lshlrev_b64 v[25:26], 3, v[25:26]
	s_delay_alu instid0(VALU_DEP_1) | instskip(NEXT) | instid1(VALU_DEP_2)
	v_add_co_u32 v25, vcc_lo, s16, v25
	v_add_co_ci_u32_e32 v26, vcc_lo, s17, v26, vcc_lo
	global_load_b64 v[25:26], v[25:26], off
	s_waitcnt vmcnt(0) lgkmcnt(11)
	v_cmp_le_u64_e32 vcc_lo, v[25:26], v[23:24]
	s_and_b32 s5, vcc_lo, exec_lo
.LBB454_31:
	s_or_b32 exec_lo, exec_lo, s0
	v_cmp_ne_u32_e32 vcc_lo, 1, v35
	s_waitcnt vmcnt(11) lgkmcnt(11)
	v_mov_b32_e32 v23, 0
	v_mov_b32_e32 v24, 0
	s_cbranch_vccnz .LBB454_35
; %bb.32:
	v_dual_mov_b32 v26, s19 :: v_dual_mov_b32 v25, s18
	s_mov_b32 s6, 0
	s_set_inst_prefetch_distance 0x1
	.p2align	6
.LBB454_33:                             ; =>This Inner Loop Header: Depth=1
	s_delay_alu instid0(VALU_DEP_1) | instskip(NEXT) | instid1(VALU_DEP_2)
	v_sub_co_u32 v27, vcc_lo, v25, v23
	v_sub_co_ci_u32_e32 v28, vcc_lo, v26, v24, vcc_lo
	s_delay_alu instid0(VALU_DEP_1) | instskip(SKIP_1) | instid1(VALU_DEP_2)
	v_lshrrev_b64 v[29:30], 1, v[27:28]
	v_lshrrev_b64 v[27:28], 6, v[27:28]
	v_add_co_u32 v29, vcc_lo, v29, v23
	s_delay_alu instid0(VALU_DEP_3) | instskip(NEXT) | instid1(VALU_DEP_2)
	v_add_co_ci_u32_e32 v30, vcc_lo, v30, v24, vcc_lo
	v_add_co_u32 v27, vcc_lo, v29, v27
	s_delay_alu instid0(VALU_DEP_2) | instskip(NEXT) | instid1(VALU_DEP_1)
	v_add_co_ci_u32_e32 v28, vcc_lo, v30, v28, vcc_lo
	v_lshlrev_b64 v[29:30], 3, v[27:28]
	s_delay_alu instid0(VALU_DEP_1) | instskip(NEXT) | instid1(VALU_DEP_2)
	v_add_co_u32 v29, vcc_lo, s16, v29
	v_add_co_ci_u32_e32 v30, vcc_lo, s17, v30, vcc_lo
	v_add_co_u32 v31, vcc_lo, v27, 1
	global_load_b64 v[29:30], v[29:30], off
	s_waitcnt vmcnt(0) lgkmcnt(10)
	v_cmp_lt_u64_e64 s0, v[29:30], v[21:22]
	v_add_co_ci_u32_e32 v29, vcc_lo, 0, v28, vcc_lo
	s_delay_alu instid0(VALU_DEP_2) | instskip(SKIP_1) | instid1(VALU_DEP_3)
	v_cndmask_b32_e64 v26, v28, v26, s0
	v_cndmask_b32_e64 v25, v27, v25, s0
	;; [unrolled: 1-line block ×4, first 2 shown]
	s_delay_alu instid0(VALU_DEP_1) | instskip(SKIP_1) | instid1(SALU_CYCLE_1)
	v_cmp_ge_u64_e32 vcc_lo, v[23:24], v[25:26]
	s_or_b32 s6, vcc_lo, s6
	s_and_not1_b32 exec_lo, exec_lo, s6
	s_cbranch_execnz .LBB454_33
; %bb.34:
	s_set_inst_prefetch_distance 0x2
	s_or_b32 exec_lo, exec_lo, s6
.LBB454_35:
	s_mov_b32 s6, 0
	s_mov_b32 s0, exec_lo
	s_delay_alu instid0(VALU_DEP_1)
	v_cmpx_ne_u64_e64 s[18:19], v[23:24]
	s_cbranch_execz .LBB454_37
; %bb.36:
	v_lshlrev_b64 v[23:24], 3, v[23:24]
	s_delay_alu instid0(VALU_DEP_1) | instskip(NEXT) | instid1(VALU_DEP_2)
	v_add_co_u32 v23, vcc_lo, s16, v23
	v_add_co_ci_u32_e32 v24, vcc_lo, s17, v24, vcc_lo
	global_load_b64 v[23:24], v[23:24], off
	s_waitcnt vmcnt(0) lgkmcnt(10)
	v_cmp_le_u64_e32 vcc_lo, v[23:24], v[21:22]
	s_and_b32 s6, vcc_lo, exec_lo
.LBB454_37:
	s_or_b32 exec_lo, exec_lo, s0
	v_cmp_ne_u32_e32 vcc_lo, 1, v35
	s_waitcnt vmcnt(10) lgkmcnt(10)
	v_mov_b32_e32 v21, 0
	v_mov_b32_e32 v22, 0
	s_cbranch_vccnz .LBB454_41
; %bb.38:
	v_dual_mov_b32 v24, s19 :: v_dual_mov_b32 v23, s18
	s_mov_b32 s7, 0
	s_set_inst_prefetch_distance 0x1
	.p2align	6
.LBB454_39:                             ; =>This Inner Loop Header: Depth=1
	s_delay_alu instid0(VALU_DEP_1) | instskip(NEXT) | instid1(VALU_DEP_2)
	v_sub_co_u32 v25, vcc_lo, v23, v21
	v_sub_co_ci_u32_e32 v26, vcc_lo, v24, v22, vcc_lo
	s_delay_alu instid0(VALU_DEP_1) | instskip(SKIP_1) | instid1(VALU_DEP_2)
	v_lshrrev_b64 v[27:28], 1, v[25:26]
	v_lshrrev_b64 v[25:26], 6, v[25:26]
	v_add_co_u32 v27, vcc_lo, v27, v21
	s_delay_alu instid0(VALU_DEP_3) | instskip(NEXT) | instid1(VALU_DEP_2)
	v_add_co_ci_u32_e32 v28, vcc_lo, v28, v22, vcc_lo
	v_add_co_u32 v25, vcc_lo, v27, v25
	s_delay_alu instid0(VALU_DEP_2) | instskip(NEXT) | instid1(VALU_DEP_1)
	v_add_co_ci_u32_e32 v26, vcc_lo, v28, v26, vcc_lo
	v_lshlrev_b64 v[27:28], 3, v[25:26]
	s_delay_alu instid0(VALU_DEP_1) | instskip(NEXT) | instid1(VALU_DEP_2)
	v_add_co_u32 v27, vcc_lo, s16, v27
	v_add_co_ci_u32_e32 v28, vcc_lo, s17, v28, vcc_lo
	v_add_co_u32 v29, vcc_lo, v25, 1
	global_load_b64 v[27:28], v[27:28], off
	s_waitcnt vmcnt(0) lgkmcnt(9)
	v_cmp_lt_u64_e64 s0, v[27:28], v[19:20]
	v_add_co_ci_u32_e32 v27, vcc_lo, 0, v26, vcc_lo
	s_delay_alu instid0(VALU_DEP_2) | instskip(SKIP_1) | instid1(VALU_DEP_3)
	v_cndmask_b32_e64 v24, v26, v24, s0
	v_cndmask_b32_e64 v23, v25, v23, s0
	;; [unrolled: 1-line block ×4, first 2 shown]
	s_delay_alu instid0(VALU_DEP_1) | instskip(SKIP_1) | instid1(SALU_CYCLE_1)
	v_cmp_ge_u64_e32 vcc_lo, v[21:22], v[23:24]
	s_or_b32 s7, vcc_lo, s7
	s_and_not1_b32 exec_lo, exec_lo, s7
	s_cbranch_execnz .LBB454_39
; %bb.40:
	s_set_inst_prefetch_distance 0x2
	s_or_b32 exec_lo, exec_lo, s7
.LBB454_41:
	s_mov_b32 s7, 0
	s_mov_b32 s0, exec_lo
	s_delay_alu instid0(VALU_DEP_1)
	v_cmpx_ne_u64_e64 s[18:19], v[21:22]
	s_cbranch_execz .LBB454_43
; %bb.42:
	v_lshlrev_b64 v[21:22], 3, v[21:22]
	s_delay_alu instid0(VALU_DEP_1) | instskip(NEXT) | instid1(VALU_DEP_2)
	v_add_co_u32 v21, vcc_lo, s16, v21
	v_add_co_ci_u32_e32 v22, vcc_lo, s17, v22, vcc_lo
	global_load_b64 v[21:22], v[21:22], off
	s_waitcnt vmcnt(0) lgkmcnt(9)
	v_cmp_le_u64_e32 vcc_lo, v[21:22], v[19:20]
	s_and_b32 s7, vcc_lo, exec_lo
.LBB454_43:
	s_or_b32 exec_lo, exec_lo, s0
	v_cmp_ne_u32_e32 vcc_lo, 1, v35
	s_waitcnt vmcnt(9) lgkmcnt(9)
	v_mov_b32_e32 v19, 0
	v_mov_b32_e32 v20, 0
	s_cbranch_vccnz .LBB454_47
; %bb.44:
	v_dual_mov_b32 v22, s19 :: v_dual_mov_b32 v21, s18
	s_mov_b32 s9, 0
	s_set_inst_prefetch_distance 0x1
	.p2align	6
.LBB454_45:                             ; =>This Inner Loop Header: Depth=1
	s_delay_alu instid0(VALU_DEP_1) | instskip(NEXT) | instid1(VALU_DEP_2)
	v_sub_co_u32 v23, vcc_lo, v21, v19
	v_sub_co_ci_u32_e32 v24, vcc_lo, v22, v20, vcc_lo
	s_delay_alu instid0(VALU_DEP_1) | instskip(SKIP_1) | instid1(VALU_DEP_2)
	v_lshrrev_b64 v[25:26], 1, v[23:24]
	v_lshrrev_b64 v[23:24], 6, v[23:24]
	v_add_co_u32 v25, vcc_lo, v25, v19
	s_delay_alu instid0(VALU_DEP_3) | instskip(NEXT) | instid1(VALU_DEP_2)
	v_add_co_ci_u32_e32 v26, vcc_lo, v26, v20, vcc_lo
	v_add_co_u32 v23, vcc_lo, v25, v23
	s_delay_alu instid0(VALU_DEP_2) | instskip(NEXT) | instid1(VALU_DEP_1)
	v_add_co_ci_u32_e32 v24, vcc_lo, v26, v24, vcc_lo
	v_lshlrev_b64 v[25:26], 3, v[23:24]
	s_delay_alu instid0(VALU_DEP_1) | instskip(NEXT) | instid1(VALU_DEP_2)
	v_add_co_u32 v25, vcc_lo, s16, v25
	v_add_co_ci_u32_e32 v26, vcc_lo, s17, v26, vcc_lo
	v_add_co_u32 v27, vcc_lo, v23, 1
	global_load_b64 v[25:26], v[25:26], off
	s_waitcnt vmcnt(0) lgkmcnt(8)
	v_cmp_lt_u64_e64 s0, v[25:26], v[17:18]
	v_add_co_ci_u32_e32 v25, vcc_lo, 0, v24, vcc_lo
	s_delay_alu instid0(VALU_DEP_2) | instskip(SKIP_1) | instid1(VALU_DEP_3)
	v_cndmask_b32_e64 v22, v24, v22, s0
	v_cndmask_b32_e64 v21, v23, v21, s0
	;; [unrolled: 1-line block ×4, first 2 shown]
	s_delay_alu instid0(VALU_DEP_1) | instskip(SKIP_1) | instid1(SALU_CYCLE_1)
	v_cmp_ge_u64_e32 vcc_lo, v[19:20], v[21:22]
	s_or_b32 s9, vcc_lo, s9
	s_and_not1_b32 exec_lo, exec_lo, s9
	s_cbranch_execnz .LBB454_45
; %bb.46:
	s_set_inst_prefetch_distance 0x2
	s_or_b32 exec_lo, exec_lo, s9
.LBB454_47:
	s_mov_b32 s9, 0
	s_mov_b32 s0, exec_lo
	s_delay_alu instid0(VALU_DEP_1)
	v_cmpx_ne_u64_e64 s[18:19], v[19:20]
	s_cbranch_execz .LBB454_49
; %bb.48:
	v_lshlrev_b64 v[19:20], 3, v[19:20]
	s_delay_alu instid0(VALU_DEP_1) | instskip(NEXT) | instid1(VALU_DEP_2)
	v_add_co_u32 v19, vcc_lo, s16, v19
	v_add_co_ci_u32_e32 v20, vcc_lo, s17, v20, vcc_lo
	global_load_b64 v[19:20], v[19:20], off
	s_waitcnt vmcnt(0) lgkmcnt(8)
	v_cmp_le_u64_e32 vcc_lo, v[19:20], v[17:18]
	s_and_b32 s9, vcc_lo, exec_lo
.LBB454_49:
	s_or_b32 exec_lo, exec_lo, s0
	v_cmp_ne_u32_e32 vcc_lo, 1, v35
	s_waitcnt vmcnt(8) lgkmcnt(8)
	v_mov_b32_e32 v17, 0
	v_mov_b32_e32 v18, 0
	s_cbranch_vccnz .LBB454_53
; %bb.50:
	v_dual_mov_b32 v20, s19 :: v_dual_mov_b32 v19, s18
	s_mov_b32 s10, 0
	s_set_inst_prefetch_distance 0x1
	.p2align	6
.LBB454_51:                             ; =>This Inner Loop Header: Depth=1
	s_delay_alu instid0(VALU_DEP_1) | instskip(NEXT) | instid1(VALU_DEP_2)
	v_sub_co_u32 v21, vcc_lo, v19, v17
	v_sub_co_ci_u32_e32 v22, vcc_lo, v20, v18, vcc_lo
	s_delay_alu instid0(VALU_DEP_1) | instskip(SKIP_1) | instid1(VALU_DEP_2)
	v_lshrrev_b64 v[23:24], 1, v[21:22]
	v_lshrrev_b64 v[21:22], 6, v[21:22]
	v_add_co_u32 v23, vcc_lo, v23, v17
	s_delay_alu instid0(VALU_DEP_3) | instskip(NEXT) | instid1(VALU_DEP_2)
	v_add_co_ci_u32_e32 v24, vcc_lo, v24, v18, vcc_lo
	v_add_co_u32 v21, vcc_lo, v23, v21
	s_delay_alu instid0(VALU_DEP_2) | instskip(NEXT) | instid1(VALU_DEP_1)
	v_add_co_ci_u32_e32 v22, vcc_lo, v24, v22, vcc_lo
	v_lshlrev_b64 v[23:24], 3, v[21:22]
	s_delay_alu instid0(VALU_DEP_1) | instskip(NEXT) | instid1(VALU_DEP_2)
	v_add_co_u32 v23, vcc_lo, s16, v23
	v_add_co_ci_u32_e32 v24, vcc_lo, s17, v24, vcc_lo
	v_add_co_u32 v25, vcc_lo, v21, 1
	global_load_b64 v[23:24], v[23:24], off
	s_waitcnt vmcnt(0) lgkmcnt(7)
	v_cmp_lt_u64_e64 s0, v[23:24], v[15:16]
	v_add_co_ci_u32_e32 v23, vcc_lo, 0, v22, vcc_lo
	s_delay_alu instid0(VALU_DEP_2) | instskip(SKIP_1) | instid1(VALU_DEP_3)
	v_cndmask_b32_e64 v20, v22, v20, s0
	v_cndmask_b32_e64 v19, v21, v19, s0
	;; [unrolled: 1-line block ×4, first 2 shown]
	s_delay_alu instid0(VALU_DEP_1) | instskip(SKIP_1) | instid1(SALU_CYCLE_1)
	v_cmp_ge_u64_e32 vcc_lo, v[17:18], v[19:20]
	s_or_b32 s10, vcc_lo, s10
	s_and_not1_b32 exec_lo, exec_lo, s10
	s_cbranch_execnz .LBB454_51
; %bb.52:
	s_set_inst_prefetch_distance 0x2
	s_or_b32 exec_lo, exec_lo, s10
.LBB454_53:
	v_mov_b32_e32 v19, 0
	s_mov_b32 s0, exec_lo
	s_delay_alu instid0(VALU_DEP_2)
	v_cmpx_ne_u64_e64 s[18:19], v[17:18]
	s_cbranch_execz .LBB454_55
; %bb.54:
	v_lshlrev_b64 v[17:18], 3, v[17:18]
	s_delay_alu instid0(VALU_DEP_1) | instskip(NEXT) | instid1(VALU_DEP_2)
	v_add_co_u32 v17, vcc_lo, s16, v17
	v_add_co_ci_u32_e32 v18, vcc_lo, s17, v18, vcc_lo
	global_load_b64 v[17:18], v[17:18], off
	s_waitcnt vmcnt(0) lgkmcnt(7)
	v_cmp_le_u64_e32 vcc_lo, v[17:18], v[15:16]
	v_cndmask_b32_e64 v19, 0, 1, vcc_lo
.LBB454_55:
	s_or_b32 exec_lo, exec_lo, s0
	v_cmp_ne_u32_e32 vcc_lo, 1, v35
	s_waitcnt vmcnt(7) lgkmcnt(7)
	v_mov_b32_e32 v15, 0
	v_mov_b32_e32 v16, 0
	s_cbranch_vccnz .LBB454_59
; %bb.56:
	v_dual_mov_b32 v17, s18 :: v_dual_mov_b32 v18, s19
	s_mov_b32 s10, 0
	s_set_inst_prefetch_distance 0x1
	.p2align	6
.LBB454_57:                             ; =>This Inner Loop Header: Depth=1
	s_delay_alu instid0(VALU_DEP_1) | instskip(NEXT) | instid1(VALU_DEP_2)
	v_sub_co_u32 v20, vcc_lo, v17, v15
	v_sub_co_ci_u32_e32 v21, vcc_lo, v18, v16, vcc_lo
	s_delay_alu instid0(VALU_DEP_1) | instskip(SKIP_1) | instid1(VALU_DEP_2)
	v_lshrrev_b64 v[22:23], 1, v[20:21]
	v_lshrrev_b64 v[20:21], 6, v[20:21]
	v_add_co_u32 v22, vcc_lo, v22, v15
	s_delay_alu instid0(VALU_DEP_3) | instskip(NEXT) | instid1(VALU_DEP_2)
	v_add_co_ci_u32_e32 v23, vcc_lo, v23, v16, vcc_lo
	v_add_co_u32 v20, vcc_lo, v22, v20
	s_delay_alu instid0(VALU_DEP_2) | instskip(NEXT) | instid1(VALU_DEP_1)
	v_add_co_ci_u32_e32 v21, vcc_lo, v23, v21, vcc_lo
	v_lshlrev_b64 v[22:23], 3, v[20:21]
	s_delay_alu instid0(VALU_DEP_1) | instskip(NEXT) | instid1(VALU_DEP_2)
	v_add_co_u32 v22, vcc_lo, s16, v22
	v_add_co_ci_u32_e32 v23, vcc_lo, s17, v23, vcc_lo
	v_add_co_u32 v24, vcc_lo, v20, 1
	global_load_b64 v[22:23], v[22:23], off
	s_waitcnt vmcnt(0) lgkmcnt(6)
	v_cmp_lt_u64_e64 s0, v[22:23], v[13:14]
	v_add_co_ci_u32_e32 v22, vcc_lo, 0, v21, vcc_lo
	s_delay_alu instid0(VALU_DEP_2) | instskip(SKIP_1) | instid1(VALU_DEP_3)
	v_cndmask_b32_e64 v18, v21, v18, s0
	v_cndmask_b32_e64 v17, v20, v17, s0
	;; [unrolled: 1-line block ×4, first 2 shown]
	s_delay_alu instid0(VALU_DEP_1) | instskip(SKIP_1) | instid1(SALU_CYCLE_1)
	v_cmp_ge_u64_e32 vcc_lo, v[15:16], v[17:18]
	s_or_b32 s10, vcc_lo, s10
	s_and_not1_b32 exec_lo, exec_lo, s10
	s_cbranch_execnz .LBB454_57
; %bb.58:
	s_set_inst_prefetch_distance 0x2
	s_or_b32 exec_lo, exec_lo, s10
.LBB454_59:
	v_mov_b32_e32 v17, 0
	s_mov_b32 s0, exec_lo
	s_delay_alu instid0(VALU_DEP_2)
	v_cmpx_ne_u64_e64 s[18:19], v[15:16]
	s_cbranch_execz .LBB454_61
; %bb.60:
	v_lshlrev_b64 v[15:16], 3, v[15:16]
	s_delay_alu instid0(VALU_DEP_1) | instskip(NEXT) | instid1(VALU_DEP_2)
	v_add_co_u32 v15, vcc_lo, s16, v15
	v_add_co_ci_u32_e32 v16, vcc_lo, s17, v16, vcc_lo
	global_load_b64 v[15:16], v[15:16], off
	s_waitcnt vmcnt(0) lgkmcnt(6)
	v_cmp_le_u64_e32 vcc_lo, v[15:16], v[13:14]
	v_cndmask_b32_e64 v17, 0, 1, vcc_lo
.LBB454_61:
	s_or_b32 exec_lo, exec_lo, s0
	v_cmp_ne_u32_e32 vcc_lo, 1, v35
	s_waitcnt vmcnt(6) lgkmcnt(6)
	v_mov_b32_e32 v13, 0
	v_mov_b32_e32 v14, 0
	s_cbranch_vccnz .LBB454_65
; %bb.62:
	v_dual_mov_b32 v15, s18 :: v_dual_mov_b32 v16, s19
	s_mov_b32 s10, 0
	s_set_inst_prefetch_distance 0x1
	.p2align	6
.LBB454_63:                             ; =>This Inner Loop Header: Depth=1
	s_delay_alu instid0(VALU_DEP_1) | instskip(NEXT) | instid1(VALU_DEP_2)
	v_sub_co_u32 v20, vcc_lo, v15, v13
	v_sub_co_ci_u32_e32 v21, vcc_lo, v16, v14, vcc_lo
	s_delay_alu instid0(VALU_DEP_1) | instskip(SKIP_1) | instid1(VALU_DEP_2)
	v_lshrrev_b64 v[22:23], 1, v[20:21]
	v_lshrrev_b64 v[20:21], 6, v[20:21]
	v_add_co_u32 v18, vcc_lo, v22, v13
	s_delay_alu instid0(VALU_DEP_3) | instskip(NEXT) | instid1(VALU_DEP_2)
	v_add_co_ci_u32_e32 v22, vcc_lo, v23, v14, vcc_lo
	v_add_co_u32 v20, vcc_lo, v18, v20
	s_delay_alu instid0(VALU_DEP_2) | instskip(NEXT) | instid1(VALU_DEP_1)
	v_add_co_ci_u32_e32 v21, vcc_lo, v22, v21, vcc_lo
	v_lshlrev_b64 v[22:23], 3, v[20:21]
	s_delay_alu instid0(VALU_DEP_1) | instskip(NEXT) | instid1(VALU_DEP_2)
	v_add_co_u32 v22, vcc_lo, s16, v22
	v_add_co_ci_u32_e32 v23, vcc_lo, s17, v23, vcc_lo
	v_add_co_u32 v18, vcc_lo, v20, 1
	global_load_b64 v[22:23], v[22:23], off
	s_waitcnt vmcnt(0) lgkmcnt(5)
	v_cmp_lt_u64_e64 s0, v[22:23], v[11:12]
	v_add_co_ci_u32_e32 v22, vcc_lo, 0, v21, vcc_lo
	s_delay_alu instid0(VALU_DEP_2) | instskip(SKIP_1) | instid1(VALU_DEP_3)
	v_cndmask_b32_e64 v16, v21, v16, s0
	v_cndmask_b32_e64 v15, v20, v15, s0
	;; [unrolled: 1-line block ×4, first 2 shown]
	s_delay_alu instid0(VALU_DEP_1) | instskip(SKIP_1) | instid1(SALU_CYCLE_1)
	v_cmp_ge_u64_e32 vcc_lo, v[13:14], v[15:16]
	s_or_b32 s10, vcc_lo, s10
	s_and_not1_b32 exec_lo, exec_lo, s10
	s_cbranch_execnz .LBB454_63
; %bb.64:
	s_set_inst_prefetch_distance 0x2
	s_or_b32 exec_lo, exec_lo, s10
.LBB454_65:
	v_mov_b32_e32 v15, 0
	s_mov_b32 s0, exec_lo
	s_delay_alu instid0(VALU_DEP_2)
	v_cmpx_ne_u64_e64 s[18:19], v[13:14]
	s_cbranch_execz .LBB454_67
; %bb.66:
	v_lshlrev_b64 v[13:14], 3, v[13:14]
	s_delay_alu instid0(VALU_DEP_1) | instskip(NEXT) | instid1(VALU_DEP_2)
	v_add_co_u32 v13, vcc_lo, s16, v13
	v_add_co_ci_u32_e32 v14, vcc_lo, s17, v14, vcc_lo
	global_load_b64 v[13:14], v[13:14], off
	s_waitcnt vmcnt(0) lgkmcnt(5)
	v_cmp_le_u64_e32 vcc_lo, v[13:14], v[11:12]
	v_cndmask_b32_e64 v15, 0, 1, vcc_lo
.LBB454_67:
	s_or_b32 exec_lo, exec_lo, s0
	v_cmp_ne_u32_e32 vcc_lo, 1, v35
	s_waitcnt vmcnt(5) lgkmcnt(5)
	v_mov_b32_e32 v11, 0
	v_mov_b32_e32 v12, 0
	s_cbranch_vccnz .LBB454_71
; %bb.68:
	v_dual_mov_b32 v13, s18 :: v_dual_mov_b32 v14, s19
	s_mov_b32 s10, 0
	s_set_inst_prefetch_distance 0x1
	.p2align	6
.LBB454_69:                             ; =>This Inner Loop Header: Depth=1
	s_delay_alu instid0(VALU_DEP_1) | instskip(NEXT) | instid1(VALU_DEP_2)
	v_sub_co_u32 v20, vcc_lo, v13, v11
	v_sub_co_ci_u32_e32 v21, vcc_lo, v14, v12, vcc_lo
	s_delay_alu instid0(VALU_DEP_1) | instskip(SKIP_1) | instid1(VALU_DEP_2)
	v_lshrrev_b64 v[22:23], 1, v[20:21]
	v_lshrrev_b64 v[20:21], 6, v[20:21]
	v_add_co_u32 v16, vcc_lo, v22, v11
	s_delay_alu instid0(VALU_DEP_3) | instskip(NEXT) | instid1(VALU_DEP_2)
	v_add_co_ci_u32_e32 v18, vcc_lo, v23, v12, vcc_lo
	v_add_co_u32 v20, vcc_lo, v16, v20
	s_delay_alu instid0(VALU_DEP_2) | instskip(NEXT) | instid1(VALU_DEP_1)
	v_add_co_ci_u32_e32 v21, vcc_lo, v18, v21, vcc_lo
	v_lshlrev_b64 v[22:23], 3, v[20:21]
	s_delay_alu instid0(VALU_DEP_1) | instskip(NEXT) | instid1(VALU_DEP_2)
	v_add_co_u32 v22, vcc_lo, s16, v22
	v_add_co_ci_u32_e32 v23, vcc_lo, s17, v23, vcc_lo
	v_add_co_u32 v16, vcc_lo, v20, 1
	v_add_co_ci_u32_e32 v18, vcc_lo, 0, v21, vcc_lo
	global_load_b64 v[22:23], v[22:23], off
	s_waitcnt vmcnt(0) lgkmcnt(4)
	v_cmp_lt_u64_e64 s0, v[22:23], v[9:10]
	s_delay_alu instid0(VALU_DEP_1) | instskip(SKIP_3) | instid1(VALU_DEP_1)
	v_cndmask_b32_e64 v14, v21, v14, s0
	v_cndmask_b32_e64 v13, v20, v13, s0
	;; [unrolled: 1-line block ×4, first 2 shown]
	v_cmp_ge_u64_e32 vcc_lo, v[11:12], v[13:14]
	s_or_b32 s10, vcc_lo, s10
	s_delay_alu instid0(SALU_CYCLE_1)
	s_and_not1_b32 exec_lo, exec_lo, s10
	s_cbranch_execnz .LBB454_69
; %bb.70:
	s_set_inst_prefetch_distance 0x2
	s_or_b32 exec_lo, exec_lo, s10
.LBB454_71:
	v_mov_b32_e32 v13, 0
	s_mov_b32 s0, exec_lo
	s_delay_alu instid0(VALU_DEP_2)
	v_cmpx_ne_u64_e64 s[18:19], v[11:12]
	s_cbranch_execz .LBB454_73
; %bb.72:
	v_lshlrev_b64 v[11:12], 3, v[11:12]
	s_delay_alu instid0(VALU_DEP_1) | instskip(NEXT) | instid1(VALU_DEP_2)
	v_add_co_u32 v11, vcc_lo, s16, v11
	v_add_co_ci_u32_e32 v12, vcc_lo, s17, v12, vcc_lo
	global_load_b64 v[11:12], v[11:12], off
	s_waitcnt vmcnt(0) lgkmcnt(4)
	v_cmp_le_u64_e32 vcc_lo, v[11:12], v[9:10]
	v_cndmask_b32_e64 v13, 0, 1, vcc_lo
.LBB454_73:
	s_or_b32 exec_lo, exec_lo, s0
	v_cmp_ne_u32_e32 vcc_lo, 1, v35
	s_waitcnt vmcnt(4) lgkmcnt(4)
	v_mov_b32_e32 v9, 0
	v_mov_b32_e32 v10, 0
	s_cbranch_vccnz .LBB454_77
; %bb.74:
	v_dual_mov_b32 v11, s18 :: v_dual_mov_b32 v12, s19
	s_mov_b32 s10, 0
	s_set_inst_prefetch_distance 0x1
	.p2align	6
.LBB454_75:                             ; =>This Inner Loop Header: Depth=1
	s_delay_alu instid0(VALU_DEP_1) | instskip(NEXT) | instid1(VALU_DEP_2)
	v_sub_co_u32 v20, vcc_lo, v11, v9
	v_sub_co_ci_u32_e32 v21, vcc_lo, v12, v10, vcc_lo
	s_delay_alu instid0(VALU_DEP_1) | instskip(SKIP_1) | instid1(VALU_DEP_2)
	v_lshrrev_b64 v[22:23], 1, v[20:21]
	v_lshrrev_b64 v[20:21], 6, v[20:21]
	v_add_co_u32 v14, vcc_lo, v22, v9
	s_delay_alu instid0(VALU_DEP_3) | instskip(NEXT) | instid1(VALU_DEP_2)
	v_add_co_ci_u32_e32 v16, vcc_lo, v23, v10, vcc_lo
	v_add_co_u32 v20, vcc_lo, v14, v20
	s_delay_alu instid0(VALU_DEP_2) | instskip(NEXT) | instid1(VALU_DEP_1)
	v_add_co_ci_u32_e32 v21, vcc_lo, v16, v21, vcc_lo
	v_lshlrev_b64 v[22:23], 3, v[20:21]
	s_delay_alu instid0(VALU_DEP_1) | instskip(NEXT) | instid1(VALU_DEP_2)
	v_add_co_u32 v22, vcc_lo, s16, v22
	v_add_co_ci_u32_e32 v23, vcc_lo, s17, v23, vcc_lo
	v_add_co_u32 v14, vcc_lo, v20, 1
	v_add_co_ci_u32_e32 v16, vcc_lo, 0, v21, vcc_lo
	global_load_b64 v[22:23], v[22:23], off
	s_waitcnt vmcnt(0) lgkmcnt(3)
	v_cmp_lt_u64_e64 s0, v[22:23], v[7:8]
	s_delay_alu instid0(VALU_DEP_1) | instskip(SKIP_3) | instid1(VALU_DEP_1)
	v_cndmask_b32_e64 v12, v21, v12, s0
	v_cndmask_b32_e64 v11, v20, v11, s0
	v_cndmask_b32_e64 v10, v10, v16, s0
	v_cndmask_b32_e64 v9, v9, v14, s0
	v_cmp_ge_u64_e32 vcc_lo, v[9:10], v[11:12]
	s_or_b32 s10, vcc_lo, s10
	s_delay_alu instid0(SALU_CYCLE_1)
	s_and_not1_b32 exec_lo, exec_lo, s10
	s_cbranch_execnz .LBB454_75
; %bb.76:
	s_set_inst_prefetch_distance 0x2
	s_or_b32 exec_lo, exec_lo, s10
.LBB454_77:
	v_mov_b32_e32 v11, 0
	s_mov_b32 s0, exec_lo
	s_delay_alu instid0(VALU_DEP_2)
	v_cmpx_ne_u64_e64 s[18:19], v[9:10]
	s_cbranch_execz .LBB454_79
; %bb.78:
	v_lshlrev_b64 v[9:10], 3, v[9:10]
	s_delay_alu instid0(VALU_DEP_1) | instskip(NEXT) | instid1(VALU_DEP_2)
	v_add_co_u32 v9, vcc_lo, s16, v9
	v_add_co_ci_u32_e32 v10, vcc_lo, s17, v10, vcc_lo
	global_load_b64 v[9:10], v[9:10], off
	s_waitcnt vmcnt(0) lgkmcnt(3)
	v_cmp_le_u64_e32 vcc_lo, v[9:10], v[7:8]
	v_cndmask_b32_e64 v11, 0, 1, vcc_lo
.LBB454_79:
	s_or_b32 exec_lo, exec_lo, s0
	v_cmp_ne_u32_e32 vcc_lo, 1, v35
	s_waitcnt vmcnt(3) lgkmcnt(3)
	v_mov_b32_e32 v7, 0
	v_mov_b32_e32 v8, 0
	s_cbranch_vccnz .LBB454_83
; %bb.80:
	v_dual_mov_b32 v9, s18 :: v_dual_mov_b32 v10, s19
	s_mov_b32 s10, 0
	s_set_inst_prefetch_distance 0x1
	.p2align	6
.LBB454_81:                             ; =>This Inner Loop Header: Depth=1
	s_delay_alu instid0(VALU_DEP_1) | instskip(NEXT) | instid1(VALU_DEP_2)
	v_sub_co_u32 v20, vcc_lo, v9, v7
	v_sub_co_ci_u32_e32 v21, vcc_lo, v10, v8, vcc_lo
	s_delay_alu instid0(VALU_DEP_1) | instskip(SKIP_1) | instid1(VALU_DEP_2)
	v_lshrrev_b64 v[22:23], 1, v[20:21]
	v_lshrrev_b64 v[20:21], 6, v[20:21]
	v_add_co_u32 v12, vcc_lo, v22, v7
	s_delay_alu instid0(VALU_DEP_3) | instskip(NEXT) | instid1(VALU_DEP_2)
	v_add_co_ci_u32_e32 v14, vcc_lo, v23, v8, vcc_lo
	v_add_co_u32 v20, vcc_lo, v12, v20
	s_delay_alu instid0(VALU_DEP_2) | instskip(NEXT) | instid1(VALU_DEP_1)
	v_add_co_ci_u32_e32 v21, vcc_lo, v14, v21, vcc_lo
	v_lshlrev_b64 v[22:23], 3, v[20:21]
	s_delay_alu instid0(VALU_DEP_1) | instskip(NEXT) | instid1(VALU_DEP_2)
	v_add_co_u32 v22, vcc_lo, s16, v22
	v_add_co_ci_u32_e32 v23, vcc_lo, s17, v23, vcc_lo
	v_add_co_u32 v12, vcc_lo, v20, 1
	v_add_co_ci_u32_e32 v14, vcc_lo, 0, v21, vcc_lo
	global_load_b64 v[22:23], v[22:23], off
	s_waitcnt vmcnt(0) lgkmcnt(2)
	v_cmp_lt_u64_e64 s0, v[22:23], v[5:6]
	s_delay_alu instid0(VALU_DEP_1) | instskip(SKIP_3) | instid1(VALU_DEP_1)
	v_cndmask_b32_e64 v10, v21, v10, s0
	v_cndmask_b32_e64 v9, v20, v9, s0
	;; [unrolled: 1-line block ×4, first 2 shown]
	v_cmp_ge_u64_e32 vcc_lo, v[7:8], v[9:10]
	s_or_b32 s10, vcc_lo, s10
	s_delay_alu instid0(SALU_CYCLE_1)
	s_and_not1_b32 exec_lo, exec_lo, s10
	s_cbranch_execnz .LBB454_81
; %bb.82:
	s_set_inst_prefetch_distance 0x2
	s_or_b32 exec_lo, exec_lo, s10
.LBB454_83:
	v_mov_b32_e32 v9, 0
	s_mov_b32 s0, exec_lo
	s_delay_alu instid0(VALU_DEP_2)
	v_cmpx_ne_u64_e64 s[18:19], v[7:8]
	s_cbranch_execz .LBB454_85
; %bb.84:
	v_lshlrev_b64 v[7:8], 3, v[7:8]
	s_delay_alu instid0(VALU_DEP_1) | instskip(NEXT) | instid1(VALU_DEP_2)
	v_add_co_u32 v7, vcc_lo, s16, v7
	v_add_co_ci_u32_e32 v8, vcc_lo, s17, v8, vcc_lo
	global_load_b64 v[7:8], v[7:8], off
	s_waitcnt vmcnt(0) lgkmcnt(2)
	v_cmp_le_u64_e32 vcc_lo, v[7:8], v[5:6]
	v_cndmask_b32_e64 v9, 0, 1, vcc_lo
.LBB454_85:
	s_or_b32 exec_lo, exec_lo, s0
	v_cmp_ne_u32_e32 vcc_lo, 1, v35
	s_waitcnt vmcnt(2) lgkmcnt(2)
	v_mov_b32_e32 v5, 0
	v_mov_b32_e32 v6, 0
	s_cbranch_vccnz .LBB454_89
; %bb.86:
	v_dual_mov_b32 v7, s18 :: v_dual_mov_b32 v8, s19
	s_mov_b32 s10, 0
	s_set_inst_prefetch_distance 0x1
	.p2align	6
.LBB454_87:                             ; =>This Inner Loop Header: Depth=1
	s_delay_alu instid0(VALU_DEP_1) | instskip(NEXT) | instid1(VALU_DEP_2)
	v_sub_co_u32 v20, vcc_lo, v7, v5
	v_sub_co_ci_u32_e32 v21, vcc_lo, v8, v6, vcc_lo
	s_delay_alu instid0(VALU_DEP_1) | instskip(SKIP_1) | instid1(VALU_DEP_2)
	v_lshrrev_b64 v[22:23], 1, v[20:21]
	v_lshrrev_b64 v[20:21], 6, v[20:21]
	v_add_co_u32 v10, vcc_lo, v22, v5
	s_delay_alu instid0(VALU_DEP_3) | instskip(NEXT) | instid1(VALU_DEP_2)
	v_add_co_ci_u32_e32 v12, vcc_lo, v23, v6, vcc_lo
	v_add_co_u32 v20, vcc_lo, v10, v20
	s_delay_alu instid0(VALU_DEP_2) | instskip(NEXT) | instid1(VALU_DEP_1)
	v_add_co_ci_u32_e32 v21, vcc_lo, v12, v21, vcc_lo
	v_lshlrev_b64 v[22:23], 3, v[20:21]
	s_delay_alu instid0(VALU_DEP_1) | instskip(NEXT) | instid1(VALU_DEP_2)
	v_add_co_u32 v22, vcc_lo, s16, v22
	v_add_co_ci_u32_e32 v23, vcc_lo, s17, v23, vcc_lo
	v_add_co_u32 v10, vcc_lo, v20, 1
	v_add_co_ci_u32_e32 v12, vcc_lo, 0, v21, vcc_lo
	global_load_b64 v[22:23], v[22:23], off
	s_waitcnt vmcnt(0) lgkmcnt(1)
	v_cmp_lt_u64_e64 s0, v[22:23], v[3:4]
	s_delay_alu instid0(VALU_DEP_1) | instskip(SKIP_3) | instid1(VALU_DEP_1)
	v_cndmask_b32_e64 v8, v21, v8, s0
	v_cndmask_b32_e64 v7, v20, v7, s0
	;; [unrolled: 1-line block ×4, first 2 shown]
	v_cmp_ge_u64_e32 vcc_lo, v[5:6], v[7:8]
	s_or_b32 s10, vcc_lo, s10
	s_delay_alu instid0(SALU_CYCLE_1)
	s_and_not1_b32 exec_lo, exec_lo, s10
	s_cbranch_execnz .LBB454_87
; %bb.88:
	s_set_inst_prefetch_distance 0x2
	s_or_b32 exec_lo, exec_lo, s10
.LBB454_89:
	v_mov_b32_e32 v7, 0
	s_mov_b32 s0, exec_lo
	s_delay_alu instid0(VALU_DEP_2)
	v_cmpx_ne_u64_e64 s[18:19], v[5:6]
	s_cbranch_execz .LBB454_91
; %bb.90:
	v_lshlrev_b64 v[5:6], 3, v[5:6]
	s_delay_alu instid0(VALU_DEP_1) | instskip(NEXT) | instid1(VALU_DEP_2)
	v_add_co_u32 v5, vcc_lo, s16, v5
	v_add_co_ci_u32_e32 v6, vcc_lo, s17, v6, vcc_lo
	global_load_b64 v[5:6], v[5:6], off
	s_waitcnt vmcnt(0) lgkmcnt(1)
	v_cmp_le_u64_e32 vcc_lo, v[5:6], v[3:4]
	v_cndmask_b32_e64 v7, 0, 1, vcc_lo
.LBB454_91:
	s_or_b32 exec_lo, exec_lo, s0
	v_cmp_ne_u32_e32 vcc_lo, 1, v35
	s_waitcnt vmcnt(1) lgkmcnt(1)
	v_mov_b32_e32 v3, 0
	v_mov_b32_e32 v4, 0
	s_cbranch_vccnz .LBB454_95
; %bb.92:
	v_dual_mov_b32 v5, s18 :: v_dual_mov_b32 v6, s19
	s_mov_b32 s10, 0
	s_set_inst_prefetch_distance 0x1
	.p2align	6
.LBB454_93:                             ; =>This Inner Loop Header: Depth=1
	s_delay_alu instid0(VALU_DEP_1) | instskip(NEXT) | instid1(VALU_DEP_2)
	v_sub_co_u32 v20, vcc_lo, v5, v3
	v_sub_co_ci_u32_e32 v21, vcc_lo, v6, v4, vcc_lo
	s_delay_alu instid0(VALU_DEP_1) | instskip(SKIP_1) | instid1(VALU_DEP_2)
	v_lshrrev_b64 v[22:23], 1, v[20:21]
	v_lshrrev_b64 v[20:21], 6, v[20:21]
	v_add_co_u32 v8, vcc_lo, v22, v3
	s_delay_alu instid0(VALU_DEP_3) | instskip(NEXT) | instid1(VALU_DEP_2)
	v_add_co_ci_u32_e32 v10, vcc_lo, v23, v4, vcc_lo
	v_add_co_u32 v20, vcc_lo, v8, v20
	s_delay_alu instid0(VALU_DEP_2) | instskip(NEXT) | instid1(VALU_DEP_1)
	v_add_co_ci_u32_e32 v21, vcc_lo, v10, v21, vcc_lo
	v_lshlrev_b64 v[22:23], 3, v[20:21]
	s_delay_alu instid0(VALU_DEP_1) | instskip(NEXT) | instid1(VALU_DEP_2)
	v_add_co_u32 v22, vcc_lo, s16, v22
	v_add_co_ci_u32_e32 v23, vcc_lo, s17, v23, vcc_lo
	v_add_co_u32 v8, vcc_lo, v20, 1
	v_add_co_ci_u32_e32 v10, vcc_lo, 0, v21, vcc_lo
	global_load_b64 v[22:23], v[22:23], off
	s_waitcnt vmcnt(0) lgkmcnt(0)
	v_cmp_lt_u64_e64 s0, v[22:23], v[1:2]
	s_delay_alu instid0(VALU_DEP_1) | instskip(SKIP_3) | instid1(VALU_DEP_1)
	v_cndmask_b32_e64 v6, v21, v6, s0
	v_cndmask_b32_e64 v5, v20, v5, s0
	;; [unrolled: 1-line block ×4, first 2 shown]
	v_cmp_ge_u64_e32 vcc_lo, v[3:4], v[5:6]
	s_or_b32 s10, vcc_lo, s10
	s_delay_alu instid0(SALU_CYCLE_1)
	s_and_not1_b32 exec_lo, exec_lo, s10
	s_cbranch_execnz .LBB454_93
; %bb.94:
	s_set_inst_prefetch_distance 0x2
	s_or_b32 exec_lo, exec_lo, s10
.LBB454_95:
	v_mov_b32_e32 v5, 0
	s_mov_b32 s0, exec_lo
	s_delay_alu instid0(VALU_DEP_2)
	v_cmpx_ne_u64_e64 s[18:19], v[3:4]
	s_cbranch_execz .LBB454_97
; %bb.96:
	v_lshlrev_b64 v[3:4], 3, v[3:4]
	s_delay_alu instid0(VALU_DEP_1) | instskip(NEXT) | instid1(VALU_DEP_2)
	v_add_co_u32 v3, vcc_lo, s16, v3
	v_add_co_ci_u32_e32 v4, vcc_lo, s17, v4, vcc_lo
	global_load_b64 v[3:4], v[3:4], off
	s_waitcnt vmcnt(0) lgkmcnt(0)
	v_cmp_le_u64_e32 vcc_lo, v[3:4], v[1:2]
	v_cndmask_b32_e64 v5, 0, 1, vcc_lo
.LBB454_97:
	s_or_b32 exec_lo, exec_lo, s0
	s_waitcnt vmcnt(0) lgkmcnt(0)
	v_lshlrev_b32_e32 v1, 2, v0
	v_cndmask_b32_e64 v8, 0, 1, s7
	v_cndmask_b32_e64 v10, 0, 1, s6
	s_lshl_b64 s[6:7], s[20:21], 2
	v_cndmask_b32_e64 v3, 0, 1, s2
	s_add_u32 s0, s22, s6
	s_addc_u32 s2, s23, s7
	v_add_co_u32 v1, s0, s0, v1
	s_delay_alu instid0(VALU_DEP_1)
	v_add_co_ci_u32_e64 v2, null, s2, 0, s0
	v_cndmask_b32_e64 v4, 0, 1, s3
	v_cndmask_b32_e64 v14, 0, 1, s4
	s_clause 0x2
	flat_store_b32 v[1:2], v3 offset:1024
	flat_store_b32 v[1:2], v4 offset:2048
	;; [unrolled: 1-line block ×3, first 2 shown]
	v_add_co_u32 v3, vcc_lo, 0x1000, v1
	v_add_co_ci_u32_e32 v4, vcc_lo, 0, v2, vcc_lo
	v_add_co_u32 v20, vcc_lo, 0x2000, v1
	v_add_co_ci_u32_e32 v21, vcc_lo, 0, v2, vcc_lo
	v_add_co_u32 v22, vcc_lo, 0x3000, v1
	v_cndmask_b32_e64 v12, 0, 1, s5
	v_cndmask_b32_e64 v16, 0, 1, s1
	v_add_co_ci_u32_e32 v23, vcc_lo, 0, v2, vcc_lo
	v_cndmask_b32_e64 v6, 0, 1, s9
	s_clause 0x9
	flat_store_b32 v[3:4], v12
	flat_store_b32 v[3:4], v10 offset:1024
	flat_store_b32 v[3:4], v8 offset:2048
	;; [unrolled: 1-line block ×3, first 2 shown]
	flat_store_b32 v[20:21], v19
	flat_store_b32 v[20:21], v17 offset:1024
	flat_store_b32 v[20:21], v15 offset:2048
	;; [unrolled: 1-line block ×3, first 2 shown]
	flat_store_b32 v[22:23], v11
	flat_store_b32 v[22:23], v9 offset:1024
	s_mov_b32 s24, -1
	s_clause 0x1
	flat_store_b32 v[1:2], v16
	flat_store_b32 v[22:23], v7 offset:2048
	s_branch .LBB454_276
.LBB454_98:
	s_mov_b32 s24, s21
                                        ; implicit-def: $vgpr5
                                        ; implicit-def: $vgpr1_vgpr2
	s_and_b32 vcc_lo, exec_lo, s0
	s_cbranch_vccz .LBB454_276
; %bb.99:
	s_sub_i32 s15, s8, s20
                                        ; implicit-def: $vgpr31_vgpr32
	s_delay_alu instid0(SALU_CYCLE_1) | instskip(NEXT) | instid1(VALU_DEP_1)
	v_cmp_gt_u32_e64 s0, s15, v0
	s_and_saveexec_b32 s1, s0
	s_cbranch_execz .LBB454_101
; %bb.100:
	v_lshlrev_b32_e32 v1, 3, v0
	s_delay_alu instid0(VALU_DEP_1) | instskip(NEXT) | instid1(VALU_DEP_1)
	v_add_co_u32 v1, s2, s25, v1
	v_add_co_ci_u32_e64 v2, null, s26, 0, s2
	flat_load_b64 v[31:32], v[1:2]
.LBB454_101:
	s_or_b32 exec_lo, exec_lo, s1
	v_or_b32_e32 v1, 0x100, v0
                                        ; implicit-def: $vgpr29_vgpr30
	s_delay_alu instid0(VALU_DEP_1) | instskip(NEXT) | instid1(VALU_DEP_1)
	v_cmp_gt_u32_e64 s1, s15, v1
	s_and_saveexec_b32 s2, s1
	s_cbranch_execz .LBB454_103
; %bb.102:
	v_lshlrev_b32_e32 v1, 3, v0
	s_delay_alu instid0(VALU_DEP_1) | instskip(NEXT) | instid1(VALU_DEP_1)
	v_add_co_u32 v1, s3, s25, v1
	v_add_co_ci_u32_e64 v2, null, s26, 0, s3
	flat_load_b64 v[29:30], v[1:2] offset:2048
.LBB454_103:
	s_or_b32 exec_lo, exec_lo, s2
	v_or_b32_e32 v1, 0x200, v0
                                        ; implicit-def: $vgpr27_vgpr28
	s_delay_alu instid0(VALU_DEP_1) | instskip(NEXT) | instid1(VALU_DEP_1)
	v_cmp_gt_u32_e64 s2, s15, v1
	s_and_saveexec_b32 s3, s2
	s_cbranch_execz .LBB454_105
; %bb.104:
	v_lshlrev_b32_e32 v1, 3, v1
	s_delay_alu instid0(VALU_DEP_1) | instskip(NEXT) | instid1(VALU_DEP_1)
	v_add_co_u32 v1, s4, s25, v1
	v_add_co_ci_u32_e64 v2, null, s26, 0, s4
	flat_load_b64 v[27:28], v[1:2]
.LBB454_105:
	s_or_b32 exec_lo, exec_lo, s3
	v_or_b32_e32 v1, 0x300, v0
                                        ; implicit-def: $vgpr25_vgpr26
	s_delay_alu instid0(VALU_DEP_1) | instskip(NEXT) | instid1(VALU_DEP_1)
	v_cmp_gt_u32_e64 s3, s15, v1
	s_and_saveexec_b32 s4, s3
	s_cbranch_execz .LBB454_107
; %bb.106:
	v_lshlrev_b32_e32 v1, 3, v1
	s_delay_alu instid0(VALU_DEP_1) | instskip(NEXT) | instid1(VALU_DEP_1)
	v_add_co_u32 v1, s5, s25, v1
	v_add_co_ci_u32_e64 v2, null, s26, 0, s5
	flat_load_b64 v[25:26], v[1:2]
.LBB454_107:
	s_or_b32 exec_lo, exec_lo, s4
	v_or_b32_e32 v1, 0x400, v0
                                        ; implicit-def: $vgpr23_vgpr24
	s_delay_alu instid0(VALU_DEP_1) | instskip(NEXT) | instid1(VALU_DEP_1)
	v_cmp_gt_u32_e64 s4, s15, v1
	s_and_saveexec_b32 s5, s4
	s_cbranch_execz .LBB454_109
; %bb.108:
	v_lshlrev_b32_e32 v1, 3, v1
	s_delay_alu instid0(VALU_DEP_1) | instskip(NEXT) | instid1(VALU_DEP_1)
	v_add_co_u32 v1, s6, s25, v1
	v_add_co_ci_u32_e64 v2, null, s26, 0, s6
	flat_load_b64 v[23:24], v[1:2]
.LBB454_109:
	s_or_b32 exec_lo, exec_lo, s5
	v_or_b32_e32 v1, 0x500, v0
                                        ; implicit-def: $vgpr21_vgpr22
	s_delay_alu instid0(VALU_DEP_1) | instskip(NEXT) | instid1(VALU_DEP_1)
	v_cmp_gt_u32_e64 s5, s15, v1
	s_and_saveexec_b32 s6, s5
	s_cbranch_execz .LBB454_111
; %bb.110:
	v_lshlrev_b32_e32 v1, 3, v1
	s_delay_alu instid0(VALU_DEP_1) | instskip(NEXT) | instid1(VALU_DEP_1)
	v_add_co_u32 v1, s7, s25, v1
	v_add_co_ci_u32_e64 v2, null, s26, 0, s7
	flat_load_b64 v[21:22], v[1:2]
.LBB454_111:
	s_or_b32 exec_lo, exec_lo, s6
	v_or_b32_e32 v1, 0x600, v0
                                        ; implicit-def: $vgpr19_vgpr20
	s_delay_alu instid0(VALU_DEP_1) | instskip(NEXT) | instid1(VALU_DEP_1)
	v_cmp_gt_u32_e64 s6, s15, v1
	s_and_saveexec_b32 s7, s6
	s_cbranch_execz .LBB454_113
; %bb.112:
	v_lshlrev_b32_e32 v1, 3, v1
	s_delay_alu instid0(VALU_DEP_1) | instskip(NEXT) | instid1(VALU_DEP_1)
	v_add_co_u32 v1, s8, s25, v1
	v_add_co_ci_u32_e64 v2, null, s26, 0, s8
	flat_load_b64 v[19:20], v[1:2]
.LBB454_113:
	s_or_b32 exec_lo, exec_lo, s7
	v_or_b32_e32 v1, 0x700, v0
                                        ; implicit-def: $vgpr17_vgpr18
	s_delay_alu instid0(VALU_DEP_1) | instskip(NEXT) | instid1(VALU_DEP_1)
	v_cmp_gt_u32_e64 s7, s15, v1
	s_and_saveexec_b32 s8, s7
	s_cbranch_execz .LBB454_115
; %bb.114:
	v_lshlrev_b32_e32 v1, 3, v1
	s_delay_alu instid0(VALU_DEP_1) | instskip(NEXT) | instid1(VALU_DEP_1)
	v_add_co_u32 v1, s9, s25, v1
	v_add_co_ci_u32_e64 v2, null, s26, 0, s9
	flat_load_b64 v[17:18], v[1:2]
.LBB454_115:
	s_or_b32 exec_lo, exec_lo, s8
	v_or_b32_e32 v1, 0x800, v0
                                        ; implicit-def: $vgpr15_vgpr16
	s_delay_alu instid0(VALU_DEP_1) | instskip(NEXT) | instid1(VALU_DEP_1)
	v_cmp_gt_u32_e64 s8, s15, v1
	s_and_saveexec_b32 s9, s8
	s_cbranch_execz .LBB454_117
; %bb.116:
	v_lshlrev_b32_e32 v1, 3, v1
	s_delay_alu instid0(VALU_DEP_1) | instskip(NEXT) | instid1(VALU_DEP_1)
	v_add_co_u32 v1, s10, s25, v1
	v_add_co_ci_u32_e64 v2, null, s26, 0, s10
	flat_load_b64 v[15:16], v[1:2]
.LBB454_117:
	s_or_b32 exec_lo, exec_lo, s9
	v_or_b32_e32 v1, 0x900, v0
                                        ; implicit-def: $vgpr13_vgpr14
	s_delay_alu instid0(VALU_DEP_1) | instskip(NEXT) | instid1(VALU_DEP_1)
	v_cmp_gt_u32_e64 s9, s15, v1
	s_and_saveexec_b32 s10, s9
	s_cbranch_execz .LBB454_119
; %bb.118:
	v_lshlrev_b32_e32 v1, 3, v1
	s_delay_alu instid0(VALU_DEP_1) | instskip(NEXT) | instid1(VALU_DEP_1)
	v_add_co_u32 v1, s11, s25, v1
	v_add_co_ci_u32_e64 v2, null, s26, 0, s11
	flat_load_b64 v[13:14], v[1:2]
.LBB454_119:
	s_or_b32 exec_lo, exec_lo, s10
	v_or_b32_e32 v1, 0xa00, v0
                                        ; implicit-def: $vgpr11_vgpr12
	s_delay_alu instid0(VALU_DEP_1) | instskip(NEXT) | instid1(VALU_DEP_1)
	v_cmp_gt_u32_e64 s10, s15, v1
	s_and_saveexec_b32 s11, s10
	s_cbranch_execz .LBB454_121
; %bb.120:
	v_lshlrev_b32_e32 v1, 3, v1
	s_delay_alu instid0(VALU_DEP_1) | instskip(NEXT) | instid1(VALU_DEP_1)
	v_add_co_u32 v1, s12, s25, v1
	v_add_co_ci_u32_e64 v2, null, s26, 0, s12
	flat_load_b64 v[11:12], v[1:2]
.LBB454_121:
	s_or_b32 exec_lo, exec_lo, s11
	v_or_b32_e32 v1, 0xb00, v0
                                        ; implicit-def: $vgpr9_vgpr10
	s_delay_alu instid0(VALU_DEP_1) | instskip(NEXT) | instid1(VALU_DEP_1)
	v_cmp_gt_u32_e64 s11, s15, v1
	s_and_saveexec_b32 s12, s11
	s_cbranch_execz .LBB454_123
; %bb.122:
	v_lshlrev_b32_e32 v1, 3, v1
	s_delay_alu instid0(VALU_DEP_1) | instskip(NEXT) | instid1(VALU_DEP_1)
	v_add_co_u32 v1, s13, s25, v1
	v_add_co_ci_u32_e64 v2, null, s26, 0, s13
	flat_load_b64 v[9:10], v[1:2]
.LBB454_123:
	s_or_b32 exec_lo, exec_lo, s12
	v_or_b32_e32 v1, 0xc00, v0
                                        ; implicit-def: $vgpr7_vgpr8
	s_delay_alu instid0(VALU_DEP_1) | instskip(NEXT) | instid1(VALU_DEP_1)
	v_cmp_gt_u32_e64 s12, s15, v1
	s_and_saveexec_b32 s13, s12
	s_cbranch_execz .LBB454_125
; %bb.124:
	v_lshlrev_b32_e32 v1, 3, v1
	s_delay_alu instid0(VALU_DEP_1) | instskip(NEXT) | instid1(VALU_DEP_1)
	v_add_co_u32 v1, s14, s25, v1
	v_add_co_ci_u32_e64 v2, null, s26, 0, s14
	flat_load_b64 v[7:8], v[1:2]
.LBB454_125:
	s_or_b32 exec_lo, exec_lo, s13
	v_or_b32_e32 v1, 0xd00, v0
                                        ; implicit-def: $vgpr5_vgpr6
	s_delay_alu instid0(VALU_DEP_1) | instskip(NEXT) | instid1(VALU_DEP_1)
	v_cmp_gt_u32_e64 s13, s15, v1
	s_and_saveexec_b32 s14, s13
	s_cbranch_execz .LBB454_127
; %bb.126:
	v_lshlrev_b32_e32 v1, 3, v1
	s_delay_alu instid0(VALU_DEP_1) | instskip(NEXT) | instid1(VALU_DEP_1)
	v_add_co_u32 v1, s24, s25, v1
	v_add_co_ci_u32_e64 v2, null, s26, 0, s24
	flat_load_b64 v[5:6], v[1:2]
.LBB454_127:
	s_or_b32 exec_lo, exec_lo, s14
	v_or_b32_e32 v1, 0xe00, v0
                                        ; implicit-def: $vgpr3_vgpr4
	s_delay_alu instid0(VALU_DEP_1) | instskip(NEXT) | instid1(VALU_DEP_1)
	v_cmp_gt_u32_e64 s14, s15, v1
	s_and_saveexec_b32 s24, s14
	s_cbranch_execz .LBB454_129
; %bb.128:
	v_lshlrev_b32_e32 v1, 3, v1
	s_delay_alu instid0(VALU_DEP_1) | instskip(NEXT) | instid1(VALU_DEP_1)
	v_add_co_u32 v1, s27, s25, v1
	v_add_co_ci_u32_e64 v2, null, s26, 0, s27
	flat_load_b64 v[3:4], v[1:2]
.LBB454_129:
	s_or_b32 exec_lo, exec_lo, s24
	v_or_b32_e32 v33, 0xf00, v0
                                        ; implicit-def: $vgpr1_vgpr2
	s_delay_alu instid0(VALU_DEP_1) | instskip(NEXT) | instid1(VALU_DEP_1)
	v_cmp_gt_u32_e64 s24, s15, v33
	s_and_saveexec_b32 s15, s24
	s_cbranch_execz .LBB454_131
; %bb.130:
	v_lshlrev_b32_e32 v1, 3, v33
	s_delay_alu instid0(VALU_DEP_1) | instskip(NEXT) | instid1(VALU_DEP_1)
	v_add_co_u32 v1, s25, s25, v1
	v_add_co_ci_u32_e64 v2, null, s26, 0, s25
	flat_load_b64 v[1:2], v[1:2]
.LBB454_131:
	s_or_b32 exec_lo, exec_lo, s15
	s_cmp_lg_u64 s[18:19], 0
                                        ; implicit-def: $vgpr35
	s_cselect_b32 s25, -1, 0
	s_and_saveexec_b32 s26, s0
	s_cbranch_execnz .LBB454_147
; %bb.132:
	s_or_b32 exec_lo, exec_lo, s26
                                        ; implicit-def: $vgpr33
	s_and_saveexec_b32 s26, s1
	s_cbranch_execnz .LBB454_154
.LBB454_133:
	s_or_b32 exec_lo, exec_lo, s26
                                        ; implicit-def: $vgpr31
	s_and_saveexec_b32 s26, s2
	s_cbranch_execnz .LBB454_161
.LBB454_134:
	s_or_b32 exec_lo, exec_lo, s26
                                        ; implicit-def: $vgpr29
	s_and_saveexec_b32 s26, s3
	s_cbranch_execnz .LBB454_168
.LBB454_135:
	s_or_b32 exec_lo, exec_lo, s26
                                        ; implicit-def: $vgpr27
	s_and_saveexec_b32 s26, s4
	s_cbranch_execnz .LBB454_175
.LBB454_136:
	s_or_b32 exec_lo, exec_lo, s26
                                        ; implicit-def: $vgpr25
	s_and_saveexec_b32 s26, s5
	s_cbranch_execnz .LBB454_182
.LBB454_137:
	s_or_b32 exec_lo, exec_lo, s26
                                        ; implicit-def: $vgpr23
	s_and_saveexec_b32 s26, s6
	s_cbranch_execnz .LBB454_189
.LBB454_138:
	s_or_b32 exec_lo, exec_lo, s26
                                        ; implicit-def: $vgpr21
	s_and_saveexec_b32 s26, s7
	s_cbranch_execnz .LBB454_196
.LBB454_139:
	s_or_b32 exec_lo, exec_lo, s26
                                        ; implicit-def: $vgpr19
	s_and_saveexec_b32 s26, s8
	s_cbranch_execnz .LBB454_203
.LBB454_140:
	s_or_b32 exec_lo, exec_lo, s26
                                        ; implicit-def: $vgpr17
	s_and_saveexec_b32 s26, s9
	s_cbranch_execnz .LBB454_210
.LBB454_141:
	s_or_b32 exec_lo, exec_lo, s26
                                        ; implicit-def: $vgpr15
	s_and_saveexec_b32 s26, s10
	s_cbranch_execnz .LBB454_217
.LBB454_142:
	s_or_b32 exec_lo, exec_lo, s26
                                        ; implicit-def: $vgpr13
	s_and_saveexec_b32 s26, s11
	s_cbranch_execnz .LBB454_224
.LBB454_143:
	s_or_b32 exec_lo, exec_lo, s26
                                        ; implicit-def: $vgpr11
	s_and_saveexec_b32 s26, s12
	s_cbranch_execnz .LBB454_231
.LBB454_144:
	s_or_b32 exec_lo, exec_lo, s26
                                        ; implicit-def: $vgpr9
	s_and_saveexec_b32 s26, s13
	s_cbranch_execnz .LBB454_238
.LBB454_145:
	s_or_b32 exec_lo, exec_lo, s26
                                        ; implicit-def: $vgpr7
	s_and_saveexec_b32 s26, s14
	s_cbranch_execnz .LBB454_245
.LBB454_146:
	s_or_b32 exec_lo, exec_lo, s26
                                        ; implicit-def: $vgpr5
	s_and_saveexec_b32 s26, s24
	s_cbranch_execnz .LBB454_252
	s_branch .LBB454_259
.LBB454_147:
	v_mov_b32_e32 v33, 0
	v_mov_b32_e32 v34, 0
	s_and_not1_b32 vcc_lo, exec_lo, s25
	s_cbranch_vccnz .LBB454_151
; %bb.148:
	v_dual_mov_b32 v36, s19 :: v_dual_mov_b32 v35, s18
	s_mov_b32 s27, 0
	s_set_inst_prefetch_distance 0x1
	.p2align	6
.LBB454_149:                            ; =>This Inner Loop Header: Depth=1
	s_delay_alu instid0(VALU_DEP_1) | instskip(NEXT) | instid1(VALU_DEP_2)
	v_sub_co_u32 v37, vcc_lo, v35, v33
	v_sub_co_ci_u32_e32 v38, vcc_lo, v36, v34, vcc_lo
	s_delay_alu instid0(VALU_DEP_1) | instskip(SKIP_1) | instid1(VALU_DEP_2)
	v_lshrrev_b64 v[39:40], 1, v[37:38]
	v_lshrrev_b64 v[37:38], 6, v[37:38]
	v_add_co_u32 v39, vcc_lo, v39, v33
	s_delay_alu instid0(VALU_DEP_3) | instskip(NEXT) | instid1(VALU_DEP_2)
	v_add_co_ci_u32_e32 v40, vcc_lo, v40, v34, vcc_lo
	v_add_co_u32 v37, vcc_lo, v39, v37
	s_delay_alu instid0(VALU_DEP_2) | instskip(NEXT) | instid1(VALU_DEP_1)
	v_add_co_ci_u32_e32 v38, vcc_lo, v40, v38, vcc_lo
	v_lshlrev_b64 v[39:40], 3, v[37:38]
	s_delay_alu instid0(VALU_DEP_1) | instskip(NEXT) | instid1(VALU_DEP_2)
	v_add_co_u32 v39, vcc_lo, s16, v39
	v_add_co_ci_u32_e32 v40, vcc_lo, s17, v40, vcc_lo
	v_add_co_u32 v41, vcc_lo, v37, 1
	global_load_b64 v[39:40], v[39:40], off
	s_waitcnt vmcnt(0) lgkmcnt(0)
	v_cmp_lt_u64_e64 s15, v[39:40], v[31:32]
	v_add_co_ci_u32_e32 v39, vcc_lo, 0, v38, vcc_lo
	s_delay_alu instid0(VALU_DEP_2) | instskip(SKIP_1) | instid1(VALU_DEP_3)
	v_cndmask_b32_e64 v36, v38, v36, s15
	v_cndmask_b32_e64 v35, v37, v35, s15
	;; [unrolled: 1-line block ×4, first 2 shown]
	s_delay_alu instid0(VALU_DEP_1) | instskip(SKIP_1) | instid1(SALU_CYCLE_1)
	v_cmp_ge_u64_e32 vcc_lo, v[33:34], v[35:36]
	s_or_b32 s27, vcc_lo, s27
	s_and_not1_b32 exec_lo, exec_lo, s27
	s_cbranch_execnz .LBB454_149
; %bb.150:
	s_set_inst_prefetch_distance 0x2
	s_or_b32 exec_lo, exec_lo, s27
.LBB454_151:
	s_mov_b32 s27, 0
	s_mov_b32 s15, exec_lo
	v_cmpx_ne_u64_e64 s[18:19], v[33:34]
	s_cbranch_execz .LBB454_153
; %bb.152:
	v_lshlrev_b64 v[33:34], 3, v[33:34]
	s_delay_alu instid0(VALU_DEP_1) | instskip(NEXT) | instid1(VALU_DEP_2)
	v_add_co_u32 v33, vcc_lo, s16, v33
	v_add_co_ci_u32_e32 v34, vcc_lo, s17, v34, vcc_lo
	global_load_b64 v[33:34], v[33:34], off
	s_waitcnt vmcnt(0) lgkmcnt(0)
	v_cmp_le_u64_e32 vcc_lo, v[33:34], v[31:32]
	s_and_b32 s27, vcc_lo, exec_lo
.LBB454_153:
	s_or_b32 exec_lo, exec_lo, s15
	v_cndmask_b32_e64 v35, 0, 1, s27
	s_or_b32 exec_lo, exec_lo, s26
                                        ; implicit-def: $vgpr33
	s_and_saveexec_b32 s26, s1
	s_cbranch_execz .LBB454_133
.LBB454_154:
	s_waitcnt vmcnt(0) lgkmcnt(0)
	v_mov_b32_e32 v31, 0
	v_mov_b32_e32 v32, 0
	s_and_not1_b32 vcc_lo, exec_lo, s25
	s_cbranch_vccnz .LBB454_158
; %bb.155:
	v_dual_mov_b32 v34, s19 :: v_dual_mov_b32 v33, s18
	s_mov_b32 s27, 0
	s_set_inst_prefetch_distance 0x1
	.p2align	6
.LBB454_156:                            ; =>This Inner Loop Header: Depth=1
	s_delay_alu instid0(VALU_DEP_1) | instskip(NEXT) | instid1(VALU_DEP_2)
	v_sub_co_u32 v36, vcc_lo, v33, v31
	v_sub_co_ci_u32_e32 v37, vcc_lo, v34, v32, vcc_lo
	s_delay_alu instid0(VALU_DEP_1) | instskip(SKIP_1) | instid1(VALU_DEP_2)
	v_lshrrev_b64 v[38:39], 1, v[36:37]
	v_lshrrev_b64 v[36:37], 6, v[36:37]
	v_add_co_u32 v38, vcc_lo, v38, v31
	s_delay_alu instid0(VALU_DEP_3) | instskip(NEXT) | instid1(VALU_DEP_2)
	v_add_co_ci_u32_e32 v39, vcc_lo, v39, v32, vcc_lo
	v_add_co_u32 v36, vcc_lo, v38, v36
	s_delay_alu instid0(VALU_DEP_2) | instskip(NEXT) | instid1(VALU_DEP_1)
	v_add_co_ci_u32_e32 v37, vcc_lo, v39, v37, vcc_lo
	v_lshlrev_b64 v[38:39], 3, v[36:37]
	s_delay_alu instid0(VALU_DEP_1) | instskip(NEXT) | instid1(VALU_DEP_2)
	v_add_co_u32 v38, vcc_lo, s16, v38
	v_add_co_ci_u32_e32 v39, vcc_lo, s17, v39, vcc_lo
	v_add_co_u32 v40, vcc_lo, v36, 1
	global_load_b64 v[38:39], v[38:39], off
	s_waitcnt vmcnt(0)
	v_cmp_lt_u64_e64 s15, v[38:39], v[29:30]
	v_add_co_ci_u32_e32 v38, vcc_lo, 0, v37, vcc_lo
	s_delay_alu instid0(VALU_DEP_2) | instskip(SKIP_1) | instid1(VALU_DEP_3)
	v_cndmask_b32_e64 v34, v37, v34, s15
	v_cndmask_b32_e64 v33, v36, v33, s15
	;; [unrolled: 1-line block ×4, first 2 shown]
	s_delay_alu instid0(VALU_DEP_1) | instskip(SKIP_1) | instid1(SALU_CYCLE_1)
	v_cmp_ge_u64_e32 vcc_lo, v[31:32], v[33:34]
	s_or_b32 s27, vcc_lo, s27
	s_and_not1_b32 exec_lo, exec_lo, s27
	s_cbranch_execnz .LBB454_156
; %bb.157:
	s_set_inst_prefetch_distance 0x2
	s_or_b32 exec_lo, exec_lo, s27
.LBB454_158:
	s_mov_b32 s27, 0
	s_mov_b32 s15, exec_lo
	v_cmpx_ne_u64_e64 s[18:19], v[31:32]
	s_cbranch_execz .LBB454_160
; %bb.159:
	v_lshlrev_b64 v[31:32], 3, v[31:32]
	s_delay_alu instid0(VALU_DEP_1) | instskip(NEXT) | instid1(VALU_DEP_2)
	v_add_co_u32 v31, vcc_lo, s16, v31
	v_add_co_ci_u32_e32 v32, vcc_lo, s17, v32, vcc_lo
	global_load_b64 v[31:32], v[31:32], off
	s_waitcnt vmcnt(0)
	v_cmp_le_u64_e32 vcc_lo, v[31:32], v[29:30]
	s_and_b32 s27, vcc_lo, exec_lo
.LBB454_160:
	s_or_b32 exec_lo, exec_lo, s15
	v_cndmask_b32_e64 v33, 0, 1, s27
	s_or_b32 exec_lo, exec_lo, s26
                                        ; implicit-def: $vgpr31
	s_and_saveexec_b32 s26, s2
	s_cbranch_execz .LBB454_134
.LBB454_161:
	s_waitcnt vmcnt(0) lgkmcnt(0)
	v_mov_b32_e32 v29, 0
	v_mov_b32_e32 v30, 0
	s_and_not1_b32 vcc_lo, exec_lo, s25
	s_cbranch_vccnz .LBB454_165
; %bb.162:
	v_dual_mov_b32 v32, s19 :: v_dual_mov_b32 v31, s18
	s_mov_b32 s27, 0
	s_set_inst_prefetch_distance 0x1
	.p2align	6
.LBB454_163:                            ; =>This Inner Loop Header: Depth=1
	s_delay_alu instid0(VALU_DEP_1) | instskip(NEXT) | instid1(VALU_DEP_2)
	v_sub_co_u32 v36, vcc_lo, v31, v29
	v_sub_co_ci_u32_e32 v37, vcc_lo, v32, v30, vcc_lo
	s_delay_alu instid0(VALU_DEP_1) | instskip(SKIP_1) | instid1(VALU_DEP_2)
	v_lshrrev_b64 v[38:39], 1, v[36:37]
	v_lshrrev_b64 v[36:37], 6, v[36:37]
	v_add_co_u32 v34, vcc_lo, v38, v29
	s_delay_alu instid0(VALU_DEP_3) | instskip(NEXT) | instid1(VALU_DEP_2)
	v_add_co_ci_u32_e32 v38, vcc_lo, v39, v30, vcc_lo
	v_add_co_u32 v36, vcc_lo, v34, v36
	s_delay_alu instid0(VALU_DEP_2) | instskip(NEXT) | instid1(VALU_DEP_1)
	v_add_co_ci_u32_e32 v37, vcc_lo, v38, v37, vcc_lo
	v_lshlrev_b64 v[38:39], 3, v[36:37]
	s_delay_alu instid0(VALU_DEP_1) | instskip(NEXT) | instid1(VALU_DEP_2)
	v_add_co_u32 v38, vcc_lo, s16, v38
	v_add_co_ci_u32_e32 v39, vcc_lo, s17, v39, vcc_lo
	v_add_co_u32 v34, vcc_lo, v36, 1
	global_load_b64 v[38:39], v[38:39], off
	s_waitcnt vmcnt(0)
	v_cmp_lt_u64_e64 s15, v[38:39], v[27:28]
	v_add_co_ci_u32_e32 v38, vcc_lo, 0, v37, vcc_lo
	s_delay_alu instid0(VALU_DEP_2) | instskip(SKIP_1) | instid1(VALU_DEP_3)
	v_cndmask_b32_e64 v32, v37, v32, s15
	v_cndmask_b32_e64 v31, v36, v31, s15
	;; [unrolled: 1-line block ×4, first 2 shown]
	s_delay_alu instid0(VALU_DEP_1) | instskip(SKIP_1) | instid1(SALU_CYCLE_1)
	v_cmp_ge_u64_e32 vcc_lo, v[29:30], v[31:32]
	s_or_b32 s27, vcc_lo, s27
	s_and_not1_b32 exec_lo, exec_lo, s27
	s_cbranch_execnz .LBB454_163
; %bb.164:
	s_set_inst_prefetch_distance 0x2
	s_or_b32 exec_lo, exec_lo, s27
.LBB454_165:
	s_mov_b32 s27, 0
	s_mov_b32 s15, exec_lo
	v_cmpx_ne_u64_e64 s[18:19], v[29:30]
	s_cbranch_execz .LBB454_167
; %bb.166:
	v_lshlrev_b64 v[29:30], 3, v[29:30]
	s_delay_alu instid0(VALU_DEP_1) | instskip(NEXT) | instid1(VALU_DEP_2)
	v_add_co_u32 v29, vcc_lo, s16, v29
	v_add_co_ci_u32_e32 v30, vcc_lo, s17, v30, vcc_lo
	global_load_b64 v[29:30], v[29:30], off
	s_waitcnt vmcnt(0)
	v_cmp_le_u64_e32 vcc_lo, v[29:30], v[27:28]
	s_and_b32 s27, vcc_lo, exec_lo
.LBB454_167:
	s_or_b32 exec_lo, exec_lo, s15
	v_cndmask_b32_e64 v31, 0, 1, s27
	s_or_b32 exec_lo, exec_lo, s26
                                        ; implicit-def: $vgpr29
	s_and_saveexec_b32 s26, s3
	s_cbranch_execz .LBB454_135
.LBB454_168:
	s_waitcnt vmcnt(0) lgkmcnt(0)
	v_mov_b32_e32 v27, 0
	v_mov_b32_e32 v28, 0
	s_and_not1_b32 vcc_lo, exec_lo, s25
	s_cbranch_vccnz .LBB454_172
; %bb.169:
	v_dual_mov_b32 v30, s19 :: v_dual_mov_b32 v29, s18
	s_mov_b32 s27, 0
	s_set_inst_prefetch_distance 0x1
	.p2align	6
.LBB454_170:                            ; =>This Inner Loop Header: Depth=1
	s_delay_alu instid0(VALU_DEP_1) | instskip(NEXT) | instid1(VALU_DEP_2)
	v_sub_co_u32 v36, vcc_lo, v29, v27
	v_sub_co_ci_u32_e32 v37, vcc_lo, v30, v28, vcc_lo
	s_delay_alu instid0(VALU_DEP_1) | instskip(SKIP_1) | instid1(VALU_DEP_2)
	v_lshrrev_b64 v[38:39], 1, v[36:37]
	v_lshrrev_b64 v[36:37], 6, v[36:37]
	v_add_co_u32 v32, vcc_lo, v38, v27
	s_delay_alu instid0(VALU_DEP_3) | instskip(NEXT) | instid1(VALU_DEP_2)
	v_add_co_ci_u32_e32 v34, vcc_lo, v39, v28, vcc_lo
	v_add_co_u32 v36, vcc_lo, v32, v36
	s_delay_alu instid0(VALU_DEP_2) | instskip(NEXT) | instid1(VALU_DEP_1)
	v_add_co_ci_u32_e32 v37, vcc_lo, v34, v37, vcc_lo
	v_lshlrev_b64 v[38:39], 3, v[36:37]
	s_delay_alu instid0(VALU_DEP_1) | instskip(NEXT) | instid1(VALU_DEP_2)
	v_add_co_u32 v38, vcc_lo, s16, v38
	v_add_co_ci_u32_e32 v39, vcc_lo, s17, v39, vcc_lo
	v_add_co_u32 v32, vcc_lo, v36, 1
	v_add_co_ci_u32_e32 v34, vcc_lo, 0, v37, vcc_lo
	global_load_b64 v[38:39], v[38:39], off
	s_waitcnt vmcnt(0)
	v_cmp_lt_u64_e64 s15, v[38:39], v[25:26]
	s_delay_alu instid0(VALU_DEP_1) | instskip(SKIP_3) | instid1(VALU_DEP_1)
	v_cndmask_b32_e64 v30, v37, v30, s15
	v_cndmask_b32_e64 v29, v36, v29, s15
	;; [unrolled: 1-line block ×4, first 2 shown]
	v_cmp_ge_u64_e32 vcc_lo, v[27:28], v[29:30]
	s_or_b32 s27, vcc_lo, s27
	s_delay_alu instid0(SALU_CYCLE_1)
	s_and_not1_b32 exec_lo, exec_lo, s27
	s_cbranch_execnz .LBB454_170
; %bb.171:
	s_set_inst_prefetch_distance 0x2
	s_or_b32 exec_lo, exec_lo, s27
.LBB454_172:
	s_mov_b32 s27, 0
	s_mov_b32 s15, exec_lo
	v_cmpx_ne_u64_e64 s[18:19], v[27:28]
	s_cbranch_execz .LBB454_174
; %bb.173:
	v_lshlrev_b64 v[27:28], 3, v[27:28]
	s_delay_alu instid0(VALU_DEP_1) | instskip(NEXT) | instid1(VALU_DEP_2)
	v_add_co_u32 v27, vcc_lo, s16, v27
	v_add_co_ci_u32_e32 v28, vcc_lo, s17, v28, vcc_lo
	global_load_b64 v[27:28], v[27:28], off
	s_waitcnt vmcnt(0)
	v_cmp_le_u64_e32 vcc_lo, v[27:28], v[25:26]
	s_and_b32 s27, vcc_lo, exec_lo
.LBB454_174:
	s_or_b32 exec_lo, exec_lo, s15
	v_cndmask_b32_e64 v29, 0, 1, s27
	s_or_b32 exec_lo, exec_lo, s26
                                        ; implicit-def: $vgpr27
	s_and_saveexec_b32 s26, s4
	s_cbranch_execz .LBB454_136
.LBB454_175:
	s_waitcnt vmcnt(0) lgkmcnt(0)
	v_mov_b32_e32 v25, 0
	v_mov_b32_e32 v26, 0
	s_and_not1_b32 vcc_lo, exec_lo, s25
	s_cbranch_vccnz .LBB454_179
; %bb.176:
	v_dual_mov_b32 v28, s19 :: v_dual_mov_b32 v27, s18
	s_mov_b32 s27, 0
	s_set_inst_prefetch_distance 0x1
	.p2align	6
.LBB454_177:                            ; =>This Inner Loop Header: Depth=1
	s_delay_alu instid0(VALU_DEP_1) | instskip(NEXT) | instid1(VALU_DEP_2)
	v_sub_co_u32 v36, vcc_lo, v27, v25
	v_sub_co_ci_u32_e32 v37, vcc_lo, v28, v26, vcc_lo
	s_delay_alu instid0(VALU_DEP_1) | instskip(SKIP_1) | instid1(VALU_DEP_2)
	v_lshrrev_b64 v[38:39], 1, v[36:37]
	v_lshrrev_b64 v[36:37], 6, v[36:37]
	v_add_co_u32 v30, vcc_lo, v38, v25
	s_delay_alu instid0(VALU_DEP_3) | instskip(NEXT) | instid1(VALU_DEP_2)
	v_add_co_ci_u32_e32 v32, vcc_lo, v39, v26, vcc_lo
	v_add_co_u32 v36, vcc_lo, v30, v36
	s_delay_alu instid0(VALU_DEP_2) | instskip(NEXT) | instid1(VALU_DEP_1)
	v_add_co_ci_u32_e32 v37, vcc_lo, v32, v37, vcc_lo
	v_lshlrev_b64 v[38:39], 3, v[36:37]
	s_delay_alu instid0(VALU_DEP_1) | instskip(NEXT) | instid1(VALU_DEP_2)
	v_add_co_u32 v38, vcc_lo, s16, v38
	v_add_co_ci_u32_e32 v39, vcc_lo, s17, v39, vcc_lo
	v_add_co_u32 v30, vcc_lo, v36, 1
	v_add_co_ci_u32_e32 v32, vcc_lo, 0, v37, vcc_lo
	global_load_b64 v[38:39], v[38:39], off
	s_waitcnt vmcnt(0)
	v_cmp_lt_u64_e64 s15, v[38:39], v[23:24]
	s_delay_alu instid0(VALU_DEP_1) | instskip(SKIP_3) | instid1(VALU_DEP_1)
	v_cndmask_b32_e64 v28, v37, v28, s15
	v_cndmask_b32_e64 v27, v36, v27, s15
	v_cndmask_b32_e64 v26, v26, v32, s15
	v_cndmask_b32_e64 v25, v25, v30, s15
	v_cmp_ge_u64_e32 vcc_lo, v[25:26], v[27:28]
	s_or_b32 s27, vcc_lo, s27
	s_delay_alu instid0(SALU_CYCLE_1)
	s_and_not1_b32 exec_lo, exec_lo, s27
	s_cbranch_execnz .LBB454_177
; %bb.178:
	s_set_inst_prefetch_distance 0x2
	s_or_b32 exec_lo, exec_lo, s27
.LBB454_179:
	s_mov_b32 s27, 0
	s_mov_b32 s15, exec_lo
	v_cmpx_ne_u64_e64 s[18:19], v[25:26]
	s_cbranch_execz .LBB454_181
; %bb.180:
	v_lshlrev_b64 v[25:26], 3, v[25:26]
	s_delay_alu instid0(VALU_DEP_1) | instskip(NEXT) | instid1(VALU_DEP_2)
	v_add_co_u32 v25, vcc_lo, s16, v25
	v_add_co_ci_u32_e32 v26, vcc_lo, s17, v26, vcc_lo
	global_load_b64 v[25:26], v[25:26], off
	s_waitcnt vmcnt(0)
	v_cmp_le_u64_e32 vcc_lo, v[25:26], v[23:24]
	s_and_b32 s27, vcc_lo, exec_lo
.LBB454_181:
	s_or_b32 exec_lo, exec_lo, s15
	v_cndmask_b32_e64 v27, 0, 1, s27
	s_or_b32 exec_lo, exec_lo, s26
                                        ; implicit-def: $vgpr25
	s_and_saveexec_b32 s26, s5
	s_cbranch_execz .LBB454_137
.LBB454_182:
	s_waitcnt vmcnt(0) lgkmcnt(0)
	v_mov_b32_e32 v23, 0
	v_mov_b32_e32 v24, 0
	s_and_not1_b32 vcc_lo, exec_lo, s25
	s_cbranch_vccnz .LBB454_186
; %bb.183:
	v_dual_mov_b32 v26, s19 :: v_dual_mov_b32 v25, s18
	s_mov_b32 s27, 0
	s_set_inst_prefetch_distance 0x1
	.p2align	6
.LBB454_184:                            ; =>This Inner Loop Header: Depth=1
	s_delay_alu instid0(VALU_DEP_1) | instskip(NEXT) | instid1(VALU_DEP_2)
	v_sub_co_u32 v36, vcc_lo, v25, v23
	v_sub_co_ci_u32_e32 v37, vcc_lo, v26, v24, vcc_lo
	s_delay_alu instid0(VALU_DEP_1) | instskip(SKIP_1) | instid1(VALU_DEP_2)
	v_lshrrev_b64 v[38:39], 1, v[36:37]
	v_lshrrev_b64 v[36:37], 6, v[36:37]
	v_add_co_u32 v28, vcc_lo, v38, v23
	s_delay_alu instid0(VALU_DEP_3) | instskip(NEXT) | instid1(VALU_DEP_2)
	v_add_co_ci_u32_e32 v30, vcc_lo, v39, v24, vcc_lo
	v_add_co_u32 v36, vcc_lo, v28, v36
	s_delay_alu instid0(VALU_DEP_2) | instskip(NEXT) | instid1(VALU_DEP_1)
	v_add_co_ci_u32_e32 v37, vcc_lo, v30, v37, vcc_lo
	v_lshlrev_b64 v[38:39], 3, v[36:37]
	s_delay_alu instid0(VALU_DEP_1) | instskip(NEXT) | instid1(VALU_DEP_2)
	v_add_co_u32 v38, vcc_lo, s16, v38
	v_add_co_ci_u32_e32 v39, vcc_lo, s17, v39, vcc_lo
	v_add_co_u32 v28, vcc_lo, v36, 1
	v_add_co_ci_u32_e32 v30, vcc_lo, 0, v37, vcc_lo
	global_load_b64 v[38:39], v[38:39], off
	s_waitcnt vmcnt(0)
	v_cmp_lt_u64_e64 s15, v[38:39], v[21:22]
	s_delay_alu instid0(VALU_DEP_1) | instskip(SKIP_3) | instid1(VALU_DEP_1)
	v_cndmask_b32_e64 v26, v37, v26, s15
	v_cndmask_b32_e64 v25, v36, v25, s15
	;; [unrolled: 1-line block ×4, first 2 shown]
	v_cmp_ge_u64_e32 vcc_lo, v[23:24], v[25:26]
	s_or_b32 s27, vcc_lo, s27
	s_delay_alu instid0(SALU_CYCLE_1)
	s_and_not1_b32 exec_lo, exec_lo, s27
	s_cbranch_execnz .LBB454_184
; %bb.185:
	s_set_inst_prefetch_distance 0x2
	s_or_b32 exec_lo, exec_lo, s27
.LBB454_186:
	s_mov_b32 s27, 0
	s_mov_b32 s15, exec_lo
	v_cmpx_ne_u64_e64 s[18:19], v[23:24]
	s_cbranch_execz .LBB454_188
; %bb.187:
	v_lshlrev_b64 v[23:24], 3, v[23:24]
	s_delay_alu instid0(VALU_DEP_1) | instskip(NEXT) | instid1(VALU_DEP_2)
	v_add_co_u32 v23, vcc_lo, s16, v23
	v_add_co_ci_u32_e32 v24, vcc_lo, s17, v24, vcc_lo
	global_load_b64 v[23:24], v[23:24], off
	s_waitcnt vmcnt(0)
	v_cmp_le_u64_e32 vcc_lo, v[23:24], v[21:22]
	s_and_b32 s27, vcc_lo, exec_lo
.LBB454_188:
	s_or_b32 exec_lo, exec_lo, s15
	v_cndmask_b32_e64 v25, 0, 1, s27
	s_or_b32 exec_lo, exec_lo, s26
                                        ; implicit-def: $vgpr23
	s_and_saveexec_b32 s26, s6
	s_cbranch_execz .LBB454_138
.LBB454_189:
	s_waitcnt vmcnt(0) lgkmcnt(0)
	v_mov_b32_e32 v21, 0
	v_mov_b32_e32 v22, 0
	s_and_not1_b32 vcc_lo, exec_lo, s25
	s_cbranch_vccnz .LBB454_193
; %bb.190:
	v_dual_mov_b32 v24, s19 :: v_dual_mov_b32 v23, s18
	s_mov_b32 s27, 0
	s_set_inst_prefetch_distance 0x1
	.p2align	6
.LBB454_191:                            ; =>This Inner Loop Header: Depth=1
	s_delay_alu instid0(VALU_DEP_1) | instskip(NEXT) | instid1(VALU_DEP_2)
	v_sub_co_u32 v36, vcc_lo, v23, v21
	v_sub_co_ci_u32_e32 v37, vcc_lo, v24, v22, vcc_lo
	s_delay_alu instid0(VALU_DEP_1) | instskip(SKIP_1) | instid1(VALU_DEP_2)
	v_lshrrev_b64 v[38:39], 1, v[36:37]
	v_lshrrev_b64 v[36:37], 6, v[36:37]
	v_add_co_u32 v26, vcc_lo, v38, v21
	s_delay_alu instid0(VALU_DEP_3) | instskip(NEXT) | instid1(VALU_DEP_2)
	v_add_co_ci_u32_e32 v28, vcc_lo, v39, v22, vcc_lo
	v_add_co_u32 v36, vcc_lo, v26, v36
	s_delay_alu instid0(VALU_DEP_2) | instskip(NEXT) | instid1(VALU_DEP_1)
	v_add_co_ci_u32_e32 v37, vcc_lo, v28, v37, vcc_lo
	v_lshlrev_b64 v[38:39], 3, v[36:37]
	s_delay_alu instid0(VALU_DEP_1) | instskip(NEXT) | instid1(VALU_DEP_2)
	v_add_co_u32 v38, vcc_lo, s16, v38
	v_add_co_ci_u32_e32 v39, vcc_lo, s17, v39, vcc_lo
	v_add_co_u32 v26, vcc_lo, v36, 1
	v_add_co_ci_u32_e32 v28, vcc_lo, 0, v37, vcc_lo
	global_load_b64 v[38:39], v[38:39], off
	s_waitcnt vmcnt(0)
	v_cmp_lt_u64_e64 s15, v[38:39], v[19:20]
	s_delay_alu instid0(VALU_DEP_1) | instskip(SKIP_3) | instid1(VALU_DEP_1)
	v_cndmask_b32_e64 v24, v37, v24, s15
	v_cndmask_b32_e64 v23, v36, v23, s15
	;; [unrolled: 1-line block ×4, first 2 shown]
	v_cmp_ge_u64_e32 vcc_lo, v[21:22], v[23:24]
	s_or_b32 s27, vcc_lo, s27
	s_delay_alu instid0(SALU_CYCLE_1)
	s_and_not1_b32 exec_lo, exec_lo, s27
	s_cbranch_execnz .LBB454_191
; %bb.192:
	s_set_inst_prefetch_distance 0x2
	s_or_b32 exec_lo, exec_lo, s27
.LBB454_193:
	s_mov_b32 s27, 0
	s_mov_b32 s15, exec_lo
	v_cmpx_ne_u64_e64 s[18:19], v[21:22]
	s_cbranch_execz .LBB454_195
; %bb.194:
	v_lshlrev_b64 v[21:22], 3, v[21:22]
	s_delay_alu instid0(VALU_DEP_1) | instskip(NEXT) | instid1(VALU_DEP_2)
	v_add_co_u32 v21, vcc_lo, s16, v21
	v_add_co_ci_u32_e32 v22, vcc_lo, s17, v22, vcc_lo
	global_load_b64 v[21:22], v[21:22], off
	s_waitcnt vmcnt(0)
	v_cmp_le_u64_e32 vcc_lo, v[21:22], v[19:20]
	s_and_b32 s27, vcc_lo, exec_lo
.LBB454_195:
	s_or_b32 exec_lo, exec_lo, s15
	v_cndmask_b32_e64 v23, 0, 1, s27
	s_or_b32 exec_lo, exec_lo, s26
                                        ; implicit-def: $vgpr21
	s_and_saveexec_b32 s26, s7
	s_cbranch_execz .LBB454_139
.LBB454_196:
	s_waitcnt vmcnt(0) lgkmcnt(0)
	v_mov_b32_e32 v19, 0
	v_mov_b32_e32 v20, 0
	s_and_not1_b32 vcc_lo, exec_lo, s25
	s_cbranch_vccnz .LBB454_200
; %bb.197:
	v_dual_mov_b32 v22, s19 :: v_dual_mov_b32 v21, s18
	s_mov_b32 s27, 0
	s_set_inst_prefetch_distance 0x1
	.p2align	6
.LBB454_198:                            ; =>This Inner Loop Header: Depth=1
	s_delay_alu instid0(VALU_DEP_1) | instskip(NEXT) | instid1(VALU_DEP_2)
	v_sub_co_u32 v36, vcc_lo, v21, v19
	v_sub_co_ci_u32_e32 v37, vcc_lo, v22, v20, vcc_lo
	s_delay_alu instid0(VALU_DEP_1) | instskip(SKIP_1) | instid1(VALU_DEP_2)
	v_lshrrev_b64 v[38:39], 1, v[36:37]
	v_lshrrev_b64 v[36:37], 6, v[36:37]
	v_add_co_u32 v24, vcc_lo, v38, v19
	s_delay_alu instid0(VALU_DEP_3) | instskip(NEXT) | instid1(VALU_DEP_2)
	v_add_co_ci_u32_e32 v26, vcc_lo, v39, v20, vcc_lo
	v_add_co_u32 v36, vcc_lo, v24, v36
	s_delay_alu instid0(VALU_DEP_2) | instskip(NEXT) | instid1(VALU_DEP_1)
	v_add_co_ci_u32_e32 v37, vcc_lo, v26, v37, vcc_lo
	v_lshlrev_b64 v[38:39], 3, v[36:37]
	s_delay_alu instid0(VALU_DEP_1) | instskip(NEXT) | instid1(VALU_DEP_2)
	v_add_co_u32 v38, vcc_lo, s16, v38
	v_add_co_ci_u32_e32 v39, vcc_lo, s17, v39, vcc_lo
	v_add_co_u32 v24, vcc_lo, v36, 1
	v_add_co_ci_u32_e32 v26, vcc_lo, 0, v37, vcc_lo
	global_load_b64 v[38:39], v[38:39], off
	s_waitcnt vmcnt(0)
	v_cmp_lt_u64_e64 s15, v[38:39], v[17:18]
	s_delay_alu instid0(VALU_DEP_1) | instskip(SKIP_3) | instid1(VALU_DEP_1)
	v_cndmask_b32_e64 v22, v37, v22, s15
	v_cndmask_b32_e64 v21, v36, v21, s15
	;; [unrolled: 1-line block ×4, first 2 shown]
	v_cmp_ge_u64_e32 vcc_lo, v[19:20], v[21:22]
	s_or_b32 s27, vcc_lo, s27
	s_delay_alu instid0(SALU_CYCLE_1)
	s_and_not1_b32 exec_lo, exec_lo, s27
	s_cbranch_execnz .LBB454_198
; %bb.199:
	s_set_inst_prefetch_distance 0x2
	s_or_b32 exec_lo, exec_lo, s27
.LBB454_200:
	s_mov_b32 s27, 0
	s_mov_b32 s15, exec_lo
	v_cmpx_ne_u64_e64 s[18:19], v[19:20]
	s_cbranch_execz .LBB454_202
; %bb.201:
	v_lshlrev_b64 v[19:20], 3, v[19:20]
	s_delay_alu instid0(VALU_DEP_1) | instskip(NEXT) | instid1(VALU_DEP_2)
	v_add_co_u32 v19, vcc_lo, s16, v19
	v_add_co_ci_u32_e32 v20, vcc_lo, s17, v20, vcc_lo
	global_load_b64 v[19:20], v[19:20], off
	s_waitcnt vmcnt(0)
	v_cmp_le_u64_e32 vcc_lo, v[19:20], v[17:18]
	s_and_b32 s27, vcc_lo, exec_lo
.LBB454_202:
	s_or_b32 exec_lo, exec_lo, s15
	v_cndmask_b32_e64 v21, 0, 1, s27
	s_or_b32 exec_lo, exec_lo, s26
                                        ; implicit-def: $vgpr19
	s_and_saveexec_b32 s26, s8
	s_cbranch_execz .LBB454_140
.LBB454_203:
	s_waitcnt vmcnt(0) lgkmcnt(0)
	v_mov_b32_e32 v17, 0
	v_mov_b32_e32 v18, 0
	s_and_not1_b32 vcc_lo, exec_lo, s25
	s_cbranch_vccnz .LBB454_207
; %bb.204:
	v_dual_mov_b32 v20, s19 :: v_dual_mov_b32 v19, s18
	s_mov_b32 s27, 0
	s_set_inst_prefetch_distance 0x1
	.p2align	6
.LBB454_205:                            ; =>This Inner Loop Header: Depth=1
	s_delay_alu instid0(VALU_DEP_1) | instskip(NEXT) | instid1(VALU_DEP_2)
	v_sub_co_u32 v36, vcc_lo, v19, v17
	v_sub_co_ci_u32_e32 v37, vcc_lo, v20, v18, vcc_lo
	s_delay_alu instid0(VALU_DEP_1) | instskip(SKIP_1) | instid1(VALU_DEP_2)
	v_lshrrev_b64 v[38:39], 1, v[36:37]
	v_lshrrev_b64 v[36:37], 6, v[36:37]
	v_add_co_u32 v22, vcc_lo, v38, v17
	s_delay_alu instid0(VALU_DEP_3) | instskip(NEXT) | instid1(VALU_DEP_2)
	v_add_co_ci_u32_e32 v24, vcc_lo, v39, v18, vcc_lo
	v_add_co_u32 v36, vcc_lo, v22, v36
	s_delay_alu instid0(VALU_DEP_2) | instskip(NEXT) | instid1(VALU_DEP_1)
	v_add_co_ci_u32_e32 v37, vcc_lo, v24, v37, vcc_lo
	v_lshlrev_b64 v[38:39], 3, v[36:37]
	s_delay_alu instid0(VALU_DEP_1) | instskip(NEXT) | instid1(VALU_DEP_2)
	v_add_co_u32 v38, vcc_lo, s16, v38
	v_add_co_ci_u32_e32 v39, vcc_lo, s17, v39, vcc_lo
	v_add_co_u32 v22, vcc_lo, v36, 1
	v_add_co_ci_u32_e32 v24, vcc_lo, 0, v37, vcc_lo
	global_load_b64 v[38:39], v[38:39], off
	s_waitcnt vmcnt(0)
	v_cmp_lt_u64_e64 s15, v[38:39], v[15:16]
	s_delay_alu instid0(VALU_DEP_1) | instskip(SKIP_3) | instid1(VALU_DEP_1)
	v_cndmask_b32_e64 v20, v37, v20, s15
	v_cndmask_b32_e64 v19, v36, v19, s15
	;; [unrolled: 1-line block ×4, first 2 shown]
	v_cmp_ge_u64_e32 vcc_lo, v[17:18], v[19:20]
	s_or_b32 s27, vcc_lo, s27
	s_delay_alu instid0(SALU_CYCLE_1)
	s_and_not1_b32 exec_lo, exec_lo, s27
	s_cbranch_execnz .LBB454_205
; %bb.206:
	s_set_inst_prefetch_distance 0x2
	s_or_b32 exec_lo, exec_lo, s27
.LBB454_207:
	s_mov_b32 s27, 0
	s_mov_b32 s15, exec_lo
	v_cmpx_ne_u64_e64 s[18:19], v[17:18]
	s_cbranch_execz .LBB454_209
; %bb.208:
	v_lshlrev_b64 v[17:18], 3, v[17:18]
	s_delay_alu instid0(VALU_DEP_1) | instskip(NEXT) | instid1(VALU_DEP_2)
	v_add_co_u32 v17, vcc_lo, s16, v17
	v_add_co_ci_u32_e32 v18, vcc_lo, s17, v18, vcc_lo
	global_load_b64 v[17:18], v[17:18], off
	s_waitcnt vmcnt(0)
	v_cmp_le_u64_e32 vcc_lo, v[17:18], v[15:16]
	s_and_b32 s27, vcc_lo, exec_lo
.LBB454_209:
	s_or_b32 exec_lo, exec_lo, s15
	v_cndmask_b32_e64 v19, 0, 1, s27
	s_or_b32 exec_lo, exec_lo, s26
                                        ; implicit-def: $vgpr17
	s_and_saveexec_b32 s26, s9
	s_cbranch_execz .LBB454_141
.LBB454_210:
	s_waitcnt vmcnt(0) lgkmcnt(0)
	v_mov_b32_e32 v15, 0
	v_mov_b32_e32 v16, 0
	s_and_not1_b32 vcc_lo, exec_lo, s25
	s_cbranch_vccnz .LBB454_214
; %bb.211:
	v_dual_mov_b32 v17, s18 :: v_dual_mov_b32 v18, s19
	s_mov_b32 s27, 0
	s_set_inst_prefetch_distance 0x1
	.p2align	6
.LBB454_212:                            ; =>This Inner Loop Header: Depth=1
	s_delay_alu instid0(VALU_DEP_1) | instskip(NEXT) | instid1(VALU_DEP_2)
	v_sub_co_u32 v36, vcc_lo, v17, v15
	v_sub_co_ci_u32_e32 v37, vcc_lo, v18, v16, vcc_lo
	s_delay_alu instid0(VALU_DEP_1) | instskip(SKIP_1) | instid1(VALU_DEP_2)
	v_lshrrev_b64 v[38:39], 1, v[36:37]
	v_lshrrev_b64 v[36:37], 6, v[36:37]
	v_add_co_u32 v20, vcc_lo, v38, v15
	s_delay_alu instid0(VALU_DEP_3) | instskip(NEXT) | instid1(VALU_DEP_2)
	v_add_co_ci_u32_e32 v22, vcc_lo, v39, v16, vcc_lo
	v_add_co_u32 v36, vcc_lo, v20, v36
	s_delay_alu instid0(VALU_DEP_2) | instskip(NEXT) | instid1(VALU_DEP_1)
	v_add_co_ci_u32_e32 v37, vcc_lo, v22, v37, vcc_lo
	v_lshlrev_b64 v[38:39], 3, v[36:37]
	s_delay_alu instid0(VALU_DEP_1) | instskip(NEXT) | instid1(VALU_DEP_2)
	v_add_co_u32 v38, vcc_lo, s16, v38
	v_add_co_ci_u32_e32 v39, vcc_lo, s17, v39, vcc_lo
	v_add_co_u32 v20, vcc_lo, v36, 1
	v_add_co_ci_u32_e32 v22, vcc_lo, 0, v37, vcc_lo
	global_load_b64 v[38:39], v[38:39], off
	s_waitcnt vmcnt(0)
	v_cmp_lt_u64_e64 s15, v[38:39], v[13:14]
	s_delay_alu instid0(VALU_DEP_1) | instskip(SKIP_3) | instid1(VALU_DEP_1)
	v_cndmask_b32_e64 v18, v37, v18, s15
	v_cndmask_b32_e64 v17, v36, v17, s15
	;; [unrolled: 1-line block ×4, first 2 shown]
	v_cmp_ge_u64_e32 vcc_lo, v[15:16], v[17:18]
	s_or_b32 s27, vcc_lo, s27
	s_delay_alu instid0(SALU_CYCLE_1)
	s_and_not1_b32 exec_lo, exec_lo, s27
	s_cbranch_execnz .LBB454_212
; %bb.213:
	s_set_inst_prefetch_distance 0x2
	s_or_b32 exec_lo, exec_lo, s27
.LBB454_214:
	s_mov_b32 s27, 0
	s_mov_b32 s15, exec_lo
	v_cmpx_ne_u64_e64 s[18:19], v[15:16]
	s_cbranch_execz .LBB454_216
; %bb.215:
	v_lshlrev_b64 v[15:16], 3, v[15:16]
	s_delay_alu instid0(VALU_DEP_1) | instskip(NEXT) | instid1(VALU_DEP_2)
	v_add_co_u32 v15, vcc_lo, s16, v15
	v_add_co_ci_u32_e32 v16, vcc_lo, s17, v16, vcc_lo
	global_load_b64 v[15:16], v[15:16], off
	s_waitcnt vmcnt(0)
	v_cmp_le_u64_e32 vcc_lo, v[15:16], v[13:14]
	s_and_b32 s27, vcc_lo, exec_lo
.LBB454_216:
	s_or_b32 exec_lo, exec_lo, s15
	v_cndmask_b32_e64 v17, 0, 1, s27
	s_or_b32 exec_lo, exec_lo, s26
                                        ; implicit-def: $vgpr15
	s_and_saveexec_b32 s26, s10
	s_cbranch_execz .LBB454_142
.LBB454_217:
	s_waitcnt vmcnt(0) lgkmcnt(0)
	v_mov_b32_e32 v13, 0
	v_mov_b32_e32 v14, 0
	s_and_not1_b32 vcc_lo, exec_lo, s25
	s_cbranch_vccnz .LBB454_221
; %bb.218:
	v_dual_mov_b32 v15, s18 :: v_dual_mov_b32 v16, s19
	s_mov_b32 s27, 0
	s_set_inst_prefetch_distance 0x1
	.p2align	6
.LBB454_219:                            ; =>This Inner Loop Header: Depth=1
	s_delay_alu instid0(VALU_DEP_1) | instskip(NEXT) | instid1(VALU_DEP_2)
	v_sub_co_u32 v36, vcc_lo, v15, v13
	v_sub_co_ci_u32_e32 v37, vcc_lo, v16, v14, vcc_lo
	s_delay_alu instid0(VALU_DEP_1) | instskip(SKIP_1) | instid1(VALU_DEP_2)
	v_lshrrev_b64 v[38:39], 1, v[36:37]
	v_lshrrev_b64 v[36:37], 6, v[36:37]
	v_add_co_u32 v18, vcc_lo, v38, v13
	s_delay_alu instid0(VALU_DEP_3) | instskip(NEXT) | instid1(VALU_DEP_2)
	v_add_co_ci_u32_e32 v20, vcc_lo, v39, v14, vcc_lo
	v_add_co_u32 v36, vcc_lo, v18, v36
	s_delay_alu instid0(VALU_DEP_2) | instskip(NEXT) | instid1(VALU_DEP_1)
	v_add_co_ci_u32_e32 v37, vcc_lo, v20, v37, vcc_lo
	v_lshlrev_b64 v[38:39], 3, v[36:37]
	s_delay_alu instid0(VALU_DEP_1) | instskip(NEXT) | instid1(VALU_DEP_2)
	v_add_co_u32 v38, vcc_lo, s16, v38
	v_add_co_ci_u32_e32 v39, vcc_lo, s17, v39, vcc_lo
	v_add_co_u32 v18, vcc_lo, v36, 1
	v_add_co_ci_u32_e32 v20, vcc_lo, 0, v37, vcc_lo
	global_load_b64 v[38:39], v[38:39], off
	s_waitcnt vmcnt(0)
	v_cmp_lt_u64_e64 s15, v[38:39], v[11:12]
	s_delay_alu instid0(VALU_DEP_1) | instskip(SKIP_3) | instid1(VALU_DEP_1)
	v_cndmask_b32_e64 v16, v37, v16, s15
	v_cndmask_b32_e64 v15, v36, v15, s15
	;; [unrolled: 1-line block ×4, first 2 shown]
	v_cmp_ge_u64_e32 vcc_lo, v[13:14], v[15:16]
	s_or_b32 s27, vcc_lo, s27
	s_delay_alu instid0(SALU_CYCLE_1)
	s_and_not1_b32 exec_lo, exec_lo, s27
	s_cbranch_execnz .LBB454_219
; %bb.220:
	s_set_inst_prefetch_distance 0x2
	s_or_b32 exec_lo, exec_lo, s27
.LBB454_221:
	s_mov_b32 s27, 0
	s_mov_b32 s15, exec_lo
	v_cmpx_ne_u64_e64 s[18:19], v[13:14]
	s_cbranch_execz .LBB454_223
; %bb.222:
	v_lshlrev_b64 v[13:14], 3, v[13:14]
	s_delay_alu instid0(VALU_DEP_1) | instskip(NEXT) | instid1(VALU_DEP_2)
	v_add_co_u32 v13, vcc_lo, s16, v13
	v_add_co_ci_u32_e32 v14, vcc_lo, s17, v14, vcc_lo
	global_load_b64 v[13:14], v[13:14], off
	s_waitcnt vmcnt(0)
	v_cmp_le_u64_e32 vcc_lo, v[13:14], v[11:12]
	s_and_b32 s27, vcc_lo, exec_lo
.LBB454_223:
	s_or_b32 exec_lo, exec_lo, s15
	v_cndmask_b32_e64 v15, 0, 1, s27
	s_or_b32 exec_lo, exec_lo, s26
                                        ; implicit-def: $vgpr13
	s_and_saveexec_b32 s26, s11
	s_cbranch_execz .LBB454_143
.LBB454_224:
	s_waitcnt vmcnt(0) lgkmcnt(0)
	v_mov_b32_e32 v11, 0
	v_mov_b32_e32 v12, 0
	s_and_not1_b32 vcc_lo, exec_lo, s25
	s_cbranch_vccnz .LBB454_228
; %bb.225:
	v_dual_mov_b32 v13, s18 :: v_dual_mov_b32 v14, s19
	s_mov_b32 s27, 0
	s_set_inst_prefetch_distance 0x1
	.p2align	6
.LBB454_226:                            ; =>This Inner Loop Header: Depth=1
	s_delay_alu instid0(VALU_DEP_1) | instskip(NEXT) | instid1(VALU_DEP_2)
	v_sub_co_u32 v36, vcc_lo, v13, v11
	v_sub_co_ci_u32_e32 v37, vcc_lo, v14, v12, vcc_lo
	s_delay_alu instid0(VALU_DEP_1) | instskip(SKIP_1) | instid1(VALU_DEP_2)
	v_lshrrev_b64 v[38:39], 1, v[36:37]
	v_lshrrev_b64 v[36:37], 6, v[36:37]
	v_add_co_u32 v16, vcc_lo, v38, v11
	s_delay_alu instid0(VALU_DEP_3) | instskip(NEXT) | instid1(VALU_DEP_2)
	v_add_co_ci_u32_e32 v18, vcc_lo, v39, v12, vcc_lo
	v_add_co_u32 v36, vcc_lo, v16, v36
	s_delay_alu instid0(VALU_DEP_2) | instskip(NEXT) | instid1(VALU_DEP_1)
	v_add_co_ci_u32_e32 v37, vcc_lo, v18, v37, vcc_lo
	v_lshlrev_b64 v[38:39], 3, v[36:37]
	s_delay_alu instid0(VALU_DEP_1) | instskip(NEXT) | instid1(VALU_DEP_2)
	v_add_co_u32 v38, vcc_lo, s16, v38
	v_add_co_ci_u32_e32 v39, vcc_lo, s17, v39, vcc_lo
	v_add_co_u32 v16, vcc_lo, v36, 1
	v_add_co_ci_u32_e32 v18, vcc_lo, 0, v37, vcc_lo
	global_load_b64 v[38:39], v[38:39], off
	s_waitcnt vmcnt(0)
	v_cmp_lt_u64_e64 s15, v[38:39], v[9:10]
	s_delay_alu instid0(VALU_DEP_1) | instskip(SKIP_3) | instid1(VALU_DEP_1)
	v_cndmask_b32_e64 v14, v37, v14, s15
	v_cndmask_b32_e64 v13, v36, v13, s15
	v_cndmask_b32_e64 v12, v12, v18, s15
	v_cndmask_b32_e64 v11, v11, v16, s15
	v_cmp_ge_u64_e32 vcc_lo, v[11:12], v[13:14]
	s_or_b32 s27, vcc_lo, s27
	s_delay_alu instid0(SALU_CYCLE_1)
	s_and_not1_b32 exec_lo, exec_lo, s27
	s_cbranch_execnz .LBB454_226
; %bb.227:
	s_set_inst_prefetch_distance 0x2
	s_or_b32 exec_lo, exec_lo, s27
.LBB454_228:
	s_mov_b32 s27, 0
	s_mov_b32 s15, exec_lo
	v_cmpx_ne_u64_e64 s[18:19], v[11:12]
	s_cbranch_execz .LBB454_230
; %bb.229:
	v_lshlrev_b64 v[11:12], 3, v[11:12]
	s_delay_alu instid0(VALU_DEP_1) | instskip(NEXT) | instid1(VALU_DEP_2)
	v_add_co_u32 v11, vcc_lo, s16, v11
	v_add_co_ci_u32_e32 v12, vcc_lo, s17, v12, vcc_lo
	global_load_b64 v[11:12], v[11:12], off
	s_waitcnt vmcnt(0)
	v_cmp_le_u64_e32 vcc_lo, v[11:12], v[9:10]
	s_and_b32 s27, vcc_lo, exec_lo
.LBB454_230:
	s_or_b32 exec_lo, exec_lo, s15
	v_cndmask_b32_e64 v13, 0, 1, s27
	s_or_b32 exec_lo, exec_lo, s26
                                        ; implicit-def: $vgpr11
	s_and_saveexec_b32 s26, s12
	s_cbranch_execz .LBB454_144
.LBB454_231:
	s_waitcnt vmcnt(0) lgkmcnt(0)
	v_mov_b32_e32 v9, 0
	v_mov_b32_e32 v10, 0
	s_and_not1_b32 vcc_lo, exec_lo, s25
	s_cbranch_vccnz .LBB454_235
; %bb.232:
	v_dual_mov_b32 v11, s18 :: v_dual_mov_b32 v12, s19
	s_mov_b32 s27, 0
	s_set_inst_prefetch_distance 0x1
	.p2align	6
.LBB454_233:                            ; =>This Inner Loop Header: Depth=1
	s_delay_alu instid0(VALU_DEP_1) | instskip(NEXT) | instid1(VALU_DEP_2)
	v_sub_co_u32 v36, vcc_lo, v11, v9
	v_sub_co_ci_u32_e32 v37, vcc_lo, v12, v10, vcc_lo
	s_delay_alu instid0(VALU_DEP_1) | instskip(SKIP_1) | instid1(VALU_DEP_2)
	v_lshrrev_b64 v[38:39], 1, v[36:37]
	v_lshrrev_b64 v[36:37], 6, v[36:37]
	v_add_co_u32 v14, vcc_lo, v38, v9
	s_delay_alu instid0(VALU_DEP_3) | instskip(NEXT) | instid1(VALU_DEP_2)
	v_add_co_ci_u32_e32 v16, vcc_lo, v39, v10, vcc_lo
	v_add_co_u32 v36, vcc_lo, v14, v36
	s_delay_alu instid0(VALU_DEP_2) | instskip(NEXT) | instid1(VALU_DEP_1)
	v_add_co_ci_u32_e32 v37, vcc_lo, v16, v37, vcc_lo
	v_lshlrev_b64 v[38:39], 3, v[36:37]
	s_delay_alu instid0(VALU_DEP_1) | instskip(NEXT) | instid1(VALU_DEP_2)
	v_add_co_u32 v38, vcc_lo, s16, v38
	v_add_co_ci_u32_e32 v39, vcc_lo, s17, v39, vcc_lo
	v_add_co_u32 v14, vcc_lo, v36, 1
	v_add_co_ci_u32_e32 v16, vcc_lo, 0, v37, vcc_lo
	global_load_b64 v[38:39], v[38:39], off
	s_waitcnt vmcnt(0)
	v_cmp_lt_u64_e64 s15, v[38:39], v[7:8]
	s_delay_alu instid0(VALU_DEP_1) | instskip(SKIP_3) | instid1(VALU_DEP_1)
	v_cndmask_b32_e64 v12, v37, v12, s15
	v_cndmask_b32_e64 v11, v36, v11, s15
	;; [unrolled: 1-line block ×4, first 2 shown]
	v_cmp_ge_u64_e32 vcc_lo, v[9:10], v[11:12]
	s_or_b32 s27, vcc_lo, s27
	s_delay_alu instid0(SALU_CYCLE_1)
	s_and_not1_b32 exec_lo, exec_lo, s27
	s_cbranch_execnz .LBB454_233
; %bb.234:
	s_set_inst_prefetch_distance 0x2
	s_or_b32 exec_lo, exec_lo, s27
.LBB454_235:
	s_mov_b32 s27, 0
	s_mov_b32 s15, exec_lo
	v_cmpx_ne_u64_e64 s[18:19], v[9:10]
	s_cbranch_execz .LBB454_237
; %bb.236:
	v_lshlrev_b64 v[9:10], 3, v[9:10]
	s_delay_alu instid0(VALU_DEP_1) | instskip(NEXT) | instid1(VALU_DEP_2)
	v_add_co_u32 v9, vcc_lo, s16, v9
	v_add_co_ci_u32_e32 v10, vcc_lo, s17, v10, vcc_lo
	global_load_b64 v[9:10], v[9:10], off
	s_waitcnt vmcnt(0)
	v_cmp_le_u64_e32 vcc_lo, v[9:10], v[7:8]
	s_and_b32 s27, vcc_lo, exec_lo
.LBB454_237:
	s_or_b32 exec_lo, exec_lo, s15
	v_cndmask_b32_e64 v11, 0, 1, s27
	s_or_b32 exec_lo, exec_lo, s26
                                        ; implicit-def: $vgpr9
	s_and_saveexec_b32 s26, s13
	s_cbranch_execz .LBB454_145
.LBB454_238:
	s_waitcnt vmcnt(0) lgkmcnt(0)
	v_mov_b32_e32 v7, 0
	v_mov_b32_e32 v8, 0
	s_and_not1_b32 vcc_lo, exec_lo, s25
	s_cbranch_vccnz .LBB454_242
; %bb.239:
	v_dual_mov_b32 v9, s18 :: v_dual_mov_b32 v10, s19
	s_mov_b32 s27, 0
	s_set_inst_prefetch_distance 0x1
	.p2align	6
.LBB454_240:                            ; =>This Inner Loop Header: Depth=1
	s_delay_alu instid0(VALU_DEP_1) | instskip(NEXT) | instid1(VALU_DEP_2)
	v_sub_co_u32 v36, vcc_lo, v9, v7
	v_sub_co_ci_u32_e32 v37, vcc_lo, v10, v8, vcc_lo
	s_delay_alu instid0(VALU_DEP_1) | instskip(SKIP_1) | instid1(VALU_DEP_2)
	v_lshrrev_b64 v[38:39], 1, v[36:37]
	v_lshrrev_b64 v[36:37], 6, v[36:37]
	v_add_co_u32 v12, vcc_lo, v38, v7
	s_delay_alu instid0(VALU_DEP_3) | instskip(NEXT) | instid1(VALU_DEP_2)
	v_add_co_ci_u32_e32 v14, vcc_lo, v39, v8, vcc_lo
	v_add_co_u32 v36, vcc_lo, v12, v36
	s_delay_alu instid0(VALU_DEP_2) | instskip(NEXT) | instid1(VALU_DEP_1)
	v_add_co_ci_u32_e32 v37, vcc_lo, v14, v37, vcc_lo
	v_lshlrev_b64 v[38:39], 3, v[36:37]
	s_delay_alu instid0(VALU_DEP_1) | instskip(NEXT) | instid1(VALU_DEP_2)
	v_add_co_u32 v38, vcc_lo, s16, v38
	v_add_co_ci_u32_e32 v39, vcc_lo, s17, v39, vcc_lo
	v_add_co_u32 v12, vcc_lo, v36, 1
	v_add_co_ci_u32_e32 v14, vcc_lo, 0, v37, vcc_lo
	global_load_b64 v[38:39], v[38:39], off
	s_waitcnt vmcnt(0)
	v_cmp_lt_u64_e64 s15, v[38:39], v[5:6]
	s_delay_alu instid0(VALU_DEP_1) | instskip(SKIP_3) | instid1(VALU_DEP_1)
	v_cndmask_b32_e64 v10, v37, v10, s15
	v_cndmask_b32_e64 v9, v36, v9, s15
	;; [unrolled: 1-line block ×4, first 2 shown]
	v_cmp_ge_u64_e32 vcc_lo, v[7:8], v[9:10]
	s_or_b32 s27, vcc_lo, s27
	s_delay_alu instid0(SALU_CYCLE_1)
	s_and_not1_b32 exec_lo, exec_lo, s27
	s_cbranch_execnz .LBB454_240
; %bb.241:
	s_set_inst_prefetch_distance 0x2
	s_or_b32 exec_lo, exec_lo, s27
.LBB454_242:
	s_mov_b32 s27, 0
	s_mov_b32 s15, exec_lo
	v_cmpx_ne_u64_e64 s[18:19], v[7:8]
	s_cbranch_execz .LBB454_244
; %bb.243:
	v_lshlrev_b64 v[7:8], 3, v[7:8]
	s_delay_alu instid0(VALU_DEP_1) | instskip(NEXT) | instid1(VALU_DEP_2)
	v_add_co_u32 v7, vcc_lo, s16, v7
	v_add_co_ci_u32_e32 v8, vcc_lo, s17, v8, vcc_lo
	global_load_b64 v[7:8], v[7:8], off
	s_waitcnt vmcnt(0)
	v_cmp_le_u64_e32 vcc_lo, v[7:8], v[5:6]
	s_and_b32 s27, vcc_lo, exec_lo
.LBB454_244:
	s_or_b32 exec_lo, exec_lo, s15
	v_cndmask_b32_e64 v9, 0, 1, s27
	s_or_b32 exec_lo, exec_lo, s26
                                        ; implicit-def: $vgpr7
	s_and_saveexec_b32 s26, s14
	s_cbranch_execz .LBB454_146
.LBB454_245:
	s_waitcnt vmcnt(0) lgkmcnt(0)
	v_mov_b32_e32 v5, 0
	v_mov_b32_e32 v6, 0
	s_and_not1_b32 vcc_lo, exec_lo, s25
	s_cbranch_vccnz .LBB454_249
; %bb.246:
	v_dual_mov_b32 v7, s18 :: v_dual_mov_b32 v8, s19
	s_mov_b32 s27, 0
	s_set_inst_prefetch_distance 0x1
	.p2align	6
.LBB454_247:                            ; =>This Inner Loop Header: Depth=1
	s_delay_alu instid0(VALU_DEP_1) | instskip(NEXT) | instid1(VALU_DEP_2)
	v_sub_co_u32 v36, vcc_lo, v7, v5
	v_sub_co_ci_u32_e32 v37, vcc_lo, v8, v6, vcc_lo
	s_delay_alu instid0(VALU_DEP_1) | instskip(SKIP_1) | instid1(VALU_DEP_2)
	v_lshrrev_b64 v[38:39], 1, v[36:37]
	v_lshrrev_b64 v[36:37], 6, v[36:37]
	v_add_co_u32 v10, vcc_lo, v38, v5
	s_delay_alu instid0(VALU_DEP_3) | instskip(NEXT) | instid1(VALU_DEP_2)
	v_add_co_ci_u32_e32 v12, vcc_lo, v39, v6, vcc_lo
	v_add_co_u32 v36, vcc_lo, v10, v36
	s_delay_alu instid0(VALU_DEP_2) | instskip(NEXT) | instid1(VALU_DEP_1)
	v_add_co_ci_u32_e32 v37, vcc_lo, v12, v37, vcc_lo
	v_lshlrev_b64 v[38:39], 3, v[36:37]
	s_delay_alu instid0(VALU_DEP_1) | instskip(NEXT) | instid1(VALU_DEP_2)
	v_add_co_u32 v38, vcc_lo, s16, v38
	v_add_co_ci_u32_e32 v39, vcc_lo, s17, v39, vcc_lo
	v_add_co_u32 v10, vcc_lo, v36, 1
	v_add_co_ci_u32_e32 v12, vcc_lo, 0, v37, vcc_lo
	global_load_b64 v[38:39], v[38:39], off
	s_waitcnt vmcnt(0)
	v_cmp_lt_u64_e64 s15, v[38:39], v[3:4]
	s_delay_alu instid0(VALU_DEP_1) | instskip(SKIP_3) | instid1(VALU_DEP_1)
	v_cndmask_b32_e64 v8, v37, v8, s15
	v_cndmask_b32_e64 v7, v36, v7, s15
	;; [unrolled: 1-line block ×4, first 2 shown]
	v_cmp_ge_u64_e32 vcc_lo, v[5:6], v[7:8]
	s_or_b32 s27, vcc_lo, s27
	s_delay_alu instid0(SALU_CYCLE_1)
	s_and_not1_b32 exec_lo, exec_lo, s27
	s_cbranch_execnz .LBB454_247
; %bb.248:
	s_set_inst_prefetch_distance 0x2
	s_or_b32 exec_lo, exec_lo, s27
.LBB454_249:
	s_mov_b32 s27, 0
	s_mov_b32 s15, exec_lo
	v_cmpx_ne_u64_e64 s[18:19], v[5:6]
	s_cbranch_execz .LBB454_251
; %bb.250:
	v_lshlrev_b64 v[5:6], 3, v[5:6]
	s_delay_alu instid0(VALU_DEP_1) | instskip(NEXT) | instid1(VALU_DEP_2)
	v_add_co_u32 v5, vcc_lo, s16, v5
	v_add_co_ci_u32_e32 v6, vcc_lo, s17, v6, vcc_lo
	global_load_b64 v[5:6], v[5:6], off
	s_waitcnt vmcnt(0)
	v_cmp_le_u64_e32 vcc_lo, v[5:6], v[3:4]
	s_and_b32 s27, vcc_lo, exec_lo
.LBB454_251:
	s_or_b32 exec_lo, exec_lo, s15
	v_cndmask_b32_e64 v7, 0, 1, s27
	s_or_b32 exec_lo, exec_lo, s26
                                        ; implicit-def: $vgpr5
	s_and_saveexec_b32 s26, s24
	s_cbranch_execz .LBB454_259
.LBB454_252:
	s_waitcnt vmcnt(0) lgkmcnt(0)
	v_mov_b32_e32 v3, 0
	v_mov_b32_e32 v4, 0
	s_and_not1_b32 vcc_lo, exec_lo, s25
	s_cbranch_vccnz .LBB454_256
; %bb.253:
	v_dual_mov_b32 v5, s18 :: v_dual_mov_b32 v6, s19
	s_mov_b32 s25, 0
	s_set_inst_prefetch_distance 0x1
	.p2align	6
.LBB454_254:                            ; =>This Inner Loop Header: Depth=1
	s_delay_alu instid0(VALU_DEP_1) | instskip(NEXT) | instid1(VALU_DEP_2)
	v_sub_co_u32 v36, vcc_lo, v5, v3
	v_sub_co_ci_u32_e32 v37, vcc_lo, v6, v4, vcc_lo
	s_delay_alu instid0(VALU_DEP_1) | instskip(SKIP_1) | instid1(VALU_DEP_2)
	v_lshrrev_b64 v[38:39], 1, v[36:37]
	v_lshrrev_b64 v[36:37], 6, v[36:37]
	v_add_co_u32 v8, vcc_lo, v38, v3
	s_delay_alu instid0(VALU_DEP_3) | instskip(NEXT) | instid1(VALU_DEP_2)
	v_add_co_ci_u32_e32 v10, vcc_lo, v39, v4, vcc_lo
	v_add_co_u32 v36, vcc_lo, v8, v36
	s_delay_alu instid0(VALU_DEP_2) | instskip(NEXT) | instid1(VALU_DEP_1)
	v_add_co_ci_u32_e32 v37, vcc_lo, v10, v37, vcc_lo
	v_lshlrev_b64 v[38:39], 3, v[36:37]
	s_delay_alu instid0(VALU_DEP_1) | instskip(NEXT) | instid1(VALU_DEP_2)
	v_add_co_u32 v38, vcc_lo, s16, v38
	v_add_co_ci_u32_e32 v39, vcc_lo, s17, v39, vcc_lo
	v_add_co_u32 v8, vcc_lo, v36, 1
	v_add_co_ci_u32_e32 v10, vcc_lo, 0, v37, vcc_lo
	global_load_b64 v[38:39], v[38:39], off
	s_waitcnt vmcnt(0)
	v_cmp_lt_u64_e64 s15, v[38:39], v[1:2]
	s_delay_alu instid0(VALU_DEP_1) | instskip(SKIP_3) | instid1(VALU_DEP_1)
	v_cndmask_b32_e64 v6, v37, v6, s15
	v_cndmask_b32_e64 v5, v36, v5, s15
	;; [unrolled: 1-line block ×4, first 2 shown]
	v_cmp_ge_u64_e32 vcc_lo, v[3:4], v[5:6]
	s_or_b32 s25, vcc_lo, s25
	s_delay_alu instid0(SALU_CYCLE_1)
	s_and_not1_b32 exec_lo, exec_lo, s25
	s_cbranch_execnz .LBB454_254
; %bb.255:
	s_set_inst_prefetch_distance 0x2
	s_or_b32 exec_lo, exec_lo, s25
.LBB454_256:
	s_delay_alu instid0(VALU_DEP_1)
	v_cmp_ne_u64_e32 vcc_lo, s[18:19], v[3:4]
	s_mov_b32 s18, 0
	s_and_saveexec_b32 s15, vcc_lo
	s_cbranch_execz .LBB454_258
; %bb.257:
	v_lshlrev_b64 v[3:4], 3, v[3:4]
	s_delay_alu instid0(VALU_DEP_1) | instskip(NEXT) | instid1(VALU_DEP_2)
	v_add_co_u32 v3, vcc_lo, s16, v3
	v_add_co_ci_u32_e32 v4, vcc_lo, s17, v4, vcc_lo
	global_load_b64 v[3:4], v[3:4], off
	s_waitcnt vmcnt(0)
	v_cmp_le_u64_e32 vcc_lo, v[3:4], v[1:2]
	s_and_b32 s18, vcc_lo, exec_lo
.LBB454_258:
	s_or_b32 exec_lo, exec_lo, s15
	v_cndmask_b32_e64 v5, 0, 1, s18
.LBB454_259:
	s_or_b32 exec_lo, exec_lo, s26
	v_lshlrev_b32_e32 v0, 2, v0
	s_lshl_b64 s[16:17], s[20:21], 2
	s_delay_alu instid0(SALU_CYCLE_1) | instskip(SKIP_3) | instid1(VALU_DEP_1)
	s_add_u32 s15, s22, s16
	s_addc_u32 s16, s23, s17
	s_waitcnt vmcnt(0) lgkmcnt(0)
	v_add_co_u32 v1, s15, s15, v0
	v_add_co_ci_u32_e64 v2, null, s16, 0, s15
	s_and_saveexec_b32 s15, s0
	s_delay_alu instid0(SALU_CYCLE_1)
	s_xor_b32 s0, exec_lo, s15
	s_cbranch_execnz .LBB454_279
; %bb.260:
	s_or_b32 exec_lo, exec_lo, s0
	s_and_saveexec_b32 s0, s1
	s_cbranch_execnz .LBB454_280
.LBB454_261:
	s_or_b32 exec_lo, exec_lo, s0
	s_and_saveexec_b32 s0, s2
	s_cbranch_execnz .LBB454_281
.LBB454_262:
	s_or_b32 exec_lo, exec_lo, s0
	s_and_saveexec_b32 s0, s3
	s_cbranch_execnz .LBB454_282
.LBB454_263:
	s_or_b32 exec_lo, exec_lo, s0
	s_and_saveexec_b32 s0, s4
	s_cbranch_execnz .LBB454_283
.LBB454_264:
	s_or_b32 exec_lo, exec_lo, s0
	s_and_saveexec_b32 s0, s5
	s_cbranch_execnz .LBB454_284
.LBB454_265:
	s_or_b32 exec_lo, exec_lo, s0
	s_and_saveexec_b32 s0, s6
	s_cbranch_execnz .LBB454_285
.LBB454_266:
	s_or_b32 exec_lo, exec_lo, s0
	s_and_saveexec_b32 s0, s7
	s_cbranch_execnz .LBB454_286
.LBB454_267:
	s_or_b32 exec_lo, exec_lo, s0
	s_and_saveexec_b32 s0, s8
	s_cbranch_execnz .LBB454_287
.LBB454_268:
	s_or_b32 exec_lo, exec_lo, s0
	s_and_saveexec_b32 s0, s9
	s_cbranch_execnz .LBB454_288
.LBB454_269:
	s_or_b32 exec_lo, exec_lo, s0
	s_and_saveexec_b32 s0, s10
	s_cbranch_execnz .LBB454_289
.LBB454_270:
	s_or_b32 exec_lo, exec_lo, s0
	s_and_saveexec_b32 s0, s11
	s_cbranch_execnz .LBB454_290
.LBB454_271:
	s_or_b32 exec_lo, exec_lo, s0
	s_and_saveexec_b32 s0, s12
	s_cbranch_execnz .LBB454_291
.LBB454_272:
	s_or_b32 exec_lo, exec_lo, s0
	s_and_saveexec_b32 s0, s13
	s_cbranch_execnz .LBB454_292
.LBB454_273:
	s_or_b32 exec_lo, exec_lo, s0
	s_and_saveexec_b32 s0, s14
	s_cbranch_execz .LBB454_275
.LBB454_274:
	v_add_co_u32 v3, vcc_lo, 0x3000, v1
	v_add_co_ci_u32_e32 v4, vcc_lo, 0, v2, vcc_lo
	flat_store_b32 v[3:4], v7 offset:2048
.LBB454_275:
	s_or_b32 exec_lo, exec_lo, s0
.LBB454_276:
	s_and_saveexec_b32 s0, s24
	s_cbranch_execnz .LBB454_278
; %bb.277:
	s_endpgm
.LBB454_278:
	v_add_co_u32 v0, vcc_lo, 0x3000, v1
	v_add_co_ci_u32_e32 v1, vcc_lo, 0, v2, vcc_lo
	flat_store_b32 v[0:1], v5 offset:3072
	s_endpgm
.LBB454_279:
	flat_store_b32 v[1:2], v35
	s_or_b32 exec_lo, exec_lo, s0
	s_and_saveexec_b32 s0, s1
	s_cbranch_execz .LBB454_261
.LBB454_280:
	flat_store_b32 v[1:2], v33 offset:1024
	s_or_b32 exec_lo, exec_lo, s0
	s_and_saveexec_b32 s0, s2
	s_cbranch_execz .LBB454_262
.LBB454_281:
	flat_store_b32 v[1:2], v31 offset:2048
	s_or_b32 exec_lo, exec_lo, s0
	s_and_saveexec_b32 s0, s3
	s_cbranch_execz .LBB454_263
.LBB454_282:
	flat_store_b32 v[1:2], v29 offset:3072
	s_or_b32 exec_lo, exec_lo, s0
	s_and_saveexec_b32 s0, s4
	s_cbranch_execz .LBB454_264
.LBB454_283:
	v_add_co_u32 v3, vcc_lo, 0x1000, v1
	v_add_co_ci_u32_e32 v4, vcc_lo, 0, v2, vcc_lo
	flat_store_b32 v[3:4], v27
	s_or_b32 exec_lo, exec_lo, s0
	s_and_saveexec_b32 s0, s5
	s_cbranch_execz .LBB454_265
.LBB454_284:
	v_add_co_u32 v3, vcc_lo, 0x1000, v1
	v_add_co_ci_u32_e32 v4, vcc_lo, 0, v2, vcc_lo
	flat_store_b32 v[3:4], v25 offset:1024
	s_or_b32 exec_lo, exec_lo, s0
	s_and_saveexec_b32 s0, s6
	s_cbranch_execz .LBB454_266
.LBB454_285:
	v_add_co_u32 v3, vcc_lo, 0x1000, v1
	v_add_co_ci_u32_e32 v4, vcc_lo, 0, v2, vcc_lo
	flat_store_b32 v[3:4], v23 offset:2048
	s_or_b32 exec_lo, exec_lo, s0
	s_and_saveexec_b32 s0, s7
	s_cbranch_execz .LBB454_267
.LBB454_286:
	v_add_co_u32 v3, vcc_lo, 0x1000, v1
	v_add_co_ci_u32_e32 v4, vcc_lo, 0, v2, vcc_lo
	flat_store_b32 v[3:4], v21 offset:3072
	s_or_b32 exec_lo, exec_lo, s0
	s_and_saveexec_b32 s0, s8
	s_cbranch_execz .LBB454_268
.LBB454_287:
	v_add_co_u32 v3, vcc_lo, 0x2000, v1
	v_add_co_ci_u32_e32 v4, vcc_lo, 0, v2, vcc_lo
	flat_store_b32 v[3:4], v19
	s_or_b32 exec_lo, exec_lo, s0
	s_and_saveexec_b32 s0, s9
	s_cbranch_execz .LBB454_269
.LBB454_288:
	v_add_co_u32 v3, vcc_lo, 0x2000, v1
	v_add_co_ci_u32_e32 v4, vcc_lo, 0, v2, vcc_lo
	flat_store_b32 v[3:4], v17 offset:1024
	s_or_b32 exec_lo, exec_lo, s0
	s_and_saveexec_b32 s0, s10
	s_cbranch_execz .LBB454_270
.LBB454_289:
	v_add_co_u32 v3, vcc_lo, 0x2000, v1
	v_add_co_ci_u32_e32 v4, vcc_lo, 0, v2, vcc_lo
	flat_store_b32 v[3:4], v15 offset:2048
	s_or_b32 exec_lo, exec_lo, s0
	s_and_saveexec_b32 s0, s11
	s_cbranch_execz .LBB454_271
.LBB454_290:
	v_add_co_u32 v3, vcc_lo, 0x2000, v1
	v_add_co_ci_u32_e32 v4, vcc_lo, 0, v2, vcc_lo
	flat_store_b32 v[3:4], v13 offset:3072
	s_or_b32 exec_lo, exec_lo, s0
	s_and_saveexec_b32 s0, s12
	s_cbranch_execz .LBB454_272
.LBB454_291:
	v_add_co_u32 v3, vcc_lo, 0x3000, v1
	v_add_co_ci_u32_e32 v4, vcc_lo, 0, v2, vcc_lo
	flat_store_b32 v[3:4], v11
	s_or_b32 exec_lo, exec_lo, s0
	s_and_saveexec_b32 s0, s13
	s_cbranch_execz .LBB454_273
.LBB454_292:
	v_add_co_u32 v3, vcc_lo, 0x3000, v1
	v_add_co_ci_u32_e32 v4, vcc_lo, 0, v2, vcc_lo
	flat_store_b32 v[3:4], v9 offset:1024
	s_or_b32 exec_lo, exec_lo, s0
	s_and_saveexec_b32 s0, s14
	s_cbranch_execnz .LBB454_274
	s_branch .LBB454_275
	.section	.rodata,"a",@progbits
	.p2align	6, 0x0
	.amdhsa_kernel _ZN7rocprim17ROCPRIM_400000_NS6detail17trampoline_kernelINS0_14default_configENS1_29binary_search_config_selectorIyiEEZNS1_14transform_implILb0ES3_S5_N6thrust23THRUST_200600_302600_NS6detail15normal_iteratorINS8_10device_ptrIyEEEENSA_INSB_IiEEEEZNS1_13binary_searchIS3_S5_SD_SD_SF_NS1_16binary_search_opENS9_16wrapped_functionINS0_4lessIvEEbEEEE10hipError_tPvRmT1_T2_T3_mmT4_T5_P12ihipStream_tbEUlRKyE_EESM_SQ_SR_mSS_SV_bEUlT_E_NS1_11comp_targetILNS1_3genE9ELNS1_11target_archE1100ELNS1_3gpuE3ELNS1_3repE0EEENS1_30default_config_static_selectorELNS0_4arch9wavefront6targetE0EEEvSP_
		.amdhsa_group_segment_fixed_size 0
		.amdhsa_private_segment_fixed_size 0
		.amdhsa_kernarg_size 312
		.amdhsa_user_sgpr_count 15
		.amdhsa_user_sgpr_dispatch_ptr 0
		.amdhsa_user_sgpr_queue_ptr 0
		.amdhsa_user_sgpr_kernarg_segment_ptr 1
		.amdhsa_user_sgpr_dispatch_id 0
		.amdhsa_user_sgpr_private_segment_size 0
		.amdhsa_wavefront_size32 1
		.amdhsa_uses_dynamic_stack 0
		.amdhsa_enable_private_segment 0
		.amdhsa_system_sgpr_workgroup_id_x 1
		.amdhsa_system_sgpr_workgroup_id_y 0
		.amdhsa_system_sgpr_workgroup_id_z 0
		.amdhsa_system_sgpr_workgroup_info 0
		.amdhsa_system_vgpr_workitem_id 0
		.amdhsa_next_free_vgpr 42
		.amdhsa_next_free_sgpr 28
		.amdhsa_reserve_vcc 1
		.amdhsa_float_round_mode_32 0
		.amdhsa_float_round_mode_16_64 0
		.amdhsa_float_denorm_mode_32 3
		.amdhsa_float_denorm_mode_16_64 3
		.amdhsa_dx10_clamp 1
		.amdhsa_ieee_mode 1
		.amdhsa_fp16_overflow 0
		.amdhsa_workgroup_processor_mode 1
		.amdhsa_memory_ordered 1
		.amdhsa_forward_progress 0
		.amdhsa_shared_vgpr_count 0
		.amdhsa_exception_fp_ieee_invalid_op 0
		.amdhsa_exception_fp_denorm_src 0
		.amdhsa_exception_fp_ieee_div_zero 0
		.amdhsa_exception_fp_ieee_overflow 0
		.amdhsa_exception_fp_ieee_underflow 0
		.amdhsa_exception_fp_ieee_inexact 0
		.amdhsa_exception_int_div_zero 0
	.end_amdhsa_kernel
	.section	.text._ZN7rocprim17ROCPRIM_400000_NS6detail17trampoline_kernelINS0_14default_configENS1_29binary_search_config_selectorIyiEEZNS1_14transform_implILb0ES3_S5_N6thrust23THRUST_200600_302600_NS6detail15normal_iteratorINS8_10device_ptrIyEEEENSA_INSB_IiEEEEZNS1_13binary_searchIS3_S5_SD_SD_SF_NS1_16binary_search_opENS9_16wrapped_functionINS0_4lessIvEEbEEEE10hipError_tPvRmT1_T2_T3_mmT4_T5_P12ihipStream_tbEUlRKyE_EESM_SQ_SR_mSS_SV_bEUlT_E_NS1_11comp_targetILNS1_3genE9ELNS1_11target_archE1100ELNS1_3gpuE3ELNS1_3repE0EEENS1_30default_config_static_selectorELNS0_4arch9wavefront6targetE0EEEvSP_,"axG",@progbits,_ZN7rocprim17ROCPRIM_400000_NS6detail17trampoline_kernelINS0_14default_configENS1_29binary_search_config_selectorIyiEEZNS1_14transform_implILb0ES3_S5_N6thrust23THRUST_200600_302600_NS6detail15normal_iteratorINS8_10device_ptrIyEEEENSA_INSB_IiEEEEZNS1_13binary_searchIS3_S5_SD_SD_SF_NS1_16binary_search_opENS9_16wrapped_functionINS0_4lessIvEEbEEEE10hipError_tPvRmT1_T2_T3_mmT4_T5_P12ihipStream_tbEUlRKyE_EESM_SQ_SR_mSS_SV_bEUlT_E_NS1_11comp_targetILNS1_3genE9ELNS1_11target_archE1100ELNS1_3gpuE3ELNS1_3repE0EEENS1_30default_config_static_selectorELNS0_4arch9wavefront6targetE0EEEvSP_,comdat
.Lfunc_end454:
	.size	_ZN7rocprim17ROCPRIM_400000_NS6detail17trampoline_kernelINS0_14default_configENS1_29binary_search_config_selectorIyiEEZNS1_14transform_implILb0ES3_S5_N6thrust23THRUST_200600_302600_NS6detail15normal_iteratorINS8_10device_ptrIyEEEENSA_INSB_IiEEEEZNS1_13binary_searchIS3_S5_SD_SD_SF_NS1_16binary_search_opENS9_16wrapped_functionINS0_4lessIvEEbEEEE10hipError_tPvRmT1_T2_T3_mmT4_T5_P12ihipStream_tbEUlRKyE_EESM_SQ_SR_mSS_SV_bEUlT_E_NS1_11comp_targetILNS1_3genE9ELNS1_11target_archE1100ELNS1_3gpuE3ELNS1_3repE0EEENS1_30default_config_static_selectorELNS0_4arch9wavefront6targetE0EEEvSP_, .Lfunc_end454-_ZN7rocprim17ROCPRIM_400000_NS6detail17trampoline_kernelINS0_14default_configENS1_29binary_search_config_selectorIyiEEZNS1_14transform_implILb0ES3_S5_N6thrust23THRUST_200600_302600_NS6detail15normal_iteratorINS8_10device_ptrIyEEEENSA_INSB_IiEEEEZNS1_13binary_searchIS3_S5_SD_SD_SF_NS1_16binary_search_opENS9_16wrapped_functionINS0_4lessIvEEbEEEE10hipError_tPvRmT1_T2_T3_mmT4_T5_P12ihipStream_tbEUlRKyE_EESM_SQ_SR_mSS_SV_bEUlT_E_NS1_11comp_targetILNS1_3genE9ELNS1_11target_archE1100ELNS1_3gpuE3ELNS1_3repE0EEENS1_30default_config_static_selectorELNS0_4arch9wavefront6targetE0EEEvSP_
                                        ; -- End function
	.section	.AMDGPU.csdata,"",@progbits
; Kernel info:
; codeLenInByte = 12400
; NumSgprs: 30
; NumVgprs: 42
; ScratchSize: 0
; MemoryBound: 0
; FloatMode: 240
; IeeeMode: 1
; LDSByteSize: 0 bytes/workgroup (compile time only)
; SGPRBlocks: 3
; VGPRBlocks: 5
; NumSGPRsForWavesPerEU: 30
; NumVGPRsForWavesPerEU: 42
; Occupancy: 16
; WaveLimiterHint : 1
; COMPUTE_PGM_RSRC2:SCRATCH_EN: 0
; COMPUTE_PGM_RSRC2:USER_SGPR: 15
; COMPUTE_PGM_RSRC2:TRAP_HANDLER: 0
; COMPUTE_PGM_RSRC2:TGID_X_EN: 1
; COMPUTE_PGM_RSRC2:TGID_Y_EN: 0
; COMPUTE_PGM_RSRC2:TGID_Z_EN: 0
; COMPUTE_PGM_RSRC2:TIDIG_COMP_CNT: 0
	.section	.text._ZN7rocprim17ROCPRIM_400000_NS6detail17trampoline_kernelINS0_14default_configENS1_29binary_search_config_selectorIyiEEZNS1_14transform_implILb0ES3_S5_N6thrust23THRUST_200600_302600_NS6detail15normal_iteratorINS8_10device_ptrIyEEEENSA_INSB_IiEEEEZNS1_13binary_searchIS3_S5_SD_SD_SF_NS1_16binary_search_opENS9_16wrapped_functionINS0_4lessIvEEbEEEE10hipError_tPvRmT1_T2_T3_mmT4_T5_P12ihipStream_tbEUlRKyE_EESM_SQ_SR_mSS_SV_bEUlT_E_NS1_11comp_targetILNS1_3genE8ELNS1_11target_archE1030ELNS1_3gpuE2ELNS1_3repE0EEENS1_30default_config_static_selectorELNS0_4arch9wavefront6targetE0EEEvSP_,"axG",@progbits,_ZN7rocprim17ROCPRIM_400000_NS6detail17trampoline_kernelINS0_14default_configENS1_29binary_search_config_selectorIyiEEZNS1_14transform_implILb0ES3_S5_N6thrust23THRUST_200600_302600_NS6detail15normal_iteratorINS8_10device_ptrIyEEEENSA_INSB_IiEEEEZNS1_13binary_searchIS3_S5_SD_SD_SF_NS1_16binary_search_opENS9_16wrapped_functionINS0_4lessIvEEbEEEE10hipError_tPvRmT1_T2_T3_mmT4_T5_P12ihipStream_tbEUlRKyE_EESM_SQ_SR_mSS_SV_bEUlT_E_NS1_11comp_targetILNS1_3genE8ELNS1_11target_archE1030ELNS1_3gpuE2ELNS1_3repE0EEENS1_30default_config_static_selectorELNS0_4arch9wavefront6targetE0EEEvSP_,comdat
	.protected	_ZN7rocprim17ROCPRIM_400000_NS6detail17trampoline_kernelINS0_14default_configENS1_29binary_search_config_selectorIyiEEZNS1_14transform_implILb0ES3_S5_N6thrust23THRUST_200600_302600_NS6detail15normal_iteratorINS8_10device_ptrIyEEEENSA_INSB_IiEEEEZNS1_13binary_searchIS3_S5_SD_SD_SF_NS1_16binary_search_opENS9_16wrapped_functionINS0_4lessIvEEbEEEE10hipError_tPvRmT1_T2_T3_mmT4_T5_P12ihipStream_tbEUlRKyE_EESM_SQ_SR_mSS_SV_bEUlT_E_NS1_11comp_targetILNS1_3genE8ELNS1_11target_archE1030ELNS1_3gpuE2ELNS1_3repE0EEENS1_30default_config_static_selectorELNS0_4arch9wavefront6targetE0EEEvSP_ ; -- Begin function _ZN7rocprim17ROCPRIM_400000_NS6detail17trampoline_kernelINS0_14default_configENS1_29binary_search_config_selectorIyiEEZNS1_14transform_implILb0ES3_S5_N6thrust23THRUST_200600_302600_NS6detail15normal_iteratorINS8_10device_ptrIyEEEENSA_INSB_IiEEEEZNS1_13binary_searchIS3_S5_SD_SD_SF_NS1_16binary_search_opENS9_16wrapped_functionINS0_4lessIvEEbEEEE10hipError_tPvRmT1_T2_T3_mmT4_T5_P12ihipStream_tbEUlRKyE_EESM_SQ_SR_mSS_SV_bEUlT_E_NS1_11comp_targetILNS1_3genE8ELNS1_11target_archE1030ELNS1_3gpuE2ELNS1_3repE0EEENS1_30default_config_static_selectorELNS0_4arch9wavefront6targetE0EEEvSP_
	.globl	_ZN7rocprim17ROCPRIM_400000_NS6detail17trampoline_kernelINS0_14default_configENS1_29binary_search_config_selectorIyiEEZNS1_14transform_implILb0ES3_S5_N6thrust23THRUST_200600_302600_NS6detail15normal_iteratorINS8_10device_ptrIyEEEENSA_INSB_IiEEEEZNS1_13binary_searchIS3_S5_SD_SD_SF_NS1_16binary_search_opENS9_16wrapped_functionINS0_4lessIvEEbEEEE10hipError_tPvRmT1_T2_T3_mmT4_T5_P12ihipStream_tbEUlRKyE_EESM_SQ_SR_mSS_SV_bEUlT_E_NS1_11comp_targetILNS1_3genE8ELNS1_11target_archE1030ELNS1_3gpuE2ELNS1_3repE0EEENS1_30default_config_static_selectorELNS0_4arch9wavefront6targetE0EEEvSP_
	.p2align	8
	.type	_ZN7rocprim17ROCPRIM_400000_NS6detail17trampoline_kernelINS0_14default_configENS1_29binary_search_config_selectorIyiEEZNS1_14transform_implILb0ES3_S5_N6thrust23THRUST_200600_302600_NS6detail15normal_iteratorINS8_10device_ptrIyEEEENSA_INSB_IiEEEEZNS1_13binary_searchIS3_S5_SD_SD_SF_NS1_16binary_search_opENS9_16wrapped_functionINS0_4lessIvEEbEEEE10hipError_tPvRmT1_T2_T3_mmT4_T5_P12ihipStream_tbEUlRKyE_EESM_SQ_SR_mSS_SV_bEUlT_E_NS1_11comp_targetILNS1_3genE8ELNS1_11target_archE1030ELNS1_3gpuE2ELNS1_3repE0EEENS1_30default_config_static_selectorELNS0_4arch9wavefront6targetE0EEEvSP_,@function
_ZN7rocprim17ROCPRIM_400000_NS6detail17trampoline_kernelINS0_14default_configENS1_29binary_search_config_selectorIyiEEZNS1_14transform_implILb0ES3_S5_N6thrust23THRUST_200600_302600_NS6detail15normal_iteratorINS8_10device_ptrIyEEEENSA_INSB_IiEEEEZNS1_13binary_searchIS3_S5_SD_SD_SF_NS1_16binary_search_opENS9_16wrapped_functionINS0_4lessIvEEbEEEE10hipError_tPvRmT1_T2_T3_mmT4_T5_P12ihipStream_tbEUlRKyE_EESM_SQ_SR_mSS_SV_bEUlT_E_NS1_11comp_targetILNS1_3genE8ELNS1_11target_archE1030ELNS1_3gpuE2ELNS1_3repE0EEENS1_30default_config_static_selectorELNS0_4arch9wavefront6targetE0EEEvSP_: ; @_ZN7rocprim17ROCPRIM_400000_NS6detail17trampoline_kernelINS0_14default_configENS1_29binary_search_config_selectorIyiEEZNS1_14transform_implILb0ES3_S5_N6thrust23THRUST_200600_302600_NS6detail15normal_iteratorINS8_10device_ptrIyEEEENSA_INSB_IiEEEEZNS1_13binary_searchIS3_S5_SD_SD_SF_NS1_16binary_search_opENS9_16wrapped_functionINS0_4lessIvEEbEEEE10hipError_tPvRmT1_T2_T3_mmT4_T5_P12ihipStream_tbEUlRKyE_EESM_SQ_SR_mSS_SV_bEUlT_E_NS1_11comp_targetILNS1_3genE8ELNS1_11target_archE1030ELNS1_3gpuE2ELNS1_3repE0EEENS1_30default_config_static_selectorELNS0_4arch9wavefront6targetE0EEEvSP_
; %bb.0:
	.section	.rodata,"a",@progbits
	.p2align	6, 0x0
	.amdhsa_kernel _ZN7rocprim17ROCPRIM_400000_NS6detail17trampoline_kernelINS0_14default_configENS1_29binary_search_config_selectorIyiEEZNS1_14transform_implILb0ES3_S5_N6thrust23THRUST_200600_302600_NS6detail15normal_iteratorINS8_10device_ptrIyEEEENSA_INSB_IiEEEEZNS1_13binary_searchIS3_S5_SD_SD_SF_NS1_16binary_search_opENS9_16wrapped_functionINS0_4lessIvEEbEEEE10hipError_tPvRmT1_T2_T3_mmT4_T5_P12ihipStream_tbEUlRKyE_EESM_SQ_SR_mSS_SV_bEUlT_E_NS1_11comp_targetILNS1_3genE8ELNS1_11target_archE1030ELNS1_3gpuE2ELNS1_3repE0EEENS1_30default_config_static_selectorELNS0_4arch9wavefront6targetE0EEEvSP_
		.amdhsa_group_segment_fixed_size 0
		.amdhsa_private_segment_fixed_size 0
		.amdhsa_kernarg_size 56
		.amdhsa_user_sgpr_count 15
		.amdhsa_user_sgpr_dispatch_ptr 0
		.amdhsa_user_sgpr_queue_ptr 0
		.amdhsa_user_sgpr_kernarg_segment_ptr 1
		.amdhsa_user_sgpr_dispatch_id 0
		.amdhsa_user_sgpr_private_segment_size 0
		.amdhsa_wavefront_size32 1
		.amdhsa_uses_dynamic_stack 0
		.amdhsa_enable_private_segment 0
		.amdhsa_system_sgpr_workgroup_id_x 1
		.amdhsa_system_sgpr_workgroup_id_y 0
		.amdhsa_system_sgpr_workgroup_id_z 0
		.amdhsa_system_sgpr_workgroup_info 0
		.amdhsa_system_vgpr_workitem_id 0
		.amdhsa_next_free_vgpr 1
		.amdhsa_next_free_sgpr 1
		.amdhsa_reserve_vcc 0
		.amdhsa_float_round_mode_32 0
		.amdhsa_float_round_mode_16_64 0
		.amdhsa_float_denorm_mode_32 3
		.amdhsa_float_denorm_mode_16_64 3
		.amdhsa_dx10_clamp 1
		.amdhsa_ieee_mode 1
		.amdhsa_fp16_overflow 0
		.amdhsa_workgroup_processor_mode 1
		.amdhsa_memory_ordered 1
		.amdhsa_forward_progress 0
		.amdhsa_shared_vgpr_count 0
		.amdhsa_exception_fp_ieee_invalid_op 0
		.amdhsa_exception_fp_denorm_src 0
		.amdhsa_exception_fp_ieee_div_zero 0
		.amdhsa_exception_fp_ieee_overflow 0
		.amdhsa_exception_fp_ieee_underflow 0
		.amdhsa_exception_fp_ieee_inexact 0
		.amdhsa_exception_int_div_zero 0
	.end_amdhsa_kernel
	.section	.text._ZN7rocprim17ROCPRIM_400000_NS6detail17trampoline_kernelINS0_14default_configENS1_29binary_search_config_selectorIyiEEZNS1_14transform_implILb0ES3_S5_N6thrust23THRUST_200600_302600_NS6detail15normal_iteratorINS8_10device_ptrIyEEEENSA_INSB_IiEEEEZNS1_13binary_searchIS3_S5_SD_SD_SF_NS1_16binary_search_opENS9_16wrapped_functionINS0_4lessIvEEbEEEE10hipError_tPvRmT1_T2_T3_mmT4_T5_P12ihipStream_tbEUlRKyE_EESM_SQ_SR_mSS_SV_bEUlT_E_NS1_11comp_targetILNS1_3genE8ELNS1_11target_archE1030ELNS1_3gpuE2ELNS1_3repE0EEENS1_30default_config_static_selectorELNS0_4arch9wavefront6targetE0EEEvSP_,"axG",@progbits,_ZN7rocprim17ROCPRIM_400000_NS6detail17trampoline_kernelINS0_14default_configENS1_29binary_search_config_selectorIyiEEZNS1_14transform_implILb0ES3_S5_N6thrust23THRUST_200600_302600_NS6detail15normal_iteratorINS8_10device_ptrIyEEEENSA_INSB_IiEEEEZNS1_13binary_searchIS3_S5_SD_SD_SF_NS1_16binary_search_opENS9_16wrapped_functionINS0_4lessIvEEbEEEE10hipError_tPvRmT1_T2_T3_mmT4_T5_P12ihipStream_tbEUlRKyE_EESM_SQ_SR_mSS_SV_bEUlT_E_NS1_11comp_targetILNS1_3genE8ELNS1_11target_archE1030ELNS1_3gpuE2ELNS1_3repE0EEENS1_30default_config_static_selectorELNS0_4arch9wavefront6targetE0EEEvSP_,comdat
.Lfunc_end455:
	.size	_ZN7rocprim17ROCPRIM_400000_NS6detail17trampoline_kernelINS0_14default_configENS1_29binary_search_config_selectorIyiEEZNS1_14transform_implILb0ES3_S5_N6thrust23THRUST_200600_302600_NS6detail15normal_iteratorINS8_10device_ptrIyEEEENSA_INSB_IiEEEEZNS1_13binary_searchIS3_S5_SD_SD_SF_NS1_16binary_search_opENS9_16wrapped_functionINS0_4lessIvEEbEEEE10hipError_tPvRmT1_T2_T3_mmT4_T5_P12ihipStream_tbEUlRKyE_EESM_SQ_SR_mSS_SV_bEUlT_E_NS1_11comp_targetILNS1_3genE8ELNS1_11target_archE1030ELNS1_3gpuE2ELNS1_3repE0EEENS1_30default_config_static_selectorELNS0_4arch9wavefront6targetE0EEEvSP_, .Lfunc_end455-_ZN7rocprim17ROCPRIM_400000_NS6detail17trampoline_kernelINS0_14default_configENS1_29binary_search_config_selectorIyiEEZNS1_14transform_implILb0ES3_S5_N6thrust23THRUST_200600_302600_NS6detail15normal_iteratorINS8_10device_ptrIyEEEENSA_INSB_IiEEEEZNS1_13binary_searchIS3_S5_SD_SD_SF_NS1_16binary_search_opENS9_16wrapped_functionINS0_4lessIvEEbEEEE10hipError_tPvRmT1_T2_T3_mmT4_T5_P12ihipStream_tbEUlRKyE_EESM_SQ_SR_mSS_SV_bEUlT_E_NS1_11comp_targetILNS1_3genE8ELNS1_11target_archE1030ELNS1_3gpuE2ELNS1_3repE0EEENS1_30default_config_static_selectorELNS0_4arch9wavefront6targetE0EEEvSP_
                                        ; -- End function
	.section	.AMDGPU.csdata,"",@progbits
; Kernel info:
; codeLenInByte = 0
; NumSgprs: 0
; NumVgprs: 0
; ScratchSize: 0
; MemoryBound: 0
; FloatMode: 240
; IeeeMode: 1
; LDSByteSize: 0 bytes/workgroup (compile time only)
; SGPRBlocks: 0
; VGPRBlocks: 0
; NumSGPRsForWavesPerEU: 1
; NumVGPRsForWavesPerEU: 1
; Occupancy: 16
; WaveLimiterHint : 0
; COMPUTE_PGM_RSRC2:SCRATCH_EN: 0
; COMPUTE_PGM_RSRC2:USER_SGPR: 15
; COMPUTE_PGM_RSRC2:TRAP_HANDLER: 0
; COMPUTE_PGM_RSRC2:TGID_X_EN: 1
; COMPUTE_PGM_RSRC2:TGID_Y_EN: 0
; COMPUTE_PGM_RSRC2:TGID_Z_EN: 0
; COMPUTE_PGM_RSRC2:TIDIG_COMP_CNT: 0
	.section	.text._ZN7rocprim17ROCPRIM_400000_NS6detail17trampoline_kernelINS0_14default_configENS1_29binary_search_config_selectorIjbEEZNS1_14transform_implILb0ES3_S5_N6thrust23THRUST_200600_302600_NS6detail15normal_iteratorINS8_10device_ptrIjEEEENSA_INSB_IbEEEEZNS1_13binary_searchIS3_S5_SD_SD_SF_NS1_16binary_search_opENS9_16wrapped_functionINS0_4lessIvEEbEEEE10hipError_tPvRmT1_T2_T3_mmT4_T5_P12ihipStream_tbEUlRKjE_EESM_SQ_SR_mSS_SV_bEUlT_E_NS1_11comp_targetILNS1_3genE0ELNS1_11target_archE4294967295ELNS1_3gpuE0ELNS1_3repE0EEENS1_30default_config_static_selectorELNS0_4arch9wavefront6targetE0EEEvSP_,"axG",@progbits,_ZN7rocprim17ROCPRIM_400000_NS6detail17trampoline_kernelINS0_14default_configENS1_29binary_search_config_selectorIjbEEZNS1_14transform_implILb0ES3_S5_N6thrust23THRUST_200600_302600_NS6detail15normal_iteratorINS8_10device_ptrIjEEEENSA_INSB_IbEEEEZNS1_13binary_searchIS3_S5_SD_SD_SF_NS1_16binary_search_opENS9_16wrapped_functionINS0_4lessIvEEbEEEE10hipError_tPvRmT1_T2_T3_mmT4_T5_P12ihipStream_tbEUlRKjE_EESM_SQ_SR_mSS_SV_bEUlT_E_NS1_11comp_targetILNS1_3genE0ELNS1_11target_archE4294967295ELNS1_3gpuE0ELNS1_3repE0EEENS1_30default_config_static_selectorELNS0_4arch9wavefront6targetE0EEEvSP_,comdat
	.protected	_ZN7rocprim17ROCPRIM_400000_NS6detail17trampoline_kernelINS0_14default_configENS1_29binary_search_config_selectorIjbEEZNS1_14transform_implILb0ES3_S5_N6thrust23THRUST_200600_302600_NS6detail15normal_iteratorINS8_10device_ptrIjEEEENSA_INSB_IbEEEEZNS1_13binary_searchIS3_S5_SD_SD_SF_NS1_16binary_search_opENS9_16wrapped_functionINS0_4lessIvEEbEEEE10hipError_tPvRmT1_T2_T3_mmT4_T5_P12ihipStream_tbEUlRKjE_EESM_SQ_SR_mSS_SV_bEUlT_E_NS1_11comp_targetILNS1_3genE0ELNS1_11target_archE4294967295ELNS1_3gpuE0ELNS1_3repE0EEENS1_30default_config_static_selectorELNS0_4arch9wavefront6targetE0EEEvSP_ ; -- Begin function _ZN7rocprim17ROCPRIM_400000_NS6detail17trampoline_kernelINS0_14default_configENS1_29binary_search_config_selectorIjbEEZNS1_14transform_implILb0ES3_S5_N6thrust23THRUST_200600_302600_NS6detail15normal_iteratorINS8_10device_ptrIjEEEENSA_INSB_IbEEEEZNS1_13binary_searchIS3_S5_SD_SD_SF_NS1_16binary_search_opENS9_16wrapped_functionINS0_4lessIvEEbEEEE10hipError_tPvRmT1_T2_T3_mmT4_T5_P12ihipStream_tbEUlRKjE_EESM_SQ_SR_mSS_SV_bEUlT_E_NS1_11comp_targetILNS1_3genE0ELNS1_11target_archE4294967295ELNS1_3gpuE0ELNS1_3repE0EEENS1_30default_config_static_selectorELNS0_4arch9wavefront6targetE0EEEvSP_
	.globl	_ZN7rocprim17ROCPRIM_400000_NS6detail17trampoline_kernelINS0_14default_configENS1_29binary_search_config_selectorIjbEEZNS1_14transform_implILb0ES3_S5_N6thrust23THRUST_200600_302600_NS6detail15normal_iteratorINS8_10device_ptrIjEEEENSA_INSB_IbEEEEZNS1_13binary_searchIS3_S5_SD_SD_SF_NS1_16binary_search_opENS9_16wrapped_functionINS0_4lessIvEEbEEEE10hipError_tPvRmT1_T2_T3_mmT4_T5_P12ihipStream_tbEUlRKjE_EESM_SQ_SR_mSS_SV_bEUlT_E_NS1_11comp_targetILNS1_3genE0ELNS1_11target_archE4294967295ELNS1_3gpuE0ELNS1_3repE0EEENS1_30default_config_static_selectorELNS0_4arch9wavefront6targetE0EEEvSP_
	.p2align	8
	.type	_ZN7rocprim17ROCPRIM_400000_NS6detail17trampoline_kernelINS0_14default_configENS1_29binary_search_config_selectorIjbEEZNS1_14transform_implILb0ES3_S5_N6thrust23THRUST_200600_302600_NS6detail15normal_iteratorINS8_10device_ptrIjEEEENSA_INSB_IbEEEEZNS1_13binary_searchIS3_S5_SD_SD_SF_NS1_16binary_search_opENS9_16wrapped_functionINS0_4lessIvEEbEEEE10hipError_tPvRmT1_T2_T3_mmT4_T5_P12ihipStream_tbEUlRKjE_EESM_SQ_SR_mSS_SV_bEUlT_E_NS1_11comp_targetILNS1_3genE0ELNS1_11target_archE4294967295ELNS1_3gpuE0ELNS1_3repE0EEENS1_30default_config_static_selectorELNS0_4arch9wavefront6targetE0EEEvSP_,@function
_ZN7rocprim17ROCPRIM_400000_NS6detail17trampoline_kernelINS0_14default_configENS1_29binary_search_config_selectorIjbEEZNS1_14transform_implILb0ES3_S5_N6thrust23THRUST_200600_302600_NS6detail15normal_iteratorINS8_10device_ptrIjEEEENSA_INSB_IbEEEEZNS1_13binary_searchIS3_S5_SD_SD_SF_NS1_16binary_search_opENS9_16wrapped_functionINS0_4lessIvEEbEEEE10hipError_tPvRmT1_T2_T3_mmT4_T5_P12ihipStream_tbEUlRKjE_EESM_SQ_SR_mSS_SV_bEUlT_E_NS1_11comp_targetILNS1_3genE0ELNS1_11target_archE4294967295ELNS1_3gpuE0ELNS1_3repE0EEENS1_30default_config_static_selectorELNS0_4arch9wavefront6targetE0EEEvSP_: ; @_ZN7rocprim17ROCPRIM_400000_NS6detail17trampoline_kernelINS0_14default_configENS1_29binary_search_config_selectorIjbEEZNS1_14transform_implILb0ES3_S5_N6thrust23THRUST_200600_302600_NS6detail15normal_iteratorINS8_10device_ptrIjEEEENSA_INSB_IbEEEEZNS1_13binary_searchIS3_S5_SD_SD_SF_NS1_16binary_search_opENS9_16wrapped_functionINS0_4lessIvEEbEEEE10hipError_tPvRmT1_T2_T3_mmT4_T5_P12ihipStream_tbEUlRKjE_EESM_SQ_SR_mSS_SV_bEUlT_E_NS1_11comp_targetILNS1_3genE0ELNS1_11target_archE4294967295ELNS1_3gpuE0ELNS1_3repE0EEENS1_30default_config_static_selectorELNS0_4arch9wavefront6targetE0EEEvSP_
; %bb.0:
	.section	.rodata,"a",@progbits
	.p2align	6, 0x0
	.amdhsa_kernel _ZN7rocprim17ROCPRIM_400000_NS6detail17trampoline_kernelINS0_14default_configENS1_29binary_search_config_selectorIjbEEZNS1_14transform_implILb0ES3_S5_N6thrust23THRUST_200600_302600_NS6detail15normal_iteratorINS8_10device_ptrIjEEEENSA_INSB_IbEEEEZNS1_13binary_searchIS3_S5_SD_SD_SF_NS1_16binary_search_opENS9_16wrapped_functionINS0_4lessIvEEbEEEE10hipError_tPvRmT1_T2_T3_mmT4_T5_P12ihipStream_tbEUlRKjE_EESM_SQ_SR_mSS_SV_bEUlT_E_NS1_11comp_targetILNS1_3genE0ELNS1_11target_archE4294967295ELNS1_3gpuE0ELNS1_3repE0EEENS1_30default_config_static_selectorELNS0_4arch9wavefront6targetE0EEEvSP_
		.amdhsa_group_segment_fixed_size 0
		.amdhsa_private_segment_fixed_size 0
		.amdhsa_kernarg_size 56
		.amdhsa_user_sgpr_count 15
		.amdhsa_user_sgpr_dispatch_ptr 0
		.amdhsa_user_sgpr_queue_ptr 0
		.amdhsa_user_sgpr_kernarg_segment_ptr 1
		.amdhsa_user_sgpr_dispatch_id 0
		.amdhsa_user_sgpr_private_segment_size 0
		.amdhsa_wavefront_size32 1
		.amdhsa_uses_dynamic_stack 0
		.amdhsa_enable_private_segment 0
		.amdhsa_system_sgpr_workgroup_id_x 1
		.amdhsa_system_sgpr_workgroup_id_y 0
		.amdhsa_system_sgpr_workgroup_id_z 0
		.amdhsa_system_sgpr_workgroup_info 0
		.amdhsa_system_vgpr_workitem_id 0
		.amdhsa_next_free_vgpr 1
		.amdhsa_next_free_sgpr 1
		.amdhsa_reserve_vcc 0
		.amdhsa_float_round_mode_32 0
		.amdhsa_float_round_mode_16_64 0
		.amdhsa_float_denorm_mode_32 3
		.amdhsa_float_denorm_mode_16_64 3
		.amdhsa_dx10_clamp 1
		.amdhsa_ieee_mode 1
		.amdhsa_fp16_overflow 0
		.amdhsa_workgroup_processor_mode 1
		.amdhsa_memory_ordered 1
		.amdhsa_forward_progress 0
		.amdhsa_shared_vgpr_count 0
		.amdhsa_exception_fp_ieee_invalid_op 0
		.amdhsa_exception_fp_denorm_src 0
		.amdhsa_exception_fp_ieee_div_zero 0
		.amdhsa_exception_fp_ieee_overflow 0
		.amdhsa_exception_fp_ieee_underflow 0
		.amdhsa_exception_fp_ieee_inexact 0
		.amdhsa_exception_int_div_zero 0
	.end_amdhsa_kernel
	.section	.text._ZN7rocprim17ROCPRIM_400000_NS6detail17trampoline_kernelINS0_14default_configENS1_29binary_search_config_selectorIjbEEZNS1_14transform_implILb0ES3_S5_N6thrust23THRUST_200600_302600_NS6detail15normal_iteratorINS8_10device_ptrIjEEEENSA_INSB_IbEEEEZNS1_13binary_searchIS3_S5_SD_SD_SF_NS1_16binary_search_opENS9_16wrapped_functionINS0_4lessIvEEbEEEE10hipError_tPvRmT1_T2_T3_mmT4_T5_P12ihipStream_tbEUlRKjE_EESM_SQ_SR_mSS_SV_bEUlT_E_NS1_11comp_targetILNS1_3genE0ELNS1_11target_archE4294967295ELNS1_3gpuE0ELNS1_3repE0EEENS1_30default_config_static_selectorELNS0_4arch9wavefront6targetE0EEEvSP_,"axG",@progbits,_ZN7rocprim17ROCPRIM_400000_NS6detail17trampoline_kernelINS0_14default_configENS1_29binary_search_config_selectorIjbEEZNS1_14transform_implILb0ES3_S5_N6thrust23THRUST_200600_302600_NS6detail15normal_iteratorINS8_10device_ptrIjEEEENSA_INSB_IbEEEEZNS1_13binary_searchIS3_S5_SD_SD_SF_NS1_16binary_search_opENS9_16wrapped_functionINS0_4lessIvEEbEEEE10hipError_tPvRmT1_T2_T3_mmT4_T5_P12ihipStream_tbEUlRKjE_EESM_SQ_SR_mSS_SV_bEUlT_E_NS1_11comp_targetILNS1_3genE0ELNS1_11target_archE4294967295ELNS1_3gpuE0ELNS1_3repE0EEENS1_30default_config_static_selectorELNS0_4arch9wavefront6targetE0EEEvSP_,comdat
.Lfunc_end456:
	.size	_ZN7rocprim17ROCPRIM_400000_NS6detail17trampoline_kernelINS0_14default_configENS1_29binary_search_config_selectorIjbEEZNS1_14transform_implILb0ES3_S5_N6thrust23THRUST_200600_302600_NS6detail15normal_iteratorINS8_10device_ptrIjEEEENSA_INSB_IbEEEEZNS1_13binary_searchIS3_S5_SD_SD_SF_NS1_16binary_search_opENS9_16wrapped_functionINS0_4lessIvEEbEEEE10hipError_tPvRmT1_T2_T3_mmT4_T5_P12ihipStream_tbEUlRKjE_EESM_SQ_SR_mSS_SV_bEUlT_E_NS1_11comp_targetILNS1_3genE0ELNS1_11target_archE4294967295ELNS1_3gpuE0ELNS1_3repE0EEENS1_30default_config_static_selectorELNS0_4arch9wavefront6targetE0EEEvSP_, .Lfunc_end456-_ZN7rocprim17ROCPRIM_400000_NS6detail17trampoline_kernelINS0_14default_configENS1_29binary_search_config_selectorIjbEEZNS1_14transform_implILb0ES3_S5_N6thrust23THRUST_200600_302600_NS6detail15normal_iteratorINS8_10device_ptrIjEEEENSA_INSB_IbEEEEZNS1_13binary_searchIS3_S5_SD_SD_SF_NS1_16binary_search_opENS9_16wrapped_functionINS0_4lessIvEEbEEEE10hipError_tPvRmT1_T2_T3_mmT4_T5_P12ihipStream_tbEUlRKjE_EESM_SQ_SR_mSS_SV_bEUlT_E_NS1_11comp_targetILNS1_3genE0ELNS1_11target_archE4294967295ELNS1_3gpuE0ELNS1_3repE0EEENS1_30default_config_static_selectorELNS0_4arch9wavefront6targetE0EEEvSP_
                                        ; -- End function
	.section	.AMDGPU.csdata,"",@progbits
; Kernel info:
; codeLenInByte = 0
; NumSgprs: 0
; NumVgprs: 0
; ScratchSize: 0
; MemoryBound: 0
; FloatMode: 240
; IeeeMode: 1
; LDSByteSize: 0 bytes/workgroup (compile time only)
; SGPRBlocks: 0
; VGPRBlocks: 0
; NumSGPRsForWavesPerEU: 1
; NumVGPRsForWavesPerEU: 1
; Occupancy: 16
; WaveLimiterHint : 0
; COMPUTE_PGM_RSRC2:SCRATCH_EN: 0
; COMPUTE_PGM_RSRC2:USER_SGPR: 15
; COMPUTE_PGM_RSRC2:TRAP_HANDLER: 0
; COMPUTE_PGM_RSRC2:TGID_X_EN: 1
; COMPUTE_PGM_RSRC2:TGID_Y_EN: 0
; COMPUTE_PGM_RSRC2:TGID_Z_EN: 0
; COMPUTE_PGM_RSRC2:TIDIG_COMP_CNT: 0
	.section	.text._ZN7rocprim17ROCPRIM_400000_NS6detail17trampoline_kernelINS0_14default_configENS1_29binary_search_config_selectorIjbEEZNS1_14transform_implILb0ES3_S5_N6thrust23THRUST_200600_302600_NS6detail15normal_iteratorINS8_10device_ptrIjEEEENSA_INSB_IbEEEEZNS1_13binary_searchIS3_S5_SD_SD_SF_NS1_16binary_search_opENS9_16wrapped_functionINS0_4lessIvEEbEEEE10hipError_tPvRmT1_T2_T3_mmT4_T5_P12ihipStream_tbEUlRKjE_EESM_SQ_SR_mSS_SV_bEUlT_E_NS1_11comp_targetILNS1_3genE5ELNS1_11target_archE942ELNS1_3gpuE9ELNS1_3repE0EEENS1_30default_config_static_selectorELNS0_4arch9wavefront6targetE0EEEvSP_,"axG",@progbits,_ZN7rocprim17ROCPRIM_400000_NS6detail17trampoline_kernelINS0_14default_configENS1_29binary_search_config_selectorIjbEEZNS1_14transform_implILb0ES3_S5_N6thrust23THRUST_200600_302600_NS6detail15normal_iteratorINS8_10device_ptrIjEEEENSA_INSB_IbEEEEZNS1_13binary_searchIS3_S5_SD_SD_SF_NS1_16binary_search_opENS9_16wrapped_functionINS0_4lessIvEEbEEEE10hipError_tPvRmT1_T2_T3_mmT4_T5_P12ihipStream_tbEUlRKjE_EESM_SQ_SR_mSS_SV_bEUlT_E_NS1_11comp_targetILNS1_3genE5ELNS1_11target_archE942ELNS1_3gpuE9ELNS1_3repE0EEENS1_30default_config_static_selectorELNS0_4arch9wavefront6targetE0EEEvSP_,comdat
	.protected	_ZN7rocprim17ROCPRIM_400000_NS6detail17trampoline_kernelINS0_14default_configENS1_29binary_search_config_selectorIjbEEZNS1_14transform_implILb0ES3_S5_N6thrust23THRUST_200600_302600_NS6detail15normal_iteratorINS8_10device_ptrIjEEEENSA_INSB_IbEEEEZNS1_13binary_searchIS3_S5_SD_SD_SF_NS1_16binary_search_opENS9_16wrapped_functionINS0_4lessIvEEbEEEE10hipError_tPvRmT1_T2_T3_mmT4_T5_P12ihipStream_tbEUlRKjE_EESM_SQ_SR_mSS_SV_bEUlT_E_NS1_11comp_targetILNS1_3genE5ELNS1_11target_archE942ELNS1_3gpuE9ELNS1_3repE0EEENS1_30default_config_static_selectorELNS0_4arch9wavefront6targetE0EEEvSP_ ; -- Begin function _ZN7rocprim17ROCPRIM_400000_NS6detail17trampoline_kernelINS0_14default_configENS1_29binary_search_config_selectorIjbEEZNS1_14transform_implILb0ES3_S5_N6thrust23THRUST_200600_302600_NS6detail15normal_iteratorINS8_10device_ptrIjEEEENSA_INSB_IbEEEEZNS1_13binary_searchIS3_S5_SD_SD_SF_NS1_16binary_search_opENS9_16wrapped_functionINS0_4lessIvEEbEEEE10hipError_tPvRmT1_T2_T3_mmT4_T5_P12ihipStream_tbEUlRKjE_EESM_SQ_SR_mSS_SV_bEUlT_E_NS1_11comp_targetILNS1_3genE5ELNS1_11target_archE942ELNS1_3gpuE9ELNS1_3repE0EEENS1_30default_config_static_selectorELNS0_4arch9wavefront6targetE0EEEvSP_
	.globl	_ZN7rocprim17ROCPRIM_400000_NS6detail17trampoline_kernelINS0_14default_configENS1_29binary_search_config_selectorIjbEEZNS1_14transform_implILb0ES3_S5_N6thrust23THRUST_200600_302600_NS6detail15normal_iteratorINS8_10device_ptrIjEEEENSA_INSB_IbEEEEZNS1_13binary_searchIS3_S5_SD_SD_SF_NS1_16binary_search_opENS9_16wrapped_functionINS0_4lessIvEEbEEEE10hipError_tPvRmT1_T2_T3_mmT4_T5_P12ihipStream_tbEUlRKjE_EESM_SQ_SR_mSS_SV_bEUlT_E_NS1_11comp_targetILNS1_3genE5ELNS1_11target_archE942ELNS1_3gpuE9ELNS1_3repE0EEENS1_30default_config_static_selectorELNS0_4arch9wavefront6targetE0EEEvSP_
	.p2align	8
	.type	_ZN7rocprim17ROCPRIM_400000_NS6detail17trampoline_kernelINS0_14default_configENS1_29binary_search_config_selectorIjbEEZNS1_14transform_implILb0ES3_S5_N6thrust23THRUST_200600_302600_NS6detail15normal_iteratorINS8_10device_ptrIjEEEENSA_INSB_IbEEEEZNS1_13binary_searchIS3_S5_SD_SD_SF_NS1_16binary_search_opENS9_16wrapped_functionINS0_4lessIvEEbEEEE10hipError_tPvRmT1_T2_T3_mmT4_T5_P12ihipStream_tbEUlRKjE_EESM_SQ_SR_mSS_SV_bEUlT_E_NS1_11comp_targetILNS1_3genE5ELNS1_11target_archE942ELNS1_3gpuE9ELNS1_3repE0EEENS1_30default_config_static_selectorELNS0_4arch9wavefront6targetE0EEEvSP_,@function
_ZN7rocprim17ROCPRIM_400000_NS6detail17trampoline_kernelINS0_14default_configENS1_29binary_search_config_selectorIjbEEZNS1_14transform_implILb0ES3_S5_N6thrust23THRUST_200600_302600_NS6detail15normal_iteratorINS8_10device_ptrIjEEEENSA_INSB_IbEEEEZNS1_13binary_searchIS3_S5_SD_SD_SF_NS1_16binary_search_opENS9_16wrapped_functionINS0_4lessIvEEbEEEE10hipError_tPvRmT1_T2_T3_mmT4_T5_P12ihipStream_tbEUlRKjE_EESM_SQ_SR_mSS_SV_bEUlT_E_NS1_11comp_targetILNS1_3genE5ELNS1_11target_archE942ELNS1_3gpuE9ELNS1_3repE0EEENS1_30default_config_static_selectorELNS0_4arch9wavefront6targetE0EEEvSP_: ; @_ZN7rocprim17ROCPRIM_400000_NS6detail17trampoline_kernelINS0_14default_configENS1_29binary_search_config_selectorIjbEEZNS1_14transform_implILb0ES3_S5_N6thrust23THRUST_200600_302600_NS6detail15normal_iteratorINS8_10device_ptrIjEEEENSA_INSB_IbEEEEZNS1_13binary_searchIS3_S5_SD_SD_SF_NS1_16binary_search_opENS9_16wrapped_functionINS0_4lessIvEEbEEEE10hipError_tPvRmT1_T2_T3_mmT4_T5_P12ihipStream_tbEUlRKjE_EESM_SQ_SR_mSS_SV_bEUlT_E_NS1_11comp_targetILNS1_3genE5ELNS1_11target_archE942ELNS1_3gpuE9ELNS1_3repE0EEENS1_30default_config_static_selectorELNS0_4arch9wavefront6targetE0EEEvSP_
; %bb.0:
	.section	.rodata,"a",@progbits
	.p2align	6, 0x0
	.amdhsa_kernel _ZN7rocprim17ROCPRIM_400000_NS6detail17trampoline_kernelINS0_14default_configENS1_29binary_search_config_selectorIjbEEZNS1_14transform_implILb0ES3_S5_N6thrust23THRUST_200600_302600_NS6detail15normal_iteratorINS8_10device_ptrIjEEEENSA_INSB_IbEEEEZNS1_13binary_searchIS3_S5_SD_SD_SF_NS1_16binary_search_opENS9_16wrapped_functionINS0_4lessIvEEbEEEE10hipError_tPvRmT1_T2_T3_mmT4_T5_P12ihipStream_tbEUlRKjE_EESM_SQ_SR_mSS_SV_bEUlT_E_NS1_11comp_targetILNS1_3genE5ELNS1_11target_archE942ELNS1_3gpuE9ELNS1_3repE0EEENS1_30default_config_static_selectorELNS0_4arch9wavefront6targetE0EEEvSP_
		.amdhsa_group_segment_fixed_size 0
		.amdhsa_private_segment_fixed_size 0
		.amdhsa_kernarg_size 56
		.amdhsa_user_sgpr_count 15
		.amdhsa_user_sgpr_dispatch_ptr 0
		.amdhsa_user_sgpr_queue_ptr 0
		.amdhsa_user_sgpr_kernarg_segment_ptr 1
		.amdhsa_user_sgpr_dispatch_id 0
		.amdhsa_user_sgpr_private_segment_size 0
		.amdhsa_wavefront_size32 1
		.amdhsa_uses_dynamic_stack 0
		.amdhsa_enable_private_segment 0
		.amdhsa_system_sgpr_workgroup_id_x 1
		.amdhsa_system_sgpr_workgroup_id_y 0
		.amdhsa_system_sgpr_workgroup_id_z 0
		.amdhsa_system_sgpr_workgroup_info 0
		.amdhsa_system_vgpr_workitem_id 0
		.amdhsa_next_free_vgpr 1
		.amdhsa_next_free_sgpr 1
		.amdhsa_reserve_vcc 0
		.amdhsa_float_round_mode_32 0
		.amdhsa_float_round_mode_16_64 0
		.amdhsa_float_denorm_mode_32 3
		.amdhsa_float_denorm_mode_16_64 3
		.amdhsa_dx10_clamp 1
		.amdhsa_ieee_mode 1
		.amdhsa_fp16_overflow 0
		.amdhsa_workgroup_processor_mode 1
		.amdhsa_memory_ordered 1
		.amdhsa_forward_progress 0
		.amdhsa_shared_vgpr_count 0
		.amdhsa_exception_fp_ieee_invalid_op 0
		.amdhsa_exception_fp_denorm_src 0
		.amdhsa_exception_fp_ieee_div_zero 0
		.amdhsa_exception_fp_ieee_overflow 0
		.amdhsa_exception_fp_ieee_underflow 0
		.amdhsa_exception_fp_ieee_inexact 0
		.amdhsa_exception_int_div_zero 0
	.end_amdhsa_kernel
	.section	.text._ZN7rocprim17ROCPRIM_400000_NS6detail17trampoline_kernelINS0_14default_configENS1_29binary_search_config_selectorIjbEEZNS1_14transform_implILb0ES3_S5_N6thrust23THRUST_200600_302600_NS6detail15normal_iteratorINS8_10device_ptrIjEEEENSA_INSB_IbEEEEZNS1_13binary_searchIS3_S5_SD_SD_SF_NS1_16binary_search_opENS9_16wrapped_functionINS0_4lessIvEEbEEEE10hipError_tPvRmT1_T2_T3_mmT4_T5_P12ihipStream_tbEUlRKjE_EESM_SQ_SR_mSS_SV_bEUlT_E_NS1_11comp_targetILNS1_3genE5ELNS1_11target_archE942ELNS1_3gpuE9ELNS1_3repE0EEENS1_30default_config_static_selectorELNS0_4arch9wavefront6targetE0EEEvSP_,"axG",@progbits,_ZN7rocprim17ROCPRIM_400000_NS6detail17trampoline_kernelINS0_14default_configENS1_29binary_search_config_selectorIjbEEZNS1_14transform_implILb0ES3_S5_N6thrust23THRUST_200600_302600_NS6detail15normal_iteratorINS8_10device_ptrIjEEEENSA_INSB_IbEEEEZNS1_13binary_searchIS3_S5_SD_SD_SF_NS1_16binary_search_opENS9_16wrapped_functionINS0_4lessIvEEbEEEE10hipError_tPvRmT1_T2_T3_mmT4_T5_P12ihipStream_tbEUlRKjE_EESM_SQ_SR_mSS_SV_bEUlT_E_NS1_11comp_targetILNS1_3genE5ELNS1_11target_archE942ELNS1_3gpuE9ELNS1_3repE0EEENS1_30default_config_static_selectorELNS0_4arch9wavefront6targetE0EEEvSP_,comdat
.Lfunc_end457:
	.size	_ZN7rocprim17ROCPRIM_400000_NS6detail17trampoline_kernelINS0_14default_configENS1_29binary_search_config_selectorIjbEEZNS1_14transform_implILb0ES3_S5_N6thrust23THRUST_200600_302600_NS6detail15normal_iteratorINS8_10device_ptrIjEEEENSA_INSB_IbEEEEZNS1_13binary_searchIS3_S5_SD_SD_SF_NS1_16binary_search_opENS9_16wrapped_functionINS0_4lessIvEEbEEEE10hipError_tPvRmT1_T2_T3_mmT4_T5_P12ihipStream_tbEUlRKjE_EESM_SQ_SR_mSS_SV_bEUlT_E_NS1_11comp_targetILNS1_3genE5ELNS1_11target_archE942ELNS1_3gpuE9ELNS1_3repE0EEENS1_30default_config_static_selectorELNS0_4arch9wavefront6targetE0EEEvSP_, .Lfunc_end457-_ZN7rocprim17ROCPRIM_400000_NS6detail17trampoline_kernelINS0_14default_configENS1_29binary_search_config_selectorIjbEEZNS1_14transform_implILb0ES3_S5_N6thrust23THRUST_200600_302600_NS6detail15normal_iteratorINS8_10device_ptrIjEEEENSA_INSB_IbEEEEZNS1_13binary_searchIS3_S5_SD_SD_SF_NS1_16binary_search_opENS9_16wrapped_functionINS0_4lessIvEEbEEEE10hipError_tPvRmT1_T2_T3_mmT4_T5_P12ihipStream_tbEUlRKjE_EESM_SQ_SR_mSS_SV_bEUlT_E_NS1_11comp_targetILNS1_3genE5ELNS1_11target_archE942ELNS1_3gpuE9ELNS1_3repE0EEENS1_30default_config_static_selectorELNS0_4arch9wavefront6targetE0EEEvSP_
                                        ; -- End function
	.section	.AMDGPU.csdata,"",@progbits
; Kernel info:
; codeLenInByte = 0
; NumSgprs: 0
; NumVgprs: 0
; ScratchSize: 0
; MemoryBound: 0
; FloatMode: 240
; IeeeMode: 1
; LDSByteSize: 0 bytes/workgroup (compile time only)
; SGPRBlocks: 0
; VGPRBlocks: 0
; NumSGPRsForWavesPerEU: 1
; NumVGPRsForWavesPerEU: 1
; Occupancy: 16
; WaveLimiterHint : 0
; COMPUTE_PGM_RSRC2:SCRATCH_EN: 0
; COMPUTE_PGM_RSRC2:USER_SGPR: 15
; COMPUTE_PGM_RSRC2:TRAP_HANDLER: 0
; COMPUTE_PGM_RSRC2:TGID_X_EN: 1
; COMPUTE_PGM_RSRC2:TGID_Y_EN: 0
; COMPUTE_PGM_RSRC2:TGID_Z_EN: 0
; COMPUTE_PGM_RSRC2:TIDIG_COMP_CNT: 0
	.section	.text._ZN7rocprim17ROCPRIM_400000_NS6detail17trampoline_kernelINS0_14default_configENS1_29binary_search_config_selectorIjbEEZNS1_14transform_implILb0ES3_S5_N6thrust23THRUST_200600_302600_NS6detail15normal_iteratorINS8_10device_ptrIjEEEENSA_INSB_IbEEEEZNS1_13binary_searchIS3_S5_SD_SD_SF_NS1_16binary_search_opENS9_16wrapped_functionINS0_4lessIvEEbEEEE10hipError_tPvRmT1_T2_T3_mmT4_T5_P12ihipStream_tbEUlRKjE_EESM_SQ_SR_mSS_SV_bEUlT_E_NS1_11comp_targetILNS1_3genE4ELNS1_11target_archE910ELNS1_3gpuE8ELNS1_3repE0EEENS1_30default_config_static_selectorELNS0_4arch9wavefront6targetE0EEEvSP_,"axG",@progbits,_ZN7rocprim17ROCPRIM_400000_NS6detail17trampoline_kernelINS0_14default_configENS1_29binary_search_config_selectorIjbEEZNS1_14transform_implILb0ES3_S5_N6thrust23THRUST_200600_302600_NS6detail15normal_iteratorINS8_10device_ptrIjEEEENSA_INSB_IbEEEEZNS1_13binary_searchIS3_S5_SD_SD_SF_NS1_16binary_search_opENS9_16wrapped_functionINS0_4lessIvEEbEEEE10hipError_tPvRmT1_T2_T3_mmT4_T5_P12ihipStream_tbEUlRKjE_EESM_SQ_SR_mSS_SV_bEUlT_E_NS1_11comp_targetILNS1_3genE4ELNS1_11target_archE910ELNS1_3gpuE8ELNS1_3repE0EEENS1_30default_config_static_selectorELNS0_4arch9wavefront6targetE0EEEvSP_,comdat
	.protected	_ZN7rocprim17ROCPRIM_400000_NS6detail17trampoline_kernelINS0_14default_configENS1_29binary_search_config_selectorIjbEEZNS1_14transform_implILb0ES3_S5_N6thrust23THRUST_200600_302600_NS6detail15normal_iteratorINS8_10device_ptrIjEEEENSA_INSB_IbEEEEZNS1_13binary_searchIS3_S5_SD_SD_SF_NS1_16binary_search_opENS9_16wrapped_functionINS0_4lessIvEEbEEEE10hipError_tPvRmT1_T2_T3_mmT4_T5_P12ihipStream_tbEUlRKjE_EESM_SQ_SR_mSS_SV_bEUlT_E_NS1_11comp_targetILNS1_3genE4ELNS1_11target_archE910ELNS1_3gpuE8ELNS1_3repE0EEENS1_30default_config_static_selectorELNS0_4arch9wavefront6targetE0EEEvSP_ ; -- Begin function _ZN7rocprim17ROCPRIM_400000_NS6detail17trampoline_kernelINS0_14default_configENS1_29binary_search_config_selectorIjbEEZNS1_14transform_implILb0ES3_S5_N6thrust23THRUST_200600_302600_NS6detail15normal_iteratorINS8_10device_ptrIjEEEENSA_INSB_IbEEEEZNS1_13binary_searchIS3_S5_SD_SD_SF_NS1_16binary_search_opENS9_16wrapped_functionINS0_4lessIvEEbEEEE10hipError_tPvRmT1_T2_T3_mmT4_T5_P12ihipStream_tbEUlRKjE_EESM_SQ_SR_mSS_SV_bEUlT_E_NS1_11comp_targetILNS1_3genE4ELNS1_11target_archE910ELNS1_3gpuE8ELNS1_3repE0EEENS1_30default_config_static_selectorELNS0_4arch9wavefront6targetE0EEEvSP_
	.globl	_ZN7rocprim17ROCPRIM_400000_NS6detail17trampoline_kernelINS0_14default_configENS1_29binary_search_config_selectorIjbEEZNS1_14transform_implILb0ES3_S5_N6thrust23THRUST_200600_302600_NS6detail15normal_iteratorINS8_10device_ptrIjEEEENSA_INSB_IbEEEEZNS1_13binary_searchIS3_S5_SD_SD_SF_NS1_16binary_search_opENS9_16wrapped_functionINS0_4lessIvEEbEEEE10hipError_tPvRmT1_T2_T3_mmT4_T5_P12ihipStream_tbEUlRKjE_EESM_SQ_SR_mSS_SV_bEUlT_E_NS1_11comp_targetILNS1_3genE4ELNS1_11target_archE910ELNS1_3gpuE8ELNS1_3repE0EEENS1_30default_config_static_selectorELNS0_4arch9wavefront6targetE0EEEvSP_
	.p2align	8
	.type	_ZN7rocprim17ROCPRIM_400000_NS6detail17trampoline_kernelINS0_14default_configENS1_29binary_search_config_selectorIjbEEZNS1_14transform_implILb0ES3_S5_N6thrust23THRUST_200600_302600_NS6detail15normal_iteratorINS8_10device_ptrIjEEEENSA_INSB_IbEEEEZNS1_13binary_searchIS3_S5_SD_SD_SF_NS1_16binary_search_opENS9_16wrapped_functionINS0_4lessIvEEbEEEE10hipError_tPvRmT1_T2_T3_mmT4_T5_P12ihipStream_tbEUlRKjE_EESM_SQ_SR_mSS_SV_bEUlT_E_NS1_11comp_targetILNS1_3genE4ELNS1_11target_archE910ELNS1_3gpuE8ELNS1_3repE0EEENS1_30default_config_static_selectorELNS0_4arch9wavefront6targetE0EEEvSP_,@function
_ZN7rocprim17ROCPRIM_400000_NS6detail17trampoline_kernelINS0_14default_configENS1_29binary_search_config_selectorIjbEEZNS1_14transform_implILb0ES3_S5_N6thrust23THRUST_200600_302600_NS6detail15normal_iteratorINS8_10device_ptrIjEEEENSA_INSB_IbEEEEZNS1_13binary_searchIS3_S5_SD_SD_SF_NS1_16binary_search_opENS9_16wrapped_functionINS0_4lessIvEEbEEEE10hipError_tPvRmT1_T2_T3_mmT4_T5_P12ihipStream_tbEUlRKjE_EESM_SQ_SR_mSS_SV_bEUlT_E_NS1_11comp_targetILNS1_3genE4ELNS1_11target_archE910ELNS1_3gpuE8ELNS1_3repE0EEENS1_30default_config_static_selectorELNS0_4arch9wavefront6targetE0EEEvSP_: ; @_ZN7rocprim17ROCPRIM_400000_NS6detail17trampoline_kernelINS0_14default_configENS1_29binary_search_config_selectorIjbEEZNS1_14transform_implILb0ES3_S5_N6thrust23THRUST_200600_302600_NS6detail15normal_iteratorINS8_10device_ptrIjEEEENSA_INSB_IbEEEEZNS1_13binary_searchIS3_S5_SD_SD_SF_NS1_16binary_search_opENS9_16wrapped_functionINS0_4lessIvEEbEEEE10hipError_tPvRmT1_T2_T3_mmT4_T5_P12ihipStream_tbEUlRKjE_EESM_SQ_SR_mSS_SV_bEUlT_E_NS1_11comp_targetILNS1_3genE4ELNS1_11target_archE910ELNS1_3gpuE8ELNS1_3repE0EEENS1_30default_config_static_selectorELNS0_4arch9wavefront6targetE0EEEvSP_
; %bb.0:
	.section	.rodata,"a",@progbits
	.p2align	6, 0x0
	.amdhsa_kernel _ZN7rocprim17ROCPRIM_400000_NS6detail17trampoline_kernelINS0_14default_configENS1_29binary_search_config_selectorIjbEEZNS1_14transform_implILb0ES3_S5_N6thrust23THRUST_200600_302600_NS6detail15normal_iteratorINS8_10device_ptrIjEEEENSA_INSB_IbEEEEZNS1_13binary_searchIS3_S5_SD_SD_SF_NS1_16binary_search_opENS9_16wrapped_functionINS0_4lessIvEEbEEEE10hipError_tPvRmT1_T2_T3_mmT4_T5_P12ihipStream_tbEUlRKjE_EESM_SQ_SR_mSS_SV_bEUlT_E_NS1_11comp_targetILNS1_3genE4ELNS1_11target_archE910ELNS1_3gpuE8ELNS1_3repE0EEENS1_30default_config_static_selectorELNS0_4arch9wavefront6targetE0EEEvSP_
		.amdhsa_group_segment_fixed_size 0
		.amdhsa_private_segment_fixed_size 0
		.amdhsa_kernarg_size 56
		.amdhsa_user_sgpr_count 15
		.amdhsa_user_sgpr_dispatch_ptr 0
		.amdhsa_user_sgpr_queue_ptr 0
		.amdhsa_user_sgpr_kernarg_segment_ptr 1
		.amdhsa_user_sgpr_dispatch_id 0
		.amdhsa_user_sgpr_private_segment_size 0
		.amdhsa_wavefront_size32 1
		.amdhsa_uses_dynamic_stack 0
		.amdhsa_enable_private_segment 0
		.amdhsa_system_sgpr_workgroup_id_x 1
		.amdhsa_system_sgpr_workgroup_id_y 0
		.amdhsa_system_sgpr_workgroup_id_z 0
		.amdhsa_system_sgpr_workgroup_info 0
		.amdhsa_system_vgpr_workitem_id 0
		.amdhsa_next_free_vgpr 1
		.amdhsa_next_free_sgpr 1
		.amdhsa_reserve_vcc 0
		.amdhsa_float_round_mode_32 0
		.amdhsa_float_round_mode_16_64 0
		.amdhsa_float_denorm_mode_32 3
		.amdhsa_float_denorm_mode_16_64 3
		.amdhsa_dx10_clamp 1
		.amdhsa_ieee_mode 1
		.amdhsa_fp16_overflow 0
		.amdhsa_workgroup_processor_mode 1
		.amdhsa_memory_ordered 1
		.amdhsa_forward_progress 0
		.amdhsa_shared_vgpr_count 0
		.amdhsa_exception_fp_ieee_invalid_op 0
		.amdhsa_exception_fp_denorm_src 0
		.amdhsa_exception_fp_ieee_div_zero 0
		.amdhsa_exception_fp_ieee_overflow 0
		.amdhsa_exception_fp_ieee_underflow 0
		.amdhsa_exception_fp_ieee_inexact 0
		.amdhsa_exception_int_div_zero 0
	.end_amdhsa_kernel
	.section	.text._ZN7rocprim17ROCPRIM_400000_NS6detail17trampoline_kernelINS0_14default_configENS1_29binary_search_config_selectorIjbEEZNS1_14transform_implILb0ES3_S5_N6thrust23THRUST_200600_302600_NS6detail15normal_iteratorINS8_10device_ptrIjEEEENSA_INSB_IbEEEEZNS1_13binary_searchIS3_S5_SD_SD_SF_NS1_16binary_search_opENS9_16wrapped_functionINS0_4lessIvEEbEEEE10hipError_tPvRmT1_T2_T3_mmT4_T5_P12ihipStream_tbEUlRKjE_EESM_SQ_SR_mSS_SV_bEUlT_E_NS1_11comp_targetILNS1_3genE4ELNS1_11target_archE910ELNS1_3gpuE8ELNS1_3repE0EEENS1_30default_config_static_selectorELNS0_4arch9wavefront6targetE0EEEvSP_,"axG",@progbits,_ZN7rocprim17ROCPRIM_400000_NS6detail17trampoline_kernelINS0_14default_configENS1_29binary_search_config_selectorIjbEEZNS1_14transform_implILb0ES3_S5_N6thrust23THRUST_200600_302600_NS6detail15normal_iteratorINS8_10device_ptrIjEEEENSA_INSB_IbEEEEZNS1_13binary_searchIS3_S5_SD_SD_SF_NS1_16binary_search_opENS9_16wrapped_functionINS0_4lessIvEEbEEEE10hipError_tPvRmT1_T2_T3_mmT4_T5_P12ihipStream_tbEUlRKjE_EESM_SQ_SR_mSS_SV_bEUlT_E_NS1_11comp_targetILNS1_3genE4ELNS1_11target_archE910ELNS1_3gpuE8ELNS1_3repE0EEENS1_30default_config_static_selectorELNS0_4arch9wavefront6targetE0EEEvSP_,comdat
.Lfunc_end458:
	.size	_ZN7rocprim17ROCPRIM_400000_NS6detail17trampoline_kernelINS0_14default_configENS1_29binary_search_config_selectorIjbEEZNS1_14transform_implILb0ES3_S5_N6thrust23THRUST_200600_302600_NS6detail15normal_iteratorINS8_10device_ptrIjEEEENSA_INSB_IbEEEEZNS1_13binary_searchIS3_S5_SD_SD_SF_NS1_16binary_search_opENS9_16wrapped_functionINS0_4lessIvEEbEEEE10hipError_tPvRmT1_T2_T3_mmT4_T5_P12ihipStream_tbEUlRKjE_EESM_SQ_SR_mSS_SV_bEUlT_E_NS1_11comp_targetILNS1_3genE4ELNS1_11target_archE910ELNS1_3gpuE8ELNS1_3repE0EEENS1_30default_config_static_selectorELNS0_4arch9wavefront6targetE0EEEvSP_, .Lfunc_end458-_ZN7rocprim17ROCPRIM_400000_NS6detail17trampoline_kernelINS0_14default_configENS1_29binary_search_config_selectorIjbEEZNS1_14transform_implILb0ES3_S5_N6thrust23THRUST_200600_302600_NS6detail15normal_iteratorINS8_10device_ptrIjEEEENSA_INSB_IbEEEEZNS1_13binary_searchIS3_S5_SD_SD_SF_NS1_16binary_search_opENS9_16wrapped_functionINS0_4lessIvEEbEEEE10hipError_tPvRmT1_T2_T3_mmT4_T5_P12ihipStream_tbEUlRKjE_EESM_SQ_SR_mSS_SV_bEUlT_E_NS1_11comp_targetILNS1_3genE4ELNS1_11target_archE910ELNS1_3gpuE8ELNS1_3repE0EEENS1_30default_config_static_selectorELNS0_4arch9wavefront6targetE0EEEvSP_
                                        ; -- End function
	.section	.AMDGPU.csdata,"",@progbits
; Kernel info:
; codeLenInByte = 0
; NumSgprs: 0
; NumVgprs: 0
; ScratchSize: 0
; MemoryBound: 0
; FloatMode: 240
; IeeeMode: 1
; LDSByteSize: 0 bytes/workgroup (compile time only)
; SGPRBlocks: 0
; VGPRBlocks: 0
; NumSGPRsForWavesPerEU: 1
; NumVGPRsForWavesPerEU: 1
; Occupancy: 16
; WaveLimiterHint : 0
; COMPUTE_PGM_RSRC2:SCRATCH_EN: 0
; COMPUTE_PGM_RSRC2:USER_SGPR: 15
; COMPUTE_PGM_RSRC2:TRAP_HANDLER: 0
; COMPUTE_PGM_RSRC2:TGID_X_EN: 1
; COMPUTE_PGM_RSRC2:TGID_Y_EN: 0
; COMPUTE_PGM_RSRC2:TGID_Z_EN: 0
; COMPUTE_PGM_RSRC2:TIDIG_COMP_CNT: 0
	.section	.text._ZN7rocprim17ROCPRIM_400000_NS6detail17trampoline_kernelINS0_14default_configENS1_29binary_search_config_selectorIjbEEZNS1_14transform_implILb0ES3_S5_N6thrust23THRUST_200600_302600_NS6detail15normal_iteratorINS8_10device_ptrIjEEEENSA_INSB_IbEEEEZNS1_13binary_searchIS3_S5_SD_SD_SF_NS1_16binary_search_opENS9_16wrapped_functionINS0_4lessIvEEbEEEE10hipError_tPvRmT1_T2_T3_mmT4_T5_P12ihipStream_tbEUlRKjE_EESM_SQ_SR_mSS_SV_bEUlT_E_NS1_11comp_targetILNS1_3genE3ELNS1_11target_archE908ELNS1_3gpuE7ELNS1_3repE0EEENS1_30default_config_static_selectorELNS0_4arch9wavefront6targetE0EEEvSP_,"axG",@progbits,_ZN7rocprim17ROCPRIM_400000_NS6detail17trampoline_kernelINS0_14default_configENS1_29binary_search_config_selectorIjbEEZNS1_14transform_implILb0ES3_S5_N6thrust23THRUST_200600_302600_NS6detail15normal_iteratorINS8_10device_ptrIjEEEENSA_INSB_IbEEEEZNS1_13binary_searchIS3_S5_SD_SD_SF_NS1_16binary_search_opENS9_16wrapped_functionINS0_4lessIvEEbEEEE10hipError_tPvRmT1_T2_T3_mmT4_T5_P12ihipStream_tbEUlRKjE_EESM_SQ_SR_mSS_SV_bEUlT_E_NS1_11comp_targetILNS1_3genE3ELNS1_11target_archE908ELNS1_3gpuE7ELNS1_3repE0EEENS1_30default_config_static_selectorELNS0_4arch9wavefront6targetE0EEEvSP_,comdat
	.protected	_ZN7rocprim17ROCPRIM_400000_NS6detail17trampoline_kernelINS0_14default_configENS1_29binary_search_config_selectorIjbEEZNS1_14transform_implILb0ES3_S5_N6thrust23THRUST_200600_302600_NS6detail15normal_iteratorINS8_10device_ptrIjEEEENSA_INSB_IbEEEEZNS1_13binary_searchIS3_S5_SD_SD_SF_NS1_16binary_search_opENS9_16wrapped_functionINS0_4lessIvEEbEEEE10hipError_tPvRmT1_T2_T3_mmT4_T5_P12ihipStream_tbEUlRKjE_EESM_SQ_SR_mSS_SV_bEUlT_E_NS1_11comp_targetILNS1_3genE3ELNS1_11target_archE908ELNS1_3gpuE7ELNS1_3repE0EEENS1_30default_config_static_selectorELNS0_4arch9wavefront6targetE0EEEvSP_ ; -- Begin function _ZN7rocprim17ROCPRIM_400000_NS6detail17trampoline_kernelINS0_14default_configENS1_29binary_search_config_selectorIjbEEZNS1_14transform_implILb0ES3_S5_N6thrust23THRUST_200600_302600_NS6detail15normal_iteratorINS8_10device_ptrIjEEEENSA_INSB_IbEEEEZNS1_13binary_searchIS3_S5_SD_SD_SF_NS1_16binary_search_opENS9_16wrapped_functionINS0_4lessIvEEbEEEE10hipError_tPvRmT1_T2_T3_mmT4_T5_P12ihipStream_tbEUlRKjE_EESM_SQ_SR_mSS_SV_bEUlT_E_NS1_11comp_targetILNS1_3genE3ELNS1_11target_archE908ELNS1_3gpuE7ELNS1_3repE0EEENS1_30default_config_static_selectorELNS0_4arch9wavefront6targetE0EEEvSP_
	.globl	_ZN7rocprim17ROCPRIM_400000_NS6detail17trampoline_kernelINS0_14default_configENS1_29binary_search_config_selectorIjbEEZNS1_14transform_implILb0ES3_S5_N6thrust23THRUST_200600_302600_NS6detail15normal_iteratorINS8_10device_ptrIjEEEENSA_INSB_IbEEEEZNS1_13binary_searchIS3_S5_SD_SD_SF_NS1_16binary_search_opENS9_16wrapped_functionINS0_4lessIvEEbEEEE10hipError_tPvRmT1_T2_T3_mmT4_T5_P12ihipStream_tbEUlRKjE_EESM_SQ_SR_mSS_SV_bEUlT_E_NS1_11comp_targetILNS1_3genE3ELNS1_11target_archE908ELNS1_3gpuE7ELNS1_3repE0EEENS1_30default_config_static_selectorELNS0_4arch9wavefront6targetE0EEEvSP_
	.p2align	8
	.type	_ZN7rocprim17ROCPRIM_400000_NS6detail17trampoline_kernelINS0_14default_configENS1_29binary_search_config_selectorIjbEEZNS1_14transform_implILb0ES3_S5_N6thrust23THRUST_200600_302600_NS6detail15normal_iteratorINS8_10device_ptrIjEEEENSA_INSB_IbEEEEZNS1_13binary_searchIS3_S5_SD_SD_SF_NS1_16binary_search_opENS9_16wrapped_functionINS0_4lessIvEEbEEEE10hipError_tPvRmT1_T2_T3_mmT4_T5_P12ihipStream_tbEUlRKjE_EESM_SQ_SR_mSS_SV_bEUlT_E_NS1_11comp_targetILNS1_3genE3ELNS1_11target_archE908ELNS1_3gpuE7ELNS1_3repE0EEENS1_30default_config_static_selectorELNS0_4arch9wavefront6targetE0EEEvSP_,@function
_ZN7rocprim17ROCPRIM_400000_NS6detail17trampoline_kernelINS0_14default_configENS1_29binary_search_config_selectorIjbEEZNS1_14transform_implILb0ES3_S5_N6thrust23THRUST_200600_302600_NS6detail15normal_iteratorINS8_10device_ptrIjEEEENSA_INSB_IbEEEEZNS1_13binary_searchIS3_S5_SD_SD_SF_NS1_16binary_search_opENS9_16wrapped_functionINS0_4lessIvEEbEEEE10hipError_tPvRmT1_T2_T3_mmT4_T5_P12ihipStream_tbEUlRKjE_EESM_SQ_SR_mSS_SV_bEUlT_E_NS1_11comp_targetILNS1_3genE3ELNS1_11target_archE908ELNS1_3gpuE7ELNS1_3repE0EEENS1_30default_config_static_selectorELNS0_4arch9wavefront6targetE0EEEvSP_: ; @_ZN7rocprim17ROCPRIM_400000_NS6detail17trampoline_kernelINS0_14default_configENS1_29binary_search_config_selectorIjbEEZNS1_14transform_implILb0ES3_S5_N6thrust23THRUST_200600_302600_NS6detail15normal_iteratorINS8_10device_ptrIjEEEENSA_INSB_IbEEEEZNS1_13binary_searchIS3_S5_SD_SD_SF_NS1_16binary_search_opENS9_16wrapped_functionINS0_4lessIvEEbEEEE10hipError_tPvRmT1_T2_T3_mmT4_T5_P12ihipStream_tbEUlRKjE_EESM_SQ_SR_mSS_SV_bEUlT_E_NS1_11comp_targetILNS1_3genE3ELNS1_11target_archE908ELNS1_3gpuE7ELNS1_3repE0EEENS1_30default_config_static_selectorELNS0_4arch9wavefront6targetE0EEEvSP_
; %bb.0:
	.section	.rodata,"a",@progbits
	.p2align	6, 0x0
	.amdhsa_kernel _ZN7rocprim17ROCPRIM_400000_NS6detail17trampoline_kernelINS0_14default_configENS1_29binary_search_config_selectorIjbEEZNS1_14transform_implILb0ES3_S5_N6thrust23THRUST_200600_302600_NS6detail15normal_iteratorINS8_10device_ptrIjEEEENSA_INSB_IbEEEEZNS1_13binary_searchIS3_S5_SD_SD_SF_NS1_16binary_search_opENS9_16wrapped_functionINS0_4lessIvEEbEEEE10hipError_tPvRmT1_T2_T3_mmT4_T5_P12ihipStream_tbEUlRKjE_EESM_SQ_SR_mSS_SV_bEUlT_E_NS1_11comp_targetILNS1_3genE3ELNS1_11target_archE908ELNS1_3gpuE7ELNS1_3repE0EEENS1_30default_config_static_selectorELNS0_4arch9wavefront6targetE0EEEvSP_
		.amdhsa_group_segment_fixed_size 0
		.amdhsa_private_segment_fixed_size 0
		.amdhsa_kernarg_size 56
		.amdhsa_user_sgpr_count 15
		.amdhsa_user_sgpr_dispatch_ptr 0
		.amdhsa_user_sgpr_queue_ptr 0
		.amdhsa_user_sgpr_kernarg_segment_ptr 1
		.amdhsa_user_sgpr_dispatch_id 0
		.amdhsa_user_sgpr_private_segment_size 0
		.amdhsa_wavefront_size32 1
		.amdhsa_uses_dynamic_stack 0
		.amdhsa_enable_private_segment 0
		.amdhsa_system_sgpr_workgroup_id_x 1
		.amdhsa_system_sgpr_workgroup_id_y 0
		.amdhsa_system_sgpr_workgroup_id_z 0
		.amdhsa_system_sgpr_workgroup_info 0
		.amdhsa_system_vgpr_workitem_id 0
		.amdhsa_next_free_vgpr 1
		.amdhsa_next_free_sgpr 1
		.amdhsa_reserve_vcc 0
		.amdhsa_float_round_mode_32 0
		.amdhsa_float_round_mode_16_64 0
		.amdhsa_float_denorm_mode_32 3
		.amdhsa_float_denorm_mode_16_64 3
		.amdhsa_dx10_clamp 1
		.amdhsa_ieee_mode 1
		.amdhsa_fp16_overflow 0
		.amdhsa_workgroup_processor_mode 1
		.amdhsa_memory_ordered 1
		.amdhsa_forward_progress 0
		.amdhsa_shared_vgpr_count 0
		.amdhsa_exception_fp_ieee_invalid_op 0
		.amdhsa_exception_fp_denorm_src 0
		.amdhsa_exception_fp_ieee_div_zero 0
		.amdhsa_exception_fp_ieee_overflow 0
		.amdhsa_exception_fp_ieee_underflow 0
		.amdhsa_exception_fp_ieee_inexact 0
		.amdhsa_exception_int_div_zero 0
	.end_amdhsa_kernel
	.section	.text._ZN7rocprim17ROCPRIM_400000_NS6detail17trampoline_kernelINS0_14default_configENS1_29binary_search_config_selectorIjbEEZNS1_14transform_implILb0ES3_S5_N6thrust23THRUST_200600_302600_NS6detail15normal_iteratorINS8_10device_ptrIjEEEENSA_INSB_IbEEEEZNS1_13binary_searchIS3_S5_SD_SD_SF_NS1_16binary_search_opENS9_16wrapped_functionINS0_4lessIvEEbEEEE10hipError_tPvRmT1_T2_T3_mmT4_T5_P12ihipStream_tbEUlRKjE_EESM_SQ_SR_mSS_SV_bEUlT_E_NS1_11comp_targetILNS1_3genE3ELNS1_11target_archE908ELNS1_3gpuE7ELNS1_3repE0EEENS1_30default_config_static_selectorELNS0_4arch9wavefront6targetE0EEEvSP_,"axG",@progbits,_ZN7rocprim17ROCPRIM_400000_NS6detail17trampoline_kernelINS0_14default_configENS1_29binary_search_config_selectorIjbEEZNS1_14transform_implILb0ES3_S5_N6thrust23THRUST_200600_302600_NS6detail15normal_iteratorINS8_10device_ptrIjEEEENSA_INSB_IbEEEEZNS1_13binary_searchIS3_S5_SD_SD_SF_NS1_16binary_search_opENS9_16wrapped_functionINS0_4lessIvEEbEEEE10hipError_tPvRmT1_T2_T3_mmT4_T5_P12ihipStream_tbEUlRKjE_EESM_SQ_SR_mSS_SV_bEUlT_E_NS1_11comp_targetILNS1_3genE3ELNS1_11target_archE908ELNS1_3gpuE7ELNS1_3repE0EEENS1_30default_config_static_selectorELNS0_4arch9wavefront6targetE0EEEvSP_,comdat
.Lfunc_end459:
	.size	_ZN7rocprim17ROCPRIM_400000_NS6detail17trampoline_kernelINS0_14default_configENS1_29binary_search_config_selectorIjbEEZNS1_14transform_implILb0ES3_S5_N6thrust23THRUST_200600_302600_NS6detail15normal_iteratorINS8_10device_ptrIjEEEENSA_INSB_IbEEEEZNS1_13binary_searchIS3_S5_SD_SD_SF_NS1_16binary_search_opENS9_16wrapped_functionINS0_4lessIvEEbEEEE10hipError_tPvRmT1_T2_T3_mmT4_T5_P12ihipStream_tbEUlRKjE_EESM_SQ_SR_mSS_SV_bEUlT_E_NS1_11comp_targetILNS1_3genE3ELNS1_11target_archE908ELNS1_3gpuE7ELNS1_3repE0EEENS1_30default_config_static_selectorELNS0_4arch9wavefront6targetE0EEEvSP_, .Lfunc_end459-_ZN7rocprim17ROCPRIM_400000_NS6detail17trampoline_kernelINS0_14default_configENS1_29binary_search_config_selectorIjbEEZNS1_14transform_implILb0ES3_S5_N6thrust23THRUST_200600_302600_NS6detail15normal_iteratorINS8_10device_ptrIjEEEENSA_INSB_IbEEEEZNS1_13binary_searchIS3_S5_SD_SD_SF_NS1_16binary_search_opENS9_16wrapped_functionINS0_4lessIvEEbEEEE10hipError_tPvRmT1_T2_T3_mmT4_T5_P12ihipStream_tbEUlRKjE_EESM_SQ_SR_mSS_SV_bEUlT_E_NS1_11comp_targetILNS1_3genE3ELNS1_11target_archE908ELNS1_3gpuE7ELNS1_3repE0EEENS1_30default_config_static_selectorELNS0_4arch9wavefront6targetE0EEEvSP_
                                        ; -- End function
	.section	.AMDGPU.csdata,"",@progbits
; Kernel info:
; codeLenInByte = 0
; NumSgprs: 0
; NumVgprs: 0
; ScratchSize: 0
; MemoryBound: 0
; FloatMode: 240
; IeeeMode: 1
; LDSByteSize: 0 bytes/workgroup (compile time only)
; SGPRBlocks: 0
; VGPRBlocks: 0
; NumSGPRsForWavesPerEU: 1
; NumVGPRsForWavesPerEU: 1
; Occupancy: 16
; WaveLimiterHint : 0
; COMPUTE_PGM_RSRC2:SCRATCH_EN: 0
; COMPUTE_PGM_RSRC2:USER_SGPR: 15
; COMPUTE_PGM_RSRC2:TRAP_HANDLER: 0
; COMPUTE_PGM_RSRC2:TGID_X_EN: 1
; COMPUTE_PGM_RSRC2:TGID_Y_EN: 0
; COMPUTE_PGM_RSRC2:TGID_Z_EN: 0
; COMPUTE_PGM_RSRC2:TIDIG_COMP_CNT: 0
	.section	.text._ZN7rocprim17ROCPRIM_400000_NS6detail17trampoline_kernelINS0_14default_configENS1_29binary_search_config_selectorIjbEEZNS1_14transform_implILb0ES3_S5_N6thrust23THRUST_200600_302600_NS6detail15normal_iteratorINS8_10device_ptrIjEEEENSA_INSB_IbEEEEZNS1_13binary_searchIS3_S5_SD_SD_SF_NS1_16binary_search_opENS9_16wrapped_functionINS0_4lessIvEEbEEEE10hipError_tPvRmT1_T2_T3_mmT4_T5_P12ihipStream_tbEUlRKjE_EESM_SQ_SR_mSS_SV_bEUlT_E_NS1_11comp_targetILNS1_3genE2ELNS1_11target_archE906ELNS1_3gpuE6ELNS1_3repE0EEENS1_30default_config_static_selectorELNS0_4arch9wavefront6targetE0EEEvSP_,"axG",@progbits,_ZN7rocprim17ROCPRIM_400000_NS6detail17trampoline_kernelINS0_14default_configENS1_29binary_search_config_selectorIjbEEZNS1_14transform_implILb0ES3_S5_N6thrust23THRUST_200600_302600_NS6detail15normal_iteratorINS8_10device_ptrIjEEEENSA_INSB_IbEEEEZNS1_13binary_searchIS3_S5_SD_SD_SF_NS1_16binary_search_opENS9_16wrapped_functionINS0_4lessIvEEbEEEE10hipError_tPvRmT1_T2_T3_mmT4_T5_P12ihipStream_tbEUlRKjE_EESM_SQ_SR_mSS_SV_bEUlT_E_NS1_11comp_targetILNS1_3genE2ELNS1_11target_archE906ELNS1_3gpuE6ELNS1_3repE0EEENS1_30default_config_static_selectorELNS0_4arch9wavefront6targetE0EEEvSP_,comdat
	.protected	_ZN7rocprim17ROCPRIM_400000_NS6detail17trampoline_kernelINS0_14default_configENS1_29binary_search_config_selectorIjbEEZNS1_14transform_implILb0ES3_S5_N6thrust23THRUST_200600_302600_NS6detail15normal_iteratorINS8_10device_ptrIjEEEENSA_INSB_IbEEEEZNS1_13binary_searchIS3_S5_SD_SD_SF_NS1_16binary_search_opENS9_16wrapped_functionINS0_4lessIvEEbEEEE10hipError_tPvRmT1_T2_T3_mmT4_T5_P12ihipStream_tbEUlRKjE_EESM_SQ_SR_mSS_SV_bEUlT_E_NS1_11comp_targetILNS1_3genE2ELNS1_11target_archE906ELNS1_3gpuE6ELNS1_3repE0EEENS1_30default_config_static_selectorELNS0_4arch9wavefront6targetE0EEEvSP_ ; -- Begin function _ZN7rocprim17ROCPRIM_400000_NS6detail17trampoline_kernelINS0_14default_configENS1_29binary_search_config_selectorIjbEEZNS1_14transform_implILb0ES3_S5_N6thrust23THRUST_200600_302600_NS6detail15normal_iteratorINS8_10device_ptrIjEEEENSA_INSB_IbEEEEZNS1_13binary_searchIS3_S5_SD_SD_SF_NS1_16binary_search_opENS9_16wrapped_functionINS0_4lessIvEEbEEEE10hipError_tPvRmT1_T2_T3_mmT4_T5_P12ihipStream_tbEUlRKjE_EESM_SQ_SR_mSS_SV_bEUlT_E_NS1_11comp_targetILNS1_3genE2ELNS1_11target_archE906ELNS1_3gpuE6ELNS1_3repE0EEENS1_30default_config_static_selectorELNS0_4arch9wavefront6targetE0EEEvSP_
	.globl	_ZN7rocprim17ROCPRIM_400000_NS6detail17trampoline_kernelINS0_14default_configENS1_29binary_search_config_selectorIjbEEZNS1_14transform_implILb0ES3_S5_N6thrust23THRUST_200600_302600_NS6detail15normal_iteratorINS8_10device_ptrIjEEEENSA_INSB_IbEEEEZNS1_13binary_searchIS3_S5_SD_SD_SF_NS1_16binary_search_opENS9_16wrapped_functionINS0_4lessIvEEbEEEE10hipError_tPvRmT1_T2_T3_mmT4_T5_P12ihipStream_tbEUlRKjE_EESM_SQ_SR_mSS_SV_bEUlT_E_NS1_11comp_targetILNS1_3genE2ELNS1_11target_archE906ELNS1_3gpuE6ELNS1_3repE0EEENS1_30default_config_static_selectorELNS0_4arch9wavefront6targetE0EEEvSP_
	.p2align	8
	.type	_ZN7rocprim17ROCPRIM_400000_NS6detail17trampoline_kernelINS0_14default_configENS1_29binary_search_config_selectorIjbEEZNS1_14transform_implILb0ES3_S5_N6thrust23THRUST_200600_302600_NS6detail15normal_iteratorINS8_10device_ptrIjEEEENSA_INSB_IbEEEEZNS1_13binary_searchIS3_S5_SD_SD_SF_NS1_16binary_search_opENS9_16wrapped_functionINS0_4lessIvEEbEEEE10hipError_tPvRmT1_T2_T3_mmT4_T5_P12ihipStream_tbEUlRKjE_EESM_SQ_SR_mSS_SV_bEUlT_E_NS1_11comp_targetILNS1_3genE2ELNS1_11target_archE906ELNS1_3gpuE6ELNS1_3repE0EEENS1_30default_config_static_selectorELNS0_4arch9wavefront6targetE0EEEvSP_,@function
_ZN7rocprim17ROCPRIM_400000_NS6detail17trampoline_kernelINS0_14default_configENS1_29binary_search_config_selectorIjbEEZNS1_14transform_implILb0ES3_S5_N6thrust23THRUST_200600_302600_NS6detail15normal_iteratorINS8_10device_ptrIjEEEENSA_INSB_IbEEEEZNS1_13binary_searchIS3_S5_SD_SD_SF_NS1_16binary_search_opENS9_16wrapped_functionINS0_4lessIvEEbEEEE10hipError_tPvRmT1_T2_T3_mmT4_T5_P12ihipStream_tbEUlRKjE_EESM_SQ_SR_mSS_SV_bEUlT_E_NS1_11comp_targetILNS1_3genE2ELNS1_11target_archE906ELNS1_3gpuE6ELNS1_3repE0EEENS1_30default_config_static_selectorELNS0_4arch9wavefront6targetE0EEEvSP_: ; @_ZN7rocprim17ROCPRIM_400000_NS6detail17trampoline_kernelINS0_14default_configENS1_29binary_search_config_selectorIjbEEZNS1_14transform_implILb0ES3_S5_N6thrust23THRUST_200600_302600_NS6detail15normal_iteratorINS8_10device_ptrIjEEEENSA_INSB_IbEEEEZNS1_13binary_searchIS3_S5_SD_SD_SF_NS1_16binary_search_opENS9_16wrapped_functionINS0_4lessIvEEbEEEE10hipError_tPvRmT1_T2_T3_mmT4_T5_P12ihipStream_tbEUlRKjE_EESM_SQ_SR_mSS_SV_bEUlT_E_NS1_11comp_targetILNS1_3genE2ELNS1_11target_archE906ELNS1_3gpuE6ELNS1_3repE0EEENS1_30default_config_static_selectorELNS0_4arch9wavefront6targetE0EEEvSP_
; %bb.0:
	.section	.rodata,"a",@progbits
	.p2align	6, 0x0
	.amdhsa_kernel _ZN7rocprim17ROCPRIM_400000_NS6detail17trampoline_kernelINS0_14default_configENS1_29binary_search_config_selectorIjbEEZNS1_14transform_implILb0ES3_S5_N6thrust23THRUST_200600_302600_NS6detail15normal_iteratorINS8_10device_ptrIjEEEENSA_INSB_IbEEEEZNS1_13binary_searchIS3_S5_SD_SD_SF_NS1_16binary_search_opENS9_16wrapped_functionINS0_4lessIvEEbEEEE10hipError_tPvRmT1_T2_T3_mmT4_T5_P12ihipStream_tbEUlRKjE_EESM_SQ_SR_mSS_SV_bEUlT_E_NS1_11comp_targetILNS1_3genE2ELNS1_11target_archE906ELNS1_3gpuE6ELNS1_3repE0EEENS1_30default_config_static_selectorELNS0_4arch9wavefront6targetE0EEEvSP_
		.amdhsa_group_segment_fixed_size 0
		.amdhsa_private_segment_fixed_size 0
		.amdhsa_kernarg_size 56
		.amdhsa_user_sgpr_count 15
		.amdhsa_user_sgpr_dispatch_ptr 0
		.amdhsa_user_sgpr_queue_ptr 0
		.amdhsa_user_sgpr_kernarg_segment_ptr 1
		.amdhsa_user_sgpr_dispatch_id 0
		.amdhsa_user_sgpr_private_segment_size 0
		.amdhsa_wavefront_size32 1
		.amdhsa_uses_dynamic_stack 0
		.amdhsa_enable_private_segment 0
		.amdhsa_system_sgpr_workgroup_id_x 1
		.amdhsa_system_sgpr_workgroup_id_y 0
		.amdhsa_system_sgpr_workgroup_id_z 0
		.amdhsa_system_sgpr_workgroup_info 0
		.amdhsa_system_vgpr_workitem_id 0
		.amdhsa_next_free_vgpr 1
		.amdhsa_next_free_sgpr 1
		.amdhsa_reserve_vcc 0
		.amdhsa_float_round_mode_32 0
		.amdhsa_float_round_mode_16_64 0
		.amdhsa_float_denorm_mode_32 3
		.amdhsa_float_denorm_mode_16_64 3
		.amdhsa_dx10_clamp 1
		.amdhsa_ieee_mode 1
		.amdhsa_fp16_overflow 0
		.amdhsa_workgroup_processor_mode 1
		.amdhsa_memory_ordered 1
		.amdhsa_forward_progress 0
		.amdhsa_shared_vgpr_count 0
		.amdhsa_exception_fp_ieee_invalid_op 0
		.amdhsa_exception_fp_denorm_src 0
		.amdhsa_exception_fp_ieee_div_zero 0
		.amdhsa_exception_fp_ieee_overflow 0
		.amdhsa_exception_fp_ieee_underflow 0
		.amdhsa_exception_fp_ieee_inexact 0
		.amdhsa_exception_int_div_zero 0
	.end_amdhsa_kernel
	.section	.text._ZN7rocprim17ROCPRIM_400000_NS6detail17trampoline_kernelINS0_14default_configENS1_29binary_search_config_selectorIjbEEZNS1_14transform_implILb0ES3_S5_N6thrust23THRUST_200600_302600_NS6detail15normal_iteratorINS8_10device_ptrIjEEEENSA_INSB_IbEEEEZNS1_13binary_searchIS3_S5_SD_SD_SF_NS1_16binary_search_opENS9_16wrapped_functionINS0_4lessIvEEbEEEE10hipError_tPvRmT1_T2_T3_mmT4_T5_P12ihipStream_tbEUlRKjE_EESM_SQ_SR_mSS_SV_bEUlT_E_NS1_11comp_targetILNS1_3genE2ELNS1_11target_archE906ELNS1_3gpuE6ELNS1_3repE0EEENS1_30default_config_static_selectorELNS0_4arch9wavefront6targetE0EEEvSP_,"axG",@progbits,_ZN7rocprim17ROCPRIM_400000_NS6detail17trampoline_kernelINS0_14default_configENS1_29binary_search_config_selectorIjbEEZNS1_14transform_implILb0ES3_S5_N6thrust23THRUST_200600_302600_NS6detail15normal_iteratorINS8_10device_ptrIjEEEENSA_INSB_IbEEEEZNS1_13binary_searchIS3_S5_SD_SD_SF_NS1_16binary_search_opENS9_16wrapped_functionINS0_4lessIvEEbEEEE10hipError_tPvRmT1_T2_T3_mmT4_T5_P12ihipStream_tbEUlRKjE_EESM_SQ_SR_mSS_SV_bEUlT_E_NS1_11comp_targetILNS1_3genE2ELNS1_11target_archE906ELNS1_3gpuE6ELNS1_3repE0EEENS1_30default_config_static_selectorELNS0_4arch9wavefront6targetE0EEEvSP_,comdat
.Lfunc_end460:
	.size	_ZN7rocprim17ROCPRIM_400000_NS6detail17trampoline_kernelINS0_14default_configENS1_29binary_search_config_selectorIjbEEZNS1_14transform_implILb0ES3_S5_N6thrust23THRUST_200600_302600_NS6detail15normal_iteratorINS8_10device_ptrIjEEEENSA_INSB_IbEEEEZNS1_13binary_searchIS3_S5_SD_SD_SF_NS1_16binary_search_opENS9_16wrapped_functionINS0_4lessIvEEbEEEE10hipError_tPvRmT1_T2_T3_mmT4_T5_P12ihipStream_tbEUlRKjE_EESM_SQ_SR_mSS_SV_bEUlT_E_NS1_11comp_targetILNS1_3genE2ELNS1_11target_archE906ELNS1_3gpuE6ELNS1_3repE0EEENS1_30default_config_static_selectorELNS0_4arch9wavefront6targetE0EEEvSP_, .Lfunc_end460-_ZN7rocprim17ROCPRIM_400000_NS6detail17trampoline_kernelINS0_14default_configENS1_29binary_search_config_selectorIjbEEZNS1_14transform_implILb0ES3_S5_N6thrust23THRUST_200600_302600_NS6detail15normal_iteratorINS8_10device_ptrIjEEEENSA_INSB_IbEEEEZNS1_13binary_searchIS3_S5_SD_SD_SF_NS1_16binary_search_opENS9_16wrapped_functionINS0_4lessIvEEbEEEE10hipError_tPvRmT1_T2_T3_mmT4_T5_P12ihipStream_tbEUlRKjE_EESM_SQ_SR_mSS_SV_bEUlT_E_NS1_11comp_targetILNS1_3genE2ELNS1_11target_archE906ELNS1_3gpuE6ELNS1_3repE0EEENS1_30default_config_static_selectorELNS0_4arch9wavefront6targetE0EEEvSP_
                                        ; -- End function
	.section	.AMDGPU.csdata,"",@progbits
; Kernel info:
; codeLenInByte = 0
; NumSgprs: 0
; NumVgprs: 0
; ScratchSize: 0
; MemoryBound: 0
; FloatMode: 240
; IeeeMode: 1
; LDSByteSize: 0 bytes/workgroup (compile time only)
; SGPRBlocks: 0
; VGPRBlocks: 0
; NumSGPRsForWavesPerEU: 1
; NumVGPRsForWavesPerEU: 1
; Occupancy: 16
; WaveLimiterHint : 0
; COMPUTE_PGM_RSRC2:SCRATCH_EN: 0
; COMPUTE_PGM_RSRC2:USER_SGPR: 15
; COMPUTE_PGM_RSRC2:TRAP_HANDLER: 0
; COMPUTE_PGM_RSRC2:TGID_X_EN: 1
; COMPUTE_PGM_RSRC2:TGID_Y_EN: 0
; COMPUTE_PGM_RSRC2:TGID_Z_EN: 0
; COMPUTE_PGM_RSRC2:TIDIG_COMP_CNT: 0
	.section	.text._ZN7rocprim17ROCPRIM_400000_NS6detail17trampoline_kernelINS0_14default_configENS1_29binary_search_config_selectorIjbEEZNS1_14transform_implILb0ES3_S5_N6thrust23THRUST_200600_302600_NS6detail15normal_iteratorINS8_10device_ptrIjEEEENSA_INSB_IbEEEEZNS1_13binary_searchIS3_S5_SD_SD_SF_NS1_16binary_search_opENS9_16wrapped_functionINS0_4lessIvEEbEEEE10hipError_tPvRmT1_T2_T3_mmT4_T5_P12ihipStream_tbEUlRKjE_EESM_SQ_SR_mSS_SV_bEUlT_E_NS1_11comp_targetILNS1_3genE10ELNS1_11target_archE1201ELNS1_3gpuE5ELNS1_3repE0EEENS1_30default_config_static_selectorELNS0_4arch9wavefront6targetE0EEEvSP_,"axG",@progbits,_ZN7rocprim17ROCPRIM_400000_NS6detail17trampoline_kernelINS0_14default_configENS1_29binary_search_config_selectorIjbEEZNS1_14transform_implILb0ES3_S5_N6thrust23THRUST_200600_302600_NS6detail15normal_iteratorINS8_10device_ptrIjEEEENSA_INSB_IbEEEEZNS1_13binary_searchIS3_S5_SD_SD_SF_NS1_16binary_search_opENS9_16wrapped_functionINS0_4lessIvEEbEEEE10hipError_tPvRmT1_T2_T3_mmT4_T5_P12ihipStream_tbEUlRKjE_EESM_SQ_SR_mSS_SV_bEUlT_E_NS1_11comp_targetILNS1_3genE10ELNS1_11target_archE1201ELNS1_3gpuE5ELNS1_3repE0EEENS1_30default_config_static_selectorELNS0_4arch9wavefront6targetE0EEEvSP_,comdat
	.protected	_ZN7rocprim17ROCPRIM_400000_NS6detail17trampoline_kernelINS0_14default_configENS1_29binary_search_config_selectorIjbEEZNS1_14transform_implILb0ES3_S5_N6thrust23THRUST_200600_302600_NS6detail15normal_iteratorINS8_10device_ptrIjEEEENSA_INSB_IbEEEEZNS1_13binary_searchIS3_S5_SD_SD_SF_NS1_16binary_search_opENS9_16wrapped_functionINS0_4lessIvEEbEEEE10hipError_tPvRmT1_T2_T3_mmT4_T5_P12ihipStream_tbEUlRKjE_EESM_SQ_SR_mSS_SV_bEUlT_E_NS1_11comp_targetILNS1_3genE10ELNS1_11target_archE1201ELNS1_3gpuE5ELNS1_3repE0EEENS1_30default_config_static_selectorELNS0_4arch9wavefront6targetE0EEEvSP_ ; -- Begin function _ZN7rocprim17ROCPRIM_400000_NS6detail17trampoline_kernelINS0_14default_configENS1_29binary_search_config_selectorIjbEEZNS1_14transform_implILb0ES3_S5_N6thrust23THRUST_200600_302600_NS6detail15normal_iteratorINS8_10device_ptrIjEEEENSA_INSB_IbEEEEZNS1_13binary_searchIS3_S5_SD_SD_SF_NS1_16binary_search_opENS9_16wrapped_functionINS0_4lessIvEEbEEEE10hipError_tPvRmT1_T2_T3_mmT4_T5_P12ihipStream_tbEUlRKjE_EESM_SQ_SR_mSS_SV_bEUlT_E_NS1_11comp_targetILNS1_3genE10ELNS1_11target_archE1201ELNS1_3gpuE5ELNS1_3repE0EEENS1_30default_config_static_selectorELNS0_4arch9wavefront6targetE0EEEvSP_
	.globl	_ZN7rocprim17ROCPRIM_400000_NS6detail17trampoline_kernelINS0_14default_configENS1_29binary_search_config_selectorIjbEEZNS1_14transform_implILb0ES3_S5_N6thrust23THRUST_200600_302600_NS6detail15normal_iteratorINS8_10device_ptrIjEEEENSA_INSB_IbEEEEZNS1_13binary_searchIS3_S5_SD_SD_SF_NS1_16binary_search_opENS9_16wrapped_functionINS0_4lessIvEEbEEEE10hipError_tPvRmT1_T2_T3_mmT4_T5_P12ihipStream_tbEUlRKjE_EESM_SQ_SR_mSS_SV_bEUlT_E_NS1_11comp_targetILNS1_3genE10ELNS1_11target_archE1201ELNS1_3gpuE5ELNS1_3repE0EEENS1_30default_config_static_selectorELNS0_4arch9wavefront6targetE0EEEvSP_
	.p2align	8
	.type	_ZN7rocprim17ROCPRIM_400000_NS6detail17trampoline_kernelINS0_14default_configENS1_29binary_search_config_selectorIjbEEZNS1_14transform_implILb0ES3_S5_N6thrust23THRUST_200600_302600_NS6detail15normal_iteratorINS8_10device_ptrIjEEEENSA_INSB_IbEEEEZNS1_13binary_searchIS3_S5_SD_SD_SF_NS1_16binary_search_opENS9_16wrapped_functionINS0_4lessIvEEbEEEE10hipError_tPvRmT1_T2_T3_mmT4_T5_P12ihipStream_tbEUlRKjE_EESM_SQ_SR_mSS_SV_bEUlT_E_NS1_11comp_targetILNS1_3genE10ELNS1_11target_archE1201ELNS1_3gpuE5ELNS1_3repE0EEENS1_30default_config_static_selectorELNS0_4arch9wavefront6targetE0EEEvSP_,@function
_ZN7rocprim17ROCPRIM_400000_NS6detail17trampoline_kernelINS0_14default_configENS1_29binary_search_config_selectorIjbEEZNS1_14transform_implILb0ES3_S5_N6thrust23THRUST_200600_302600_NS6detail15normal_iteratorINS8_10device_ptrIjEEEENSA_INSB_IbEEEEZNS1_13binary_searchIS3_S5_SD_SD_SF_NS1_16binary_search_opENS9_16wrapped_functionINS0_4lessIvEEbEEEE10hipError_tPvRmT1_T2_T3_mmT4_T5_P12ihipStream_tbEUlRKjE_EESM_SQ_SR_mSS_SV_bEUlT_E_NS1_11comp_targetILNS1_3genE10ELNS1_11target_archE1201ELNS1_3gpuE5ELNS1_3repE0EEENS1_30default_config_static_selectorELNS0_4arch9wavefront6targetE0EEEvSP_: ; @_ZN7rocprim17ROCPRIM_400000_NS6detail17trampoline_kernelINS0_14default_configENS1_29binary_search_config_selectorIjbEEZNS1_14transform_implILb0ES3_S5_N6thrust23THRUST_200600_302600_NS6detail15normal_iteratorINS8_10device_ptrIjEEEENSA_INSB_IbEEEEZNS1_13binary_searchIS3_S5_SD_SD_SF_NS1_16binary_search_opENS9_16wrapped_functionINS0_4lessIvEEbEEEE10hipError_tPvRmT1_T2_T3_mmT4_T5_P12ihipStream_tbEUlRKjE_EESM_SQ_SR_mSS_SV_bEUlT_E_NS1_11comp_targetILNS1_3genE10ELNS1_11target_archE1201ELNS1_3gpuE5ELNS1_3repE0EEENS1_30default_config_static_selectorELNS0_4arch9wavefront6targetE0EEEvSP_
; %bb.0:
	.section	.rodata,"a",@progbits
	.p2align	6, 0x0
	.amdhsa_kernel _ZN7rocprim17ROCPRIM_400000_NS6detail17trampoline_kernelINS0_14default_configENS1_29binary_search_config_selectorIjbEEZNS1_14transform_implILb0ES3_S5_N6thrust23THRUST_200600_302600_NS6detail15normal_iteratorINS8_10device_ptrIjEEEENSA_INSB_IbEEEEZNS1_13binary_searchIS3_S5_SD_SD_SF_NS1_16binary_search_opENS9_16wrapped_functionINS0_4lessIvEEbEEEE10hipError_tPvRmT1_T2_T3_mmT4_T5_P12ihipStream_tbEUlRKjE_EESM_SQ_SR_mSS_SV_bEUlT_E_NS1_11comp_targetILNS1_3genE10ELNS1_11target_archE1201ELNS1_3gpuE5ELNS1_3repE0EEENS1_30default_config_static_selectorELNS0_4arch9wavefront6targetE0EEEvSP_
		.amdhsa_group_segment_fixed_size 0
		.amdhsa_private_segment_fixed_size 0
		.amdhsa_kernarg_size 56
		.amdhsa_user_sgpr_count 15
		.amdhsa_user_sgpr_dispatch_ptr 0
		.amdhsa_user_sgpr_queue_ptr 0
		.amdhsa_user_sgpr_kernarg_segment_ptr 1
		.amdhsa_user_sgpr_dispatch_id 0
		.amdhsa_user_sgpr_private_segment_size 0
		.amdhsa_wavefront_size32 1
		.amdhsa_uses_dynamic_stack 0
		.amdhsa_enable_private_segment 0
		.amdhsa_system_sgpr_workgroup_id_x 1
		.amdhsa_system_sgpr_workgroup_id_y 0
		.amdhsa_system_sgpr_workgroup_id_z 0
		.amdhsa_system_sgpr_workgroup_info 0
		.amdhsa_system_vgpr_workitem_id 0
		.amdhsa_next_free_vgpr 1
		.amdhsa_next_free_sgpr 1
		.amdhsa_reserve_vcc 0
		.amdhsa_float_round_mode_32 0
		.amdhsa_float_round_mode_16_64 0
		.amdhsa_float_denorm_mode_32 3
		.amdhsa_float_denorm_mode_16_64 3
		.amdhsa_dx10_clamp 1
		.amdhsa_ieee_mode 1
		.amdhsa_fp16_overflow 0
		.amdhsa_workgroup_processor_mode 1
		.amdhsa_memory_ordered 1
		.amdhsa_forward_progress 0
		.amdhsa_shared_vgpr_count 0
		.amdhsa_exception_fp_ieee_invalid_op 0
		.amdhsa_exception_fp_denorm_src 0
		.amdhsa_exception_fp_ieee_div_zero 0
		.amdhsa_exception_fp_ieee_overflow 0
		.amdhsa_exception_fp_ieee_underflow 0
		.amdhsa_exception_fp_ieee_inexact 0
		.amdhsa_exception_int_div_zero 0
	.end_amdhsa_kernel
	.section	.text._ZN7rocprim17ROCPRIM_400000_NS6detail17trampoline_kernelINS0_14default_configENS1_29binary_search_config_selectorIjbEEZNS1_14transform_implILb0ES3_S5_N6thrust23THRUST_200600_302600_NS6detail15normal_iteratorINS8_10device_ptrIjEEEENSA_INSB_IbEEEEZNS1_13binary_searchIS3_S5_SD_SD_SF_NS1_16binary_search_opENS9_16wrapped_functionINS0_4lessIvEEbEEEE10hipError_tPvRmT1_T2_T3_mmT4_T5_P12ihipStream_tbEUlRKjE_EESM_SQ_SR_mSS_SV_bEUlT_E_NS1_11comp_targetILNS1_3genE10ELNS1_11target_archE1201ELNS1_3gpuE5ELNS1_3repE0EEENS1_30default_config_static_selectorELNS0_4arch9wavefront6targetE0EEEvSP_,"axG",@progbits,_ZN7rocprim17ROCPRIM_400000_NS6detail17trampoline_kernelINS0_14default_configENS1_29binary_search_config_selectorIjbEEZNS1_14transform_implILb0ES3_S5_N6thrust23THRUST_200600_302600_NS6detail15normal_iteratorINS8_10device_ptrIjEEEENSA_INSB_IbEEEEZNS1_13binary_searchIS3_S5_SD_SD_SF_NS1_16binary_search_opENS9_16wrapped_functionINS0_4lessIvEEbEEEE10hipError_tPvRmT1_T2_T3_mmT4_T5_P12ihipStream_tbEUlRKjE_EESM_SQ_SR_mSS_SV_bEUlT_E_NS1_11comp_targetILNS1_3genE10ELNS1_11target_archE1201ELNS1_3gpuE5ELNS1_3repE0EEENS1_30default_config_static_selectorELNS0_4arch9wavefront6targetE0EEEvSP_,comdat
.Lfunc_end461:
	.size	_ZN7rocprim17ROCPRIM_400000_NS6detail17trampoline_kernelINS0_14default_configENS1_29binary_search_config_selectorIjbEEZNS1_14transform_implILb0ES3_S5_N6thrust23THRUST_200600_302600_NS6detail15normal_iteratorINS8_10device_ptrIjEEEENSA_INSB_IbEEEEZNS1_13binary_searchIS3_S5_SD_SD_SF_NS1_16binary_search_opENS9_16wrapped_functionINS0_4lessIvEEbEEEE10hipError_tPvRmT1_T2_T3_mmT4_T5_P12ihipStream_tbEUlRKjE_EESM_SQ_SR_mSS_SV_bEUlT_E_NS1_11comp_targetILNS1_3genE10ELNS1_11target_archE1201ELNS1_3gpuE5ELNS1_3repE0EEENS1_30default_config_static_selectorELNS0_4arch9wavefront6targetE0EEEvSP_, .Lfunc_end461-_ZN7rocprim17ROCPRIM_400000_NS6detail17trampoline_kernelINS0_14default_configENS1_29binary_search_config_selectorIjbEEZNS1_14transform_implILb0ES3_S5_N6thrust23THRUST_200600_302600_NS6detail15normal_iteratorINS8_10device_ptrIjEEEENSA_INSB_IbEEEEZNS1_13binary_searchIS3_S5_SD_SD_SF_NS1_16binary_search_opENS9_16wrapped_functionINS0_4lessIvEEbEEEE10hipError_tPvRmT1_T2_T3_mmT4_T5_P12ihipStream_tbEUlRKjE_EESM_SQ_SR_mSS_SV_bEUlT_E_NS1_11comp_targetILNS1_3genE10ELNS1_11target_archE1201ELNS1_3gpuE5ELNS1_3repE0EEENS1_30default_config_static_selectorELNS0_4arch9wavefront6targetE0EEEvSP_
                                        ; -- End function
	.section	.AMDGPU.csdata,"",@progbits
; Kernel info:
; codeLenInByte = 0
; NumSgprs: 0
; NumVgprs: 0
; ScratchSize: 0
; MemoryBound: 0
; FloatMode: 240
; IeeeMode: 1
; LDSByteSize: 0 bytes/workgroup (compile time only)
; SGPRBlocks: 0
; VGPRBlocks: 0
; NumSGPRsForWavesPerEU: 1
; NumVGPRsForWavesPerEU: 1
; Occupancy: 16
; WaveLimiterHint : 0
; COMPUTE_PGM_RSRC2:SCRATCH_EN: 0
; COMPUTE_PGM_RSRC2:USER_SGPR: 15
; COMPUTE_PGM_RSRC2:TRAP_HANDLER: 0
; COMPUTE_PGM_RSRC2:TGID_X_EN: 1
; COMPUTE_PGM_RSRC2:TGID_Y_EN: 0
; COMPUTE_PGM_RSRC2:TGID_Z_EN: 0
; COMPUTE_PGM_RSRC2:TIDIG_COMP_CNT: 0
	.section	.text._ZN7rocprim17ROCPRIM_400000_NS6detail17trampoline_kernelINS0_14default_configENS1_29binary_search_config_selectorIjbEEZNS1_14transform_implILb0ES3_S5_N6thrust23THRUST_200600_302600_NS6detail15normal_iteratorINS8_10device_ptrIjEEEENSA_INSB_IbEEEEZNS1_13binary_searchIS3_S5_SD_SD_SF_NS1_16binary_search_opENS9_16wrapped_functionINS0_4lessIvEEbEEEE10hipError_tPvRmT1_T2_T3_mmT4_T5_P12ihipStream_tbEUlRKjE_EESM_SQ_SR_mSS_SV_bEUlT_E_NS1_11comp_targetILNS1_3genE10ELNS1_11target_archE1200ELNS1_3gpuE4ELNS1_3repE0EEENS1_30default_config_static_selectorELNS0_4arch9wavefront6targetE0EEEvSP_,"axG",@progbits,_ZN7rocprim17ROCPRIM_400000_NS6detail17trampoline_kernelINS0_14default_configENS1_29binary_search_config_selectorIjbEEZNS1_14transform_implILb0ES3_S5_N6thrust23THRUST_200600_302600_NS6detail15normal_iteratorINS8_10device_ptrIjEEEENSA_INSB_IbEEEEZNS1_13binary_searchIS3_S5_SD_SD_SF_NS1_16binary_search_opENS9_16wrapped_functionINS0_4lessIvEEbEEEE10hipError_tPvRmT1_T2_T3_mmT4_T5_P12ihipStream_tbEUlRKjE_EESM_SQ_SR_mSS_SV_bEUlT_E_NS1_11comp_targetILNS1_3genE10ELNS1_11target_archE1200ELNS1_3gpuE4ELNS1_3repE0EEENS1_30default_config_static_selectorELNS0_4arch9wavefront6targetE0EEEvSP_,comdat
	.protected	_ZN7rocprim17ROCPRIM_400000_NS6detail17trampoline_kernelINS0_14default_configENS1_29binary_search_config_selectorIjbEEZNS1_14transform_implILb0ES3_S5_N6thrust23THRUST_200600_302600_NS6detail15normal_iteratorINS8_10device_ptrIjEEEENSA_INSB_IbEEEEZNS1_13binary_searchIS3_S5_SD_SD_SF_NS1_16binary_search_opENS9_16wrapped_functionINS0_4lessIvEEbEEEE10hipError_tPvRmT1_T2_T3_mmT4_T5_P12ihipStream_tbEUlRKjE_EESM_SQ_SR_mSS_SV_bEUlT_E_NS1_11comp_targetILNS1_3genE10ELNS1_11target_archE1200ELNS1_3gpuE4ELNS1_3repE0EEENS1_30default_config_static_selectorELNS0_4arch9wavefront6targetE0EEEvSP_ ; -- Begin function _ZN7rocprim17ROCPRIM_400000_NS6detail17trampoline_kernelINS0_14default_configENS1_29binary_search_config_selectorIjbEEZNS1_14transform_implILb0ES3_S5_N6thrust23THRUST_200600_302600_NS6detail15normal_iteratorINS8_10device_ptrIjEEEENSA_INSB_IbEEEEZNS1_13binary_searchIS3_S5_SD_SD_SF_NS1_16binary_search_opENS9_16wrapped_functionINS0_4lessIvEEbEEEE10hipError_tPvRmT1_T2_T3_mmT4_T5_P12ihipStream_tbEUlRKjE_EESM_SQ_SR_mSS_SV_bEUlT_E_NS1_11comp_targetILNS1_3genE10ELNS1_11target_archE1200ELNS1_3gpuE4ELNS1_3repE0EEENS1_30default_config_static_selectorELNS0_4arch9wavefront6targetE0EEEvSP_
	.globl	_ZN7rocprim17ROCPRIM_400000_NS6detail17trampoline_kernelINS0_14default_configENS1_29binary_search_config_selectorIjbEEZNS1_14transform_implILb0ES3_S5_N6thrust23THRUST_200600_302600_NS6detail15normal_iteratorINS8_10device_ptrIjEEEENSA_INSB_IbEEEEZNS1_13binary_searchIS3_S5_SD_SD_SF_NS1_16binary_search_opENS9_16wrapped_functionINS0_4lessIvEEbEEEE10hipError_tPvRmT1_T2_T3_mmT4_T5_P12ihipStream_tbEUlRKjE_EESM_SQ_SR_mSS_SV_bEUlT_E_NS1_11comp_targetILNS1_3genE10ELNS1_11target_archE1200ELNS1_3gpuE4ELNS1_3repE0EEENS1_30default_config_static_selectorELNS0_4arch9wavefront6targetE0EEEvSP_
	.p2align	8
	.type	_ZN7rocprim17ROCPRIM_400000_NS6detail17trampoline_kernelINS0_14default_configENS1_29binary_search_config_selectorIjbEEZNS1_14transform_implILb0ES3_S5_N6thrust23THRUST_200600_302600_NS6detail15normal_iteratorINS8_10device_ptrIjEEEENSA_INSB_IbEEEEZNS1_13binary_searchIS3_S5_SD_SD_SF_NS1_16binary_search_opENS9_16wrapped_functionINS0_4lessIvEEbEEEE10hipError_tPvRmT1_T2_T3_mmT4_T5_P12ihipStream_tbEUlRKjE_EESM_SQ_SR_mSS_SV_bEUlT_E_NS1_11comp_targetILNS1_3genE10ELNS1_11target_archE1200ELNS1_3gpuE4ELNS1_3repE0EEENS1_30default_config_static_selectorELNS0_4arch9wavefront6targetE0EEEvSP_,@function
_ZN7rocprim17ROCPRIM_400000_NS6detail17trampoline_kernelINS0_14default_configENS1_29binary_search_config_selectorIjbEEZNS1_14transform_implILb0ES3_S5_N6thrust23THRUST_200600_302600_NS6detail15normal_iteratorINS8_10device_ptrIjEEEENSA_INSB_IbEEEEZNS1_13binary_searchIS3_S5_SD_SD_SF_NS1_16binary_search_opENS9_16wrapped_functionINS0_4lessIvEEbEEEE10hipError_tPvRmT1_T2_T3_mmT4_T5_P12ihipStream_tbEUlRKjE_EESM_SQ_SR_mSS_SV_bEUlT_E_NS1_11comp_targetILNS1_3genE10ELNS1_11target_archE1200ELNS1_3gpuE4ELNS1_3repE0EEENS1_30default_config_static_selectorELNS0_4arch9wavefront6targetE0EEEvSP_: ; @_ZN7rocprim17ROCPRIM_400000_NS6detail17trampoline_kernelINS0_14default_configENS1_29binary_search_config_selectorIjbEEZNS1_14transform_implILb0ES3_S5_N6thrust23THRUST_200600_302600_NS6detail15normal_iteratorINS8_10device_ptrIjEEEENSA_INSB_IbEEEEZNS1_13binary_searchIS3_S5_SD_SD_SF_NS1_16binary_search_opENS9_16wrapped_functionINS0_4lessIvEEbEEEE10hipError_tPvRmT1_T2_T3_mmT4_T5_P12ihipStream_tbEUlRKjE_EESM_SQ_SR_mSS_SV_bEUlT_E_NS1_11comp_targetILNS1_3genE10ELNS1_11target_archE1200ELNS1_3gpuE4ELNS1_3repE0EEENS1_30default_config_static_selectorELNS0_4arch9wavefront6targetE0EEEvSP_
; %bb.0:
	.section	.rodata,"a",@progbits
	.p2align	6, 0x0
	.amdhsa_kernel _ZN7rocprim17ROCPRIM_400000_NS6detail17trampoline_kernelINS0_14default_configENS1_29binary_search_config_selectorIjbEEZNS1_14transform_implILb0ES3_S5_N6thrust23THRUST_200600_302600_NS6detail15normal_iteratorINS8_10device_ptrIjEEEENSA_INSB_IbEEEEZNS1_13binary_searchIS3_S5_SD_SD_SF_NS1_16binary_search_opENS9_16wrapped_functionINS0_4lessIvEEbEEEE10hipError_tPvRmT1_T2_T3_mmT4_T5_P12ihipStream_tbEUlRKjE_EESM_SQ_SR_mSS_SV_bEUlT_E_NS1_11comp_targetILNS1_3genE10ELNS1_11target_archE1200ELNS1_3gpuE4ELNS1_3repE0EEENS1_30default_config_static_selectorELNS0_4arch9wavefront6targetE0EEEvSP_
		.amdhsa_group_segment_fixed_size 0
		.amdhsa_private_segment_fixed_size 0
		.amdhsa_kernarg_size 56
		.amdhsa_user_sgpr_count 15
		.amdhsa_user_sgpr_dispatch_ptr 0
		.amdhsa_user_sgpr_queue_ptr 0
		.amdhsa_user_sgpr_kernarg_segment_ptr 1
		.amdhsa_user_sgpr_dispatch_id 0
		.amdhsa_user_sgpr_private_segment_size 0
		.amdhsa_wavefront_size32 1
		.amdhsa_uses_dynamic_stack 0
		.amdhsa_enable_private_segment 0
		.amdhsa_system_sgpr_workgroup_id_x 1
		.amdhsa_system_sgpr_workgroup_id_y 0
		.amdhsa_system_sgpr_workgroup_id_z 0
		.amdhsa_system_sgpr_workgroup_info 0
		.amdhsa_system_vgpr_workitem_id 0
		.amdhsa_next_free_vgpr 1
		.amdhsa_next_free_sgpr 1
		.amdhsa_reserve_vcc 0
		.amdhsa_float_round_mode_32 0
		.amdhsa_float_round_mode_16_64 0
		.amdhsa_float_denorm_mode_32 3
		.amdhsa_float_denorm_mode_16_64 3
		.amdhsa_dx10_clamp 1
		.amdhsa_ieee_mode 1
		.amdhsa_fp16_overflow 0
		.amdhsa_workgroup_processor_mode 1
		.amdhsa_memory_ordered 1
		.amdhsa_forward_progress 0
		.amdhsa_shared_vgpr_count 0
		.amdhsa_exception_fp_ieee_invalid_op 0
		.amdhsa_exception_fp_denorm_src 0
		.amdhsa_exception_fp_ieee_div_zero 0
		.amdhsa_exception_fp_ieee_overflow 0
		.amdhsa_exception_fp_ieee_underflow 0
		.amdhsa_exception_fp_ieee_inexact 0
		.amdhsa_exception_int_div_zero 0
	.end_amdhsa_kernel
	.section	.text._ZN7rocprim17ROCPRIM_400000_NS6detail17trampoline_kernelINS0_14default_configENS1_29binary_search_config_selectorIjbEEZNS1_14transform_implILb0ES3_S5_N6thrust23THRUST_200600_302600_NS6detail15normal_iteratorINS8_10device_ptrIjEEEENSA_INSB_IbEEEEZNS1_13binary_searchIS3_S5_SD_SD_SF_NS1_16binary_search_opENS9_16wrapped_functionINS0_4lessIvEEbEEEE10hipError_tPvRmT1_T2_T3_mmT4_T5_P12ihipStream_tbEUlRKjE_EESM_SQ_SR_mSS_SV_bEUlT_E_NS1_11comp_targetILNS1_3genE10ELNS1_11target_archE1200ELNS1_3gpuE4ELNS1_3repE0EEENS1_30default_config_static_selectorELNS0_4arch9wavefront6targetE0EEEvSP_,"axG",@progbits,_ZN7rocprim17ROCPRIM_400000_NS6detail17trampoline_kernelINS0_14default_configENS1_29binary_search_config_selectorIjbEEZNS1_14transform_implILb0ES3_S5_N6thrust23THRUST_200600_302600_NS6detail15normal_iteratorINS8_10device_ptrIjEEEENSA_INSB_IbEEEEZNS1_13binary_searchIS3_S5_SD_SD_SF_NS1_16binary_search_opENS9_16wrapped_functionINS0_4lessIvEEbEEEE10hipError_tPvRmT1_T2_T3_mmT4_T5_P12ihipStream_tbEUlRKjE_EESM_SQ_SR_mSS_SV_bEUlT_E_NS1_11comp_targetILNS1_3genE10ELNS1_11target_archE1200ELNS1_3gpuE4ELNS1_3repE0EEENS1_30default_config_static_selectorELNS0_4arch9wavefront6targetE0EEEvSP_,comdat
.Lfunc_end462:
	.size	_ZN7rocprim17ROCPRIM_400000_NS6detail17trampoline_kernelINS0_14default_configENS1_29binary_search_config_selectorIjbEEZNS1_14transform_implILb0ES3_S5_N6thrust23THRUST_200600_302600_NS6detail15normal_iteratorINS8_10device_ptrIjEEEENSA_INSB_IbEEEEZNS1_13binary_searchIS3_S5_SD_SD_SF_NS1_16binary_search_opENS9_16wrapped_functionINS0_4lessIvEEbEEEE10hipError_tPvRmT1_T2_T3_mmT4_T5_P12ihipStream_tbEUlRKjE_EESM_SQ_SR_mSS_SV_bEUlT_E_NS1_11comp_targetILNS1_3genE10ELNS1_11target_archE1200ELNS1_3gpuE4ELNS1_3repE0EEENS1_30default_config_static_selectorELNS0_4arch9wavefront6targetE0EEEvSP_, .Lfunc_end462-_ZN7rocprim17ROCPRIM_400000_NS6detail17trampoline_kernelINS0_14default_configENS1_29binary_search_config_selectorIjbEEZNS1_14transform_implILb0ES3_S5_N6thrust23THRUST_200600_302600_NS6detail15normal_iteratorINS8_10device_ptrIjEEEENSA_INSB_IbEEEEZNS1_13binary_searchIS3_S5_SD_SD_SF_NS1_16binary_search_opENS9_16wrapped_functionINS0_4lessIvEEbEEEE10hipError_tPvRmT1_T2_T3_mmT4_T5_P12ihipStream_tbEUlRKjE_EESM_SQ_SR_mSS_SV_bEUlT_E_NS1_11comp_targetILNS1_3genE10ELNS1_11target_archE1200ELNS1_3gpuE4ELNS1_3repE0EEENS1_30default_config_static_selectorELNS0_4arch9wavefront6targetE0EEEvSP_
                                        ; -- End function
	.section	.AMDGPU.csdata,"",@progbits
; Kernel info:
; codeLenInByte = 0
; NumSgprs: 0
; NumVgprs: 0
; ScratchSize: 0
; MemoryBound: 0
; FloatMode: 240
; IeeeMode: 1
; LDSByteSize: 0 bytes/workgroup (compile time only)
; SGPRBlocks: 0
; VGPRBlocks: 0
; NumSGPRsForWavesPerEU: 1
; NumVGPRsForWavesPerEU: 1
; Occupancy: 16
; WaveLimiterHint : 0
; COMPUTE_PGM_RSRC2:SCRATCH_EN: 0
; COMPUTE_PGM_RSRC2:USER_SGPR: 15
; COMPUTE_PGM_RSRC2:TRAP_HANDLER: 0
; COMPUTE_PGM_RSRC2:TGID_X_EN: 1
; COMPUTE_PGM_RSRC2:TGID_Y_EN: 0
; COMPUTE_PGM_RSRC2:TGID_Z_EN: 0
; COMPUTE_PGM_RSRC2:TIDIG_COMP_CNT: 0
	.section	.text._ZN7rocprim17ROCPRIM_400000_NS6detail17trampoline_kernelINS0_14default_configENS1_29binary_search_config_selectorIjbEEZNS1_14transform_implILb0ES3_S5_N6thrust23THRUST_200600_302600_NS6detail15normal_iteratorINS8_10device_ptrIjEEEENSA_INSB_IbEEEEZNS1_13binary_searchIS3_S5_SD_SD_SF_NS1_16binary_search_opENS9_16wrapped_functionINS0_4lessIvEEbEEEE10hipError_tPvRmT1_T2_T3_mmT4_T5_P12ihipStream_tbEUlRKjE_EESM_SQ_SR_mSS_SV_bEUlT_E_NS1_11comp_targetILNS1_3genE9ELNS1_11target_archE1100ELNS1_3gpuE3ELNS1_3repE0EEENS1_30default_config_static_selectorELNS0_4arch9wavefront6targetE0EEEvSP_,"axG",@progbits,_ZN7rocprim17ROCPRIM_400000_NS6detail17trampoline_kernelINS0_14default_configENS1_29binary_search_config_selectorIjbEEZNS1_14transform_implILb0ES3_S5_N6thrust23THRUST_200600_302600_NS6detail15normal_iteratorINS8_10device_ptrIjEEEENSA_INSB_IbEEEEZNS1_13binary_searchIS3_S5_SD_SD_SF_NS1_16binary_search_opENS9_16wrapped_functionINS0_4lessIvEEbEEEE10hipError_tPvRmT1_T2_T3_mmT4_T5_P12ihipStream_tbEUlRKjE_EESM_SQ_SR_mSS_SV_bEUlT_E_NS1_11comp_targetILNS1_3genE9ELNS1_11target_archE1100ELNS1_3gpuE3ELNS1_3repE0EEENS1_30default_config_static_selectorELNS0_4arch9wavefront6targetE0EEEvSP_,comdat
	.protected	_ZN7rocprim17ROCPRIM_400000_NS6detail17trampoline_kernelINS0_14default_configENS1_29binary_search_config_selectorIjbEEZNS1_14transform_implILb0ES3_S5_N6thrust23THRUST_200600_302600_NS6detail15normal_iteratorINS8_10device_ptrIjEEEENSA_INSB_IbEEEEZNS1_13binary_searchIS3_S5_SD_SD_SF_NS1_16binary_search_opENS9_16wrapped_functionINS0_4lessIvEEbEEEE10hipError_tPvRmT1_T2_T3_mmT4_T5_P12ihipStream_tbEUlRKjE_EESM_SQ_SR_mSS_SV_bEUlT_E_NS1_11comp_targetILNS1_3genE9ELNS1_11target_archE1100ELNS1_3gpuE3ELNS1_3repE0EEENS1_30default_config_static_selectorELNS0_4arch9wavefront6targetE0EEEvSP_ ; -- Begin function _ZN7rocprim17ROCPRIM_400000_NS6detail17trampoline_kernelINS0_14default_configENS1_29binary_search_config_selectorIjbEEZNS1_14transform_implILb0ES3_S5_N6thrust23THRUST_200600_302600_NS6detail15normal_iteratorINS8_10device_ptrIjEEEENSA_INSB_IbEEEEZNS1_13binary_searchIS3_S5_SD_SD_SF_NS1_16binary_search_opENS9_16wrapped_functionINS0_4lessIvEEbEEEE10hipError_tPvRmT1_T2_T3_mmT4_T5_P12ihipStream_tbEUlRKjE_EESM_SQ_SR_mSS_SV_bEUlT_E_NS1_11comp_targetILNS1_3genE9ELNS1_11target_archE1100ELNS1_3gpuE3ELNS1_3repE0EEENS1_30default_config_static_selectorELNS0_4arch9wavefront6targetE0EEEvSP_
	.globl	_ZN7rocprim17ROCPRIM_400000_NS6detail17trampoline_kernelINS0_14default_configENS1_29binary_search_config_selectorIjbEEZNS1_14transform_implILb0ES3_S5_N6thrust23THRUST_200600_302600_NS6detail15normal_iteratorINS8_10device_ptrIjEEEENSA_INSB_IbEEEEZNS1_13binary_searchIS3_S5_SD_SD_SF_NS1_16binary_search_opENS9_16wrapped_functionINS0_4lessIvEEbEEEE10hipError_tPvRmT1_T2_T3_mmT4_T5_P12ihipStream_tbEUlRKjE_EESM_SQ_SR_mSS_SV_bEUlT_E_NS1_11comp_targetILNS1_3genE9ELNS1_11target_archE1100ELNS1_3gpuE3ELNS1_3repE0EEENS1_30default_config_static_selectorELNS0_4arch9wavefront6targetE0EEEvSP_
	.p2align	8
	.type	_ZN7rocprim17ROCPRIM_400000_NS6detail17trampoline_kernelINS0_14default_configENS1_29binary_search_config_selectorIjbEEZNS1_14transform_implILb0ES3_S5_N6thrust23THRUST_200600_302600_NS6detail15normal_iteratorINS8_10device_ptrIjEEEENSA_INSB_IbEEEEZNS1_13binary_searchIS3_S5_SD_SD_SF_NS1_16binary_search_opENS9_16wrapped_functionINS0_4lessIvEEbEEEE10hipError_tPvRmT1_T2_T3_mmT4_T5_P12ihipStream_tbEUlRKjE_EESM_SQ_SR_mSS_SV_bEUlT_E_NS1_11comp_targetILNS1_3genE9ELNS1_11target_archE1100ELNS1_3gpuE3ELNS1_3repE0EEENS1_30default_config_static_selectorELNS0_4arch9wavefront6targetE0EEEvSP_,@function
_ZN7rocprim17ROCPRIM_400000_NS6detail17trampoline_kernelINS0_14default_configENS1_29binary_search_config_selectorIjbEEZNS1_14transform_implILb0ES3_S5_N6thrust23THRUST_200600_302600_NS6detail15normal_iteratorINS8_10device_ptrIjEEEENSA_INSB_IbEEEEZNS1_13binary_searchIS3_S5_SD_SD_SF_NS1_16binary_search_opENS9_16wrapped_functionINS0_4lessIvEEbEEEE10hipError_tPvRmT1_T2_T3_mmT4_T5_P12ihipStream_tbEUlRKjE_EESM_SQ_SR_mSS_SV_bEUlT_E_NS1_11comp_targetILNS1_3genE9ELNS1_11target_archE1100ELNS1_3gpuE3ELNS1_3repE0EEENS1_30default_config_static_selectorELNS0_4arch9wavefront6targetE0EEEvSP_: ; @_ZN7rocprim17ROCPRIM_400000_NS6detail17trampoline_kernelINS0_14default_configENS1_29binary_search_config_selectorIjbEEZNS1_14transform_implILb0ES3_S5_N6thrust23THRUST_200600_302600_NS6detail15normal_iteratorINS8_10device_ptrIjEEEENSA_INSB_IbEEEEZNS1_13binary_searchIS3_S5_SD_SD_SF_NS1_16binary_search_opENS9_16wrapped_functionINS0_4lessIvEEbEEEE10hipError_tPvRmT1_T2_T3_mmT4_T5_P12ihipStream_tbEUlRKjE_EESM_SQ_SR_mSS_SV_bEUlT_E_NS1_11comp_targetILNS1_3genE9ELNS1_11target_archE1100ELNS1_3gpuE3ELNS1_3repE0EEENS1_30default_config_static_selectorELNS0_4arch9wavefront6targetE0EEEvSP_
; %bb.0:
	s_clause 0x3
	s_load_b128 s[16:19], s[0:1], 0x0
	s_load_b128 s[4:7], s[0:1], 0x18
	s_load_b32 s12, s[0:1], 0x38
	s_load_b64 s[8:9], s[0:1], 0x28
	s_waitcnt lgkmcnt(0)
	s_lshl_b64 s[2:3], s[18:19], 2
	s_delay_alu instid0(SALU_CYCLE_1)
	s_add_u32 s10, s16, s2
	s_addc_u32 s11, s17, s3
	s_add_u32 s4, s4, s18
	s_addc_u32 s5, s5, s19
	s_add_i32 s12, s12, -1
	s_lshl_b32 s2, s15, 8
	s_mov_b32 s3, 0
	s_cmp_lg_u32 s15, s12
	s_mov_b32 s12, -1
	s_cbranch_scc0 .LBB463_8
; %bb.1:
	v_lshlrev_b32_e32 v1, 2, v0
	s_lshl_b64 s[12:13], s[2:3], 2
	s_delay_alu instid0(SALU_CYCLE_1) | instskip(SKIP_1) | instid1(VALU_DEP_1)
	s_add_u32 s12, s10, s12
	s_addc_u32 s13, s11, s13
	v_add_co_u32 v1, s12, s12, v1
	s_delay_alu instid0(VALU_DEP_1)
	v_add_co_ci_u32_e64 v2, null, s13, 0, s12
	s_cmp_eq_u64 s[8:9], 0
	flat_load_b32 v5, v[1:2]
	v_mov_b32_e32 v1, 0
	v_mov_b32_e32 v2, 0
	s_cbranch_scc1 .LBB463_5
; %bb.2:
	v_mov_b32_e32 v1, 0
	v_dual_mov_b32 v2, 0 :: v_dual_mov_b32 v3, s8
	v_mov_b32_e32 v4, s9
	s_mov_b32 s12, s3
	.p2align	6
.LBB463_3:                              ; =>This Inner Loop Header: Depth=1
	s_delay_alu instid0(VALU_DEP_2) | instskip(NEXT) | instid1(VALU_DEP_2)
	v_sub_co_u32 v6, vcc_lo, v3, v1
	v_sub_co_ci_u32_e32 v7, vcc_lo, v4, v2, vcc_lo
	s_delay_alu instid0(VALU_DEP_1) | instskip(SKIP_1) | instid1(VALU_DEP_2)
	v_lshrrev_b64 v[8:9], 1, v[6:7]
	v_lshrrev_b64 v[6:7], 6, v[6:7]
	v_add_co_u32 v8, vcc_lo, v8, v1
	s_delay_alu instid0(VALU_DEP_3) | instskip(NEXT) | instid1(VALU_DEP_2)
	v_add_co_ci_u32_e32 v9, vcc_lo, v9, v2, vcc_lo
	v_add_co_u32 v6, vcc_lo, v8, v6
	s_delay_alu instid0(VALU_DEP_2) | instskip(NEXT) | instid1(VALU_DEP_1)
	v_add_co_ci_u32_e32 v7, vcc_lo, v9, v7, vcc_lo
	v_lshlrev_b64 v[8:9], 2, v[6:7]
	s_delay_alu instid0(VALU_DEP_1) | instskip(NEXT) | instid1(VALU_DEP_2)
	v_add_co_u32 v8, vcc_lo, s6, v8
	v_add_co_ci_u32_e32 v9, vcc_lo, s7, v9, vcc_lo
	global_load_b32 v8, v[8:9], off
	v_add_co_u32 v9, vcc_lo, v6, 1
	v_add_co_ci_u32_e32 v10, vcc_lo, 0, v7, vcc_lo
	s_waitcnt vmcnt(0) lgkmcnt(0)
	v_cmp_lt_u32_e32 vcc_lo, v8, v5
	v_dual_cndmask_b32 v4, v7, v4 :: v_dual_cndmask_b32 v3, v6, v3
	s_delay_alu instid0(VALU_DEP_3) | instskip(NEXT) | instid1(VALU_DEP_1)
	v_dual_cndmask_b32 v2, v2, v10 :: v_dual_cndmask_b32 v1, v1, v9
	v_cmp_ge_u64_e32 vcc_lo, v[1:2], v[3:4]
	s_or_b32 s12, vcc_lo, s12
	s_delay_alu instid0(SALU_CYCLE_1)
	s_and_not1_b32 exec_lo, exec_lo, s12
	s_cbranch_execnz .LBB463_3
; %bb.4:
	s_or_b32 exec_lo, exec_lo, s12
.LBB463_5:
	s_mov_b32 s12, 0
	s_mov_b32 s14, 0
	s_mov_b32 s13, exec_lo
	v_cmpx_ne_u64_e64 s[8:9], v[1:2]
	s_cbranch_execz .LBB463_7
; %bb.6:
	v_lshlrev_b64 v[1:2], 2, v[1:2]
	s_delay_alu instid0(VALU_DEP_1) | instskip(NEXT) | instid1(VALU_DEP_2)
	v_add_co_u32 v1, vcc_lo, s6, v1
	v_add_co_ci_u32_e32 v2, vcc_lo, s7, v2, vcc_lo
	global_load_b32 v1, v[1:2], off
	s_waitcnt vmcnt(0) lgkmcnt(0)
	v_cmp_le_u32_e32 vcc_lo, v1, v5
	s_and_b32 s14, vcc_lo, exec_lo
.LBB463_7:
	s_or_b32 exec_lo, exec_lo, s13
	s_add_u32 s13, s4, s2
	v_cndmask_b32_e64 v3, 0, 1, s14
	s_addc_u32 s14, s5, 0
	v_add_co_u32 v1, s13, s13, v0
	s_delay_alu instid0(VALU_DEP_1)
	v_add_co_ci_u32_e64 v2, null, s14, 0, s13
	flat_store_b8 v[1:2], v3
.LBB463_8:
	s_and_b32 vcc_lo, exec_lo, s12
	s_cbranch_vccz .LBB463_13
; %bb.9:
	s_load_b32 s0, s[0:1], 0x10
                                        ; implicit-def: $vgpr5
	s_waitcnt lgkmcnt(0)
	s_sub_i32 s0, s0, s2
	s_delay_alu instid0(SALU_CYCLE_1)
	v_cmp_gt_u32_e32 vcc_lo, s0, v0
	s_and_saveexec_b32 s0, vcc_lo
	s_cbranch_execnz .LBB463_14
; %bb.10:
	s_or_b32 exec_lo, exec_lo, s0
                                        ; implicit-def: $vgpr1
	s_and_saveexec_b32 s1, vcc_lo
	s_cbranch_execnz .LBB463_15
.LBB463_11:
	s_or_b32 exec_lo, exec_lo, s1
	s_and_saveexec_b32 s0, vcc_lo
	s_cbranch_execz .LBB463_13
.LBB463_12:
	s_add_u32 s0, s4, s2
	s_addc_u32 s1, s5, 0
	v_add_co_u32 v2, s0, s0, v0
	s_delay_alu instid0(VALU_DEP_1)
	v_add_co_ci_u32_e64 v3, null, s1, 0, s0
	flat_store_b8 v[2:3], v1
.LBB463_13:
	s_endpgm
.LBB463_14:
	v_lshlrev_b32_e32 v1, 2, v0
	s_lshl_b64 s[12:13], s[2:3], 2
	s_delay_alu instid0(SALU_CYCLE_1) | instskip(SKIP_1) | instid1(VALU_DEP_1)
	s_add_u32 s1, s10, s12
	s_addc_u32 s3, s11, s13
	v_add_co_u32 v1, s1, s1, v1
	s_delay_alu instid0(VALU_DEP_1)
	v_add_co_ci_u32_e64 v2, null, s3, 0, s1
	s_waitcnt vmcnt(0)
	flat_load_b32 v5, v[1:2]
	s_or_b32 exec_lo, exec_lo, s0
                                        ; implicit-def: $vgpr1
	s_and_saveexec_b32 s1, vcc_lo
	s_cbranch_execz .LBB463_11
.LBB463_15:
	v_mov_b32_e32 v1, 0
	v_mov_b32_e32 v2, 0
	s_cmp_eq_u64 s[8:9], 0
	s_cbranch_scc1 .LBB463_19
; %bb.16:
	v_mov_b32_e32 v1, 0
	v_dual_mov_b32 v2, 0 :: v_dual_mov_b32 v3, s8
	v_mov_b32_e32 v4, s9
	s_mov_b32 s3, 0
	s_set_inst_prefetch_distance 0x1
	.p2align	6
.LBB463_17:                             ; =>This Inner Loop Header: Depth=1
	s_delay_alu instid0(VALU_DEP_2) | instskip(NEXT) | instid1(VALU_DEP_1)
	v_sub_co_u32 v6, s0, v3, v1
	v_sub_co_ci_u32_e64 v7, s0, v4, v2, s0
	s_delay_alu instid0(VALU_DEP_1) | instskip(SKIP_1) | instid1(VALU_DEP_2)
	v_lshrrev_b64 v[8:9], 1, v[6:7]
	v_lshrrev_b64 v[6:7], 6, v[6:7]
	v_add_co_u32 v8, s0, v8, v1
	s_delay_alu instid0(VALU_DEP_1) | instskip(NEXT) | instid1(VALU_DEP_2)
	v_add_co_ci_u32_e64 v9, s0, v9, v2, s0
	v_add_co_u32 v6, s0, v8, v6
	s_delay_alu instid0(VALU_DEP_1) | instskip(NEXT) | instid1(VALU_DEP_1)
	v_add_co_ci_u32_e64 v7, s0, v9, v7, s0
	v_lshlrev_b64 v[8:9], 2, v[6:7]
	s_delay_alu instid0(VALU_DEP_1) | instskip(NEXT) | instid1(VALU_DEP_1)
	v_add_co_u32 v8, s0, s6, v8
	v_add_co_ci_u32_e64 v9, s0, s7, v9, s0
	global_load_b32 v8, v[8:9], off
	v_add_co_u32 v9, s0, v6, 1
	s_delay_alu instid0(VALU_DEP_1) | instskip(SKIP_2) | instid1(VALU_DEP_1)
	v_add_co_ci_u32_e64 v10, s0, 0, v7, s0
	s_waitcnt vmcnt(0) lgkmcnt(0)
	v_cmp_lt_u32_e64 s0, v8, v5
	v_cndmask_b32_e64 v4, v7, v4, s0
	v_cndmask_b32_e64 v3, v6, v3, s0
	;; [unrolled: 1-line block ×4, first 2 shown]
	s_delay_alu instid0(VALU_DEP_1) | instskip(NEXT) | instid1(VALU_DEP_1)
	v_cmp_ge_u64_e64 s0, v[1:2], v[3:4]
	s_or_b32 s3, s0, s3
	s_delay_alu instid0(SALU_CYCLE_1)
	s_and_not1_b32 exec_lo, exec_lo, s3
	s_cbranch_execnz .LBB463_17
; %bb.18:
	s_set_inst_prefetch_distance 0x2
	s_or_b32 exec_lo, exec_lo, s3
.LBB463_19:
	s_delay_alu instid0(VALU_DEP_1) | instskip(SKIP_1) | instid1(VALU_DEP_1)
	v_cmp_ne_u64_e64 s0, s[8:9], v[1:2]
	s_mov_b32 s8, 0
	s_and_saveexec_b32 s3, s0
	s_cbranch_execz .LBB463_21
; %bb.20:
	v_lshlrev_b64 v[1:2], 2, v[1:2]
	s_delay_alu instid0(VALU_DEP_1) | instskip(NEXT) | instid1(VALU_DEP_1)
	v_add_co_u32 v1, s0, s6, v1
	v_add_co_ci_u32_e64 v2, s0, s7, v2, s0
	global_load_b32 v1, v[1:2], off
	s_waitcnt vmcnt(0) lgkmcnt(0)
	v_cmp_le_u32_e64 s0, v1, v5
	s_delay_alu instid0(VALU_DEP_1)
	s_and_b32 s8, s0, exec_lo
.LBB463_21:
	s_or_b32 exec_lo, exec_lo, s3
	v_cndmask_b32_e64 v1, 0, 1, s8
	s_or_b32 exec_lo, exec_lo, s1
	s_and_saveexec_b32 s0, vcc_lo
	s_cbranch_execnz .LBB463_12
	s_branch .LBB463_13
	.section	.rodata,"a",@progbits
	.p2align	6, 0x0
	.amdhsa_kernel _ZN7rocprim17ROCPRIM_400000_NS6detail17trampoline_kernelINS0_14default_configENS1_29binary_search_config_selectorIjbEEZNS1_14transform_implILb0ES3_S5_N6thrust23THRUST_200600_302600_NS6detail15normal_iteratorINS8_10device_ptrIjEEEENSA_INSB_IbEEEEZNS1_13binary_searchIS3_S5_SD_SD_SF_NS1_16binary_search_opENS9_16wrapped_functionINS0_4lessIvEEbEEEE10hipError_tPvRmT1_T2_T3_mmT4_T5_P12ihipStream_tbEUlRKjE_EESM_SQ_SR_mSS_SV_bEUlT_E_NS1_11comp_targetILNS1_3genE9ELNS1_11target_archE1100ELNS1_3gpuE3ELNS1_3repE0EEENS1_30default_config_static_selectorELNS0_4arch9wavefront6targetE0EEEvSP_
		.amdhsa_group_segment_fixed_size 0
		.amdhsa_private_segment_fixed_size 0
		.amdhsa_kernarg_size 312
		.amdhsa_user_sgpr_count 15
		.amdhsa_user_sgpr_dispatch_ptr 0
		.amdhsa_user_sgpr_queue_ptr 0
		.amdhsa_user_sgpr_kernarg_segment_ptr 1
		.amdhsa_user_sgpr_dispatch_id 0
		.amdhsa_user_sgpr_private_segment_size 0
		.amdhsa_wavefront_size32 1
		.amdhsa_uses_dynamic_stack 0
		.amdhsa_enable_private_segment 0
		.amdhsa_system_sgpr_workgroup_id_x 1
		.amdhsa_system_sgpr_workgroup_id_y 0
		.amdhsa_system_sgpr_workgroup_id_z 0
		.amdhsa_system_sgpr_workgroup_info 0
		.amdhsa_system_vgpr_workitem_id 0
		.amdhsa_next_free_vgpr 11
		.amdhsa_next_free_sgpr 20
		.amdhsa_reserve_vcc 1
		.amdhsa_float_round_mode_32 0
		.amdhsa_float_round_mode_16_64 0
		.amdhsa_float_denorm_mode_32 3
		.amdhsa_float_denorm_mode_16_64 3
		.amdhsa_dx10_clamp 1
		.amdhsa_ieee_mode 1
		.amdhsa_fp16_overflow 0
		.amdhsa_workgroup_processor_mode 1
		.amdhsa_memory_ordered 1
		.amdhsa_forward_progress 0
		.amdhsa_shared_vgpr_count 0
		.amdhsa_exception_fp_ieee_invalid_op 0
		.amdhsa_exception_fp_denorm_src 0
		.amdhsa_exception_fp_ieee_div_zero 0
		.amdhsa_exception_fp_ieee_overflow 0
		.amdhsa_exception_fp_ieee_underflow 0
		.amdhsa_exception_fp_ieee_inexact 0
		.amdhsa_exception_int_div_zero 0
	.end_amdhsa_kernel
	.section	.text._ZN7rocprim17ROCPRIM_400000_NS6detail17trampoline_kernelINS0_14default_configENS1_29binary_search_config_selectorIjbEEZNS1_14transform_implILb0ES3_S5_N6thrust23THRUST_200600_302600_NS6detail15normal_iteratorINS8_10device_ptrIjEEEENSA_INSB_IbEEEEZNS1_13binary_searchIS3_S5_SD_SD_SF_NS1_16binary_search_opENS9_16wrapped_functionINS0_4lessIvEEbEEEE10hipError_tPvRmT1_T2_T3_mmT4_T5_P12ihipStream_tbEUlRKjE_EESM_SQ_SR_mSS_SV_bEUlT_E_NS1_11comp_targetILNS1_3genE9ELNS1_11target_archE1100ELNS1_3gpuE3ELNS1_3repE0EEENS1_30default_config_static_selectorELNS0_4arch9wavefront6targetE0EEEvSP_,"axG",@progbits,_ZN7rocprim17ROCPRIM_400000_NS6detail17trampoline_kernelINS0_14default_configENS1_29binary_search_config_selectorIjbEEZNS1_14transform_implILb0ES3_S5_N6thrust23THRUST_200600_302600_NS6detail15normal_iteratorINS8_10device_ptrIjEEEENSA_INSB_IbEEEEZNS1_13binary_searchIS3_S5_SD_SD_SF_NS1_16binary_search_opENS9_16wrapped_functionINS0_4lessIvEEbEEEE10hipError_tPvRmT1_T2_T3_mmT4_T5_P12ihipStream_tbEUlRKjE_EESM_SQ_SR_mSS_SV_bEUlT_E_NS1_11comp_targetILNS1_3genE9ELNS1_11target_archE1100ELNS1_3gpuE3ELNS1_3repE0EEENS1_30default_config_static_selectorELNS0_4arch9wavefront6targetE0EEEvSP_,comdat
.Lfunc_end463:
	.size	_ZN7rocprim17ROCPRIM_400000_NS6detail17trampoline_kernelINS0_14default_configENS1_29binary_search_config_selectorIjbEEZNS1_14transform_implILb0ES3_S5_N6thrust23THRUST_200600_302600_NS6detail15normal_iteratorINS8_10device_ptrIjEEEENSA_INSB_IbEEEEZNS1_13binary_searchIS3_S5_SD_SD_SF_NS1_16binary_search_opENS9_16wrapped_functionINS0_4lessIvEEbEEEE10hipError_tPvRmT1_T2_T3_mmT4_T5_P12ihipStream_tbEUlRKjE_EESM_SQ_SR_mSS_SV_bEUlT_E_NS1_11comp_targetILNS1_3genE9ELNS1_11target_archE1100ELNS1_3gpuE3ELNS1_3repE0EEENS1_30default_config_static_selectorELNS0_4arch9wavefront6targetE0EEEvSP_, .Lfunc_end463-_ZN7rocprim17ROCPRIM_400000_NS6detail17trampoline_kernelINS0_14default_configENS1_29binary_search_config_selectorIjbEEZNS1_14transform_implILb0ES3_S5_N6thrust23THRUST_200600_302600_NS6detail15normal_iteratorINS8_10device_ptrIjEEEENSA_INSB_IbEEEEZNS1_13binary_searchIS3_S5_SD_SD_SF_NS1_16binary_search_opENS9_16wrapped_functionINS0_4lessIvEEbEEEE10hipError_tPvRmT1_T2_T3_mmT4_T5_P12ihipStream_tbEUlRKjE_EESM_SQ_SR_mSS_SV_bEUlT_E_NS1_11comp_targetILNS1_3genE9ELNS1_11target_archE1100ELNS1_3gpuE3ELNS1_3repE0EEENS1_30default_config_static_selectorELNS0_4arch9wavefront6targetE0EEEvSP_
                                        ; -- End function
	.section	.AMDGPU.csdata,"",@progbits
; Kernel info:
; codeLenInByte = 984
; NumSgprs: 22
; NumVgprs: 11
; ScratchSize: 0
; MemoryBound: 0
; FloatMode: 240
; IeeeMode: 1
; LDSByteSize: 0 bytes/workgroup (compile time only)
; SGPRBlocks: 2
; VGPRBlocks: 1
; NumSGPRsForWavesPerEU: 22
; NumVGPRsForWavesPerEU: 11
; Occupancy: 16
; WaveLimiterHint : 0
; COMPUTE_PGM_RSRC2:SCRATCH_EN: 0
; COMPUTE_PGM_RSRC2:USER_SGPR: 15
; COMPUTE_PGM_RSRC2:TRAP_HANDLER: 0
; COMPUTE_PGM_RSRC2:TGID_X_EN: 1
; COMPUTE_PGM_RSRC2:TGID_Y_EN: 0
; COMPUTE_PGM_RSRC2:TGID_Z_EN: 0
; COMPUTE_PGM_RSRC2:TIDIG_COMP_CNT: 0
	.section	.text._ZN7rocprim17ROCPRIM_400000_NS6detail17trampoline_kernelINS0_14default_configENS1_29binary_search_config_selectorIjbEEZNS1_14transform_implILb0ES3_S5_N6thrust23THRUST_200600_302600_NS6detail15normal_iteratorINS8_10device_ptrIjEEEENSA_INSB_IbEEEEZNS1_13binary_searchIS3_S5_SD_SD_SF_NS1_16binary_search_opENS9_16wrapped_functionINS0_4lessIvEEbEEEE10hipError_tPvRmT1_T2_T3_mmT4_T5_P12ihipStream_tbEUlRKjE_EESM_SQ_SR_mSS_SV_bEUlT_E_NS1_11comp_targetILNS1_3genE8ELNS1_11target_archE1030ELNS1_3gpuE2ELNS1_3repE0EEENS1_30default_config_static_selectorELNS0_4arch9wavefront6targetE0EEEvSP_,"axG",@progbits,_ZN7rocprim17ROCPRIM_400000_NS6detail17trampoline_kernelINS0_14default_configENS1_29binary_search_config_selectorIjbEEZNS1_14transform_implILb0ES3_S5_N6thrust23THRUST_200600_302600_NS6detail15normal_iteratorINS8_10device_ptrIjEEEENSA_INSB_IbEEEEZNS1_13binary_searchIS3_S5_SD_SD_SF_NS1_16binary_search_opENS9_16wrapped_functionINS0_4lessIvEEbEEEE10hipError_tPvRmT1_T2_T3_mmT4_T5_P12ihipStream_tbEUlRKjE_EESM_SQ_SR_mSS_SV_bEUlT_E_NS1_11comp_targetILNS1_3genE8ELNS1_11target_archE1030ELNS1_3gpuE2ELNS1_3repE0EEENS1_30default_config_static_selectorELNS0_4arch9wavefront6targetE0EEEvSP_,comdat
	.protected	_ZN7rocprim17ROCPRIM_400000_NS6detail17trampoline_kernelINS0_14default_configENS1_29binary_search_config_selectorIjbEEZNS1_14transform_implILb0ES3_S5_N6thrust23THRUST_200600_302600_NS6detail15normal_iteratorINS8_10device_ptrIjEEEENSA_INSB_IbEEEEZNS1_13binary_searchIS3_S5_SD_SD_SF_NS1_16binary_search_opENS9_16wrapped_functionINS0_4lessIvEEbEEEE10hipError_tPvRmT1_T2_T3_mmT4_T5_P12ihipStream_tbEUlRKjE_EESM_SQ_SR_mSS_SV_bEUlT_E_NS1_11comp_targetILNS1_3genE8ELNS1_11target_archE1030ELNS1_3gpuE2ELNS1_3repE0EEENS1_30default_config_static_selectorELNS0_4arch9wavefront6targetE0EEEvSP_ ; -- Begin function _ZN7rocprim17ROCPRIM_400000_NS6detail17trampoline_kernelINS0_14default_configENS1_29binary_search_config_selectorIjbEEZNS1_14transform_implILb0ES3_S5_N6thrust23THRUST_200600_302600_NS6detail15normal_iteratorINS8_10device_ptrIjEEEENSA_INSB_IbEEEEZNS1_13binary_searchIS3_S5_SD_SD_SF_NS1_16binary_search_opENS9_16wrapped_functionINS0_4lessIvEEbEEEE10hipError_tPvRmT1_T2_T3_mmT4_T5_P12ihipStream_tbEUlRKjE_EESM_SQ_SR_mSS_SV_bEUlT_E_NS1_11comp_targetILNS1_3genE8ELNS1_11target_archE1030ELNS1_3gpuE2ELNS1_3repE0EEENS1_30default_config_static_selectorELNS0_4arch9wavefront6targetE0EEEvSP_
	.globl	_ZN7rocprim17ROCPRIM_400000_NS6detail17trampoline_kernelINS0_14default_configENS1_29binary_search_config_selectorIjbEEZNS1_14transform_implILb0ES3_S5_N6thrust23THRUST_200600_302600_NS6detail15normal_iteratorINS8_10device_ptrIjEEEENSA_INSB_IbEEEEZNS1_13binary_searchIS3_S5_SD_SD_SF_NS1_16binary_search_opENS9_16wrapped_functionINS0_4lessIvEEbEEEE10hipError_tPvRmT1_T2_T3_mmT4_T5_P12ihipStream_tbEUlRKjE_EESM_SQ_SR_mSS_SV_bEUlT_E_NS1_11comp_targetILNS1_3genE8ELNS1_11target_archE1030ELNS1_3gpuE2ELNS1_3repE0EEENS1_30default_config_static_selectorELNS0_4arch9wavefront6targetE0EEEvSP_
	.p2align	8
	.type	_ZN7rocprim17ROCPRIM_400000_NS6detail17trampoline_kernelINS0_14default_configENS1_29binary_search_config_selectorIjbEEZNS1_14transform_implILb0ES3_S5_N6thrust23THRUST_200600_302600_NS6detail15normal_iteratorINS8_10device_ptrIjEEEENSA_INSB_IbEEEEZNS1_13binary_searchIS3_S5_SD_SD_SF_NS1_16binary_search_opENS9_16wrapped_functionINS0_4lessIvEEbEEEE10hipError_tPvRmT1_T2_T3_mmT4_T5_P12ihipStream_tbEUlRKjE_EESM_SQ_SR_mSS_SV_bEUlT_E_NS1_11comp_targetILNS1_3genE8ELNS1_11target_archE1030ELNS1_3gpuE2ELNS1_3repE0EEENS1_30default_config_static_selectorELNS0_4arch9wavefront6targetE0EEEvSP_,@function
_ZN7rocprim17ROCPRIM_400000_NS6detail17trampoline_kernelINS0_14default_configENS1_29binary_search_config_selectorIjbEEZNS1_14transform_implILb0ES3_S5_N6thrust23THRUST_200600_302600_NS6detail15normal_iteratorINS8_10device_ptrIjEEEENSA_INSB_IbEEEEZNS1_13binary_searchIS3_S5_SD_SD_SF_NS1_16binary_search_opENS9_16wrapped_functionINS0_4lessIvEEbEEEE10hipError_tPvRmT1_T2_T3_mmT4_T5_P12ihipStream_tbEUlRKjE_EESM_SQ_SR_mSS_SV_bEUlT_E_NS1_11comp_targetILNS1_3genE8ELNS1_11target_archE1030ELNS1_3gpuE2ELNS1_3repE0EEENS1_30default_config_static_selectorELNS0_4arch9wavefront6targetE0EEEvSP_: ; @_ZN7rocprim17ROCPRIM_400000_NS6detail17trampoline_kernelINS0_14default_configENS1_29binary_search_config_selectorIjbEEZNS1_14transform_implILb0ES3_S5_N6thrust23THRUST_200600_302600_NS6detail15normal_iteratorINS8_10device_ptrIjEEEENSA_INSB_IbEEEEZNS1_13binary_searchIS3_S5_SD_SD_SF_NS1_16binary_search_opENS9_16wrapped_functionINS0_4lessIvEEbEEEE10hipError_tPvRmT1_T2_T3_mmT4_T5_P12ihipStream_tbEUlRKjE_EESM_SQ_SR_mSS_SV_bEUlT_E_NS1_11comp_targetILNS1_3genE8ELNS1_11target_archE1030ELNS1_3gpuE2ELNS1_3repE0EEENS1_30default_config_static_selectorELNS0_4arch9wavefront6targetE0EEEvSP_
; %bb.0:
	.section	.rodata,"a",@progbits
	.p2align	6, 0x0
	.amdhsa_kernel _ZN7rocprim17ROCPRIM_400000_NS6detail17trampoline_kernelINS0_14default_configENS1_29binary_search_config_selectorIjbEEZNS1_14transform_implILb0ES3_S5_N6thrust23THRUST_200600_302600_NS6detail15normal_iteratorINS8_10device_ptrIjEEEENSA_INSB_IbEEEEZNS1_13binary_searchIS3_S5_SD_SD_SF_NS1_16binary_search_opENS9_16wrapped_functionINS0_4lessIvEEbEEEE10hipError_tPvRmT1_T2_T3_mmT4_T5_P12ihipStream_tbEUlRKjE_EESM_SQ_SR_mSS_SV_bEUlT_E_NS1_11comp_targetILNS1_3genE8ELNS1_11target_archE1030ELNS1_3gpuE2ELNS1_3repE0EEENS1_30default_config_static_selectorELNS0_4arch9wavefront6targetE0EEEvSP_
		.amdhsa_group_segment_fixed_size 0
		.amdhsa_private_segment_fixed_size 0
		.amdhsa_kernarg_size 56
		.amdhsa_user_sgpr_count 15
		.amdhsa_user_sgpr_dispatch_ptr 0
		.amdhsa_user_sgpr_queue_ptr 0
		.amdhsa_user_sgpr_kernarg_segment_ptr 1
		.amdhsa_user_sgpr_dispatch_id 0
		.amdhsa_user_sgpr_private_segment_size 0
		.amdhsa_wavefront_size32 1
		.amdhsa_uses_dynamic_stack 0
		.amdhsa_enable_private_segment 0
		.amdhsa_system_sgpr_workgroup_id_x 1
		.amdhsa_system_sgpr_workgroup_id_y 0
		.amdhsa_system_sgpr_workgroup_id_z 0
		.amdhsa_system_sgpr_workgroup_info 0
		.amdhsa_system_vgpr_workitem_id 0
		.amdhsa_next_free_vgpr 1
		.amdhsa_next_free_sgpr 1
		.amdhsa_reserve_vcc 0
		.amdhsa_float_round_mode_32 0
		.amdhsa_float_round_mode_16_64 0
		.amdhsa_float_denorm_mode_32 3
		.amdhsa_float_denorm_mode_16_64 3
		.amdhsa_dx10_clamp 1
		.amdhsa_ieee_mode 1
		.amdhsa_fp16_overflow 0
		.amdhsa_workgroup_processor_mode 1
		.amdhsa_memory_ordered 1
		.amdhsa_forward_progress 0
		.amdhsa_shared_vgpr_count 0
		.amdhsa_exception_fp_ieee_invalid_op 0
		.amdhsa_exception_fp_denorm_src 0
		.amdhsa_exception_fp_ieee_div_zero 0
		.amdhsa_exception_fp_ieee_overflow 0
		.amdhsa_exception_fp_ieee_underflow 0
		.amdhsa_exception_fp_ieee_inexact 0
		.amdhsa_exception_int_div_zero 0
	.end_amdhsa_kernel
	.section	.text._ZN7rocprim17ROCPRIM_400000_NS6detail17trampoline_kernelINS0_14default_configENS1_29binary_search_config_selectorIjbEEZNS1_14transform_implILb0ES3_S5_N6thrust23THRUST_200600_302600_NS6detail15normal_iteratorINS8_10device_ptrIjEEEENSA_INSB_IbEEEEZNS1_13binary_searchIS3_S5_SD_SD_SF_NS1_16binary_search_opENS9_16wrapped_functionINS0_4lessIvEEbEEEE10hipError_tPvRmT1_T2_T3_mmT4_T5_P12ihipStream_tbEUlRKjE_EESM_SQ_SR_mSS_SV_bEUlT_E_NS1_11comp_targetILNS1_3genE8ELNS1_11target_archE1030ELNS1_3gpuE2ELNS1_3repE0EEENS1_30default_config_static_selectorELNS0_4arch9wavefront6targetE0EEEvSP_,"axG",@progbits,_ZN7rocprim17ROCPRIM_400000_NS6detail17trampoline_kernelINS0_14default_configENS1_29binary_search_config_selectorIjbEEZNS1_14transform_implILb0ES3_S5_N6thrust23THRUST_200600_302600_NS6detail15normal_iteratorINS8_10device_ptrIjEEEENSA_INSB_IbEEEEZNS1_13binary_searchIS3_S5_SD_SD_SF_NS1_16binary_search_opENS9_16wrapped_functionINS0_4lessIvEEbEEEE10hipError_tPvRmT1_T2_T3_mmT4_T5_P12ihipStream_tbEUlRKjE_EESM_SQ_SR_mSS_SV_bEUlT_E_NS1_11comp_targetILNS1_3genE8ELNS1_11target_archE1030ELNS1_3gpuE2ELNS1_3repE0EEENS1_30default_config_static_selectorELNS0_4arch9wavefront6targetE0EEEvSP_,comdat
.Lfunc_end464:
	.size	_ZN7rocprim17ROCPRIM_400000_NS6detail17trampoline_kernelINS0_14default_configENS1_29binary_search_config_selectorIjbEEZNS1_14transform_implILb0ES3_S5_N6thrust23THRUST_200600_302600_NS6detail15normal_iteratorINS8_10device_ptrIjEEEENSA_INSB_IbEEEEZNS1_13binary_searchIS3_S5_SD_SD_SF_NS1_16binary_search_opENS9_16wrapped_functionINS0_4lessIvEEbEEEE10hipError_tPvRmT1_T2_T3_mmT4_T5_P12ihipStream_tbEUlRKjE_EESM_SQ_SR_mSS_SV_bEUlT_E_NS1_11comp_targetILNS1_3genE8ELNS1_11target_archE1030ELNS1_3gpuE2ELNS1_3repE0EEENS1_30default_config_static_selectorELNS0_4arch9wavefront6targetE0EEEvSP_, .Lfunc_end464-_ZN7rocprim17ROCPRIM_400000_NS6detail17trampoline_kernelINS0_14default_configENS1_29binary_search_config_selectorIjbEEZNS1_14transform_implILb0ES3_S5_N6thrust23THRUST_200600_302600_NS6detail15normal_iteratorINS8_10device_ptrIjEEEENSA_INSB_IbEEEEZNS1_13binary_searchIS3_S5_SD_SD_SF_NS1_16binary_search_opENS9_16wrapped_functionINS0_4lessIvEEbEEEE10hipError_tPvRmT1_T2_T3_mmT4_T5_P12ihipStream_tbEUlRKjE_EESM_SQ_SR_mSS_SV_bEUlT_E_NS1_11comp_targetILNS1_3genE8ELNS1_11target_archE1030ELNS1_3gpuE2ELNS1_3repE0EEENS1_30default_config_static_selectorELNS0_4arch9wavefront6targetE0EEEvSP_
                                        ; -- End function
	.section	.AMDGPU.csdata,"",@progbits
; Kernel info:
; codeLenInByte = 0
; NumSgprs: 0
; NumVgprs: 0
; ScratchSize: 0
; MemoryBound: 0
; FloatMode: 240
; IeeeMode: 1
; LDSByteSize: 0 bytes/workgroup (compile time only)
; SGPRBlocks: 0
; VGPRBlocks: 0
; NumSGPRsForWavesPerEU: 1
; NumVGPRsForWavesPerEU: 1
; Occupancy: 16
; WaveLimiterHint : 0
; COMPUTE_PGM_RSRC2:SCRATCH_EN: 0
; COMPUTE_PGM_RSRC2:USER_SGPR: 15
; COMPUTE_PGM_RSRC2:TRAP_HANDLER: 0
; COMPUTE_PGM_RSRC2:TGID_X_EN: 1
; COMPUTE_PGM_RSRC2:TGID_Y_EN: 0
; COMPUTE_PGM_RSRC2:TGID_Z_EN: 0
; COMPUTE_PGM_RSRC2:TIDIG_COMP_CNT: 0
	.section	.text._ZN7rocprim17ROCPRIM_400000_NS6detail17trampoline_kernelINS0_14default_configENS1_29binary_search_config_selectorIjiEEZNS1_14transform_implILb0ES3_S5_N6thrust23THRUST_200600_302600_NS6detail15normal_iteratorINS8_10device_ptrIjEEEENSA_INSB_IiEEEEZNS1_13binary_searchIS3_S5_SD_SD_SF_NS1_16binary_search_opENS9_16wrapped_functionINS0_4lessIvEEbEEEE10hipError_tPvRmT1_T2_T3_mmT4_T5_P12ihipStream_tbEUlRKjE_EESM_SQ_SR_mSS_SV_bEUlT_E_NS1_11comp_targetILNS1_3genE0ELNS1_11target_archE4294967295ELNS1_3gpuE0ELNS1_3repE0EEENS1_30default_config_static_selectorELNS0_4arch9wavefront6targetE0EEEvSP_,"axG",@progbits,_ZN7rocprim17ROCPRIM_400000_NS6detail17trampoline_kernelINS0_14default_configENS1_29binary_search_config_selectorIjiEEZNS1_14transform_implILb0ES3_S5_N6thrust23THRUST_200600_302600_NS6detail15normal_iteratorINS8_10device_ptrIjEEEENSA_INSB_IiEEEEZNS1_13binary_searchIS3_S5_SD_SD_SF_NS1_16binary_search_opENS9_16wrapped_functionINS0_4lessIvEEbEEEE10hipError_tPvRmT1_T2_T3_mmT4_T5_P12ihipStream_tbEUlRKjE_EESM_SQ_SR_mSS_SV_bEUlT_E_NS1_11comp_targetILNS1_3genE0ELNS1_11target_archE4294967295ELNS1_3gpuE0ELNS1_3repE0EEENS1_30default_config_static_selectorELNS0_4arch9wavefront6targetE0EEEvSP_,comdat
	.protected	_ZN7rocprim17ROCPRIM_400000_NS6detail17trampoline_kernelINS0_14default_configENS1_29binary_search_config_selectorIjiEEZNS1_14transform_implILb0ES3_S5_N6thrust23THRUST_200600_302600_NS6detail15normal_iteratorINS8_10device_ptrIjEEEENSA_INSB_IiEEEEZNS1_13binary_searchIS3_S5_SD_SD_SF_NS1_16binary_search_opENS9_16wrapped_functionINS0_4lessIvEEbEEEE10hipError_tPvRmT1_T2_T3_mmT4_T5_P12ihipStream_tbEUlRKjE_EESM_SQ_SR_mSS_SV_bEUlT_E_NS1_11comp_targetILNS1_3genE0ELNS1_11target_archE4294967295ELNS1_3gpuE0ELNS1_3repE0EEENS1_30default_config_static_selectorELNS0_4arch9wavefront6targetE0EEEvSP_ ; -- Begin function _ZN7rocprim17ROCPRIM_400000_NS6detail17trampoline_kernelINS0_14default_configENS1_29binary_search_config_selectorIjiEEZNS1_14transform_implILb0ES3_S5_N6thrust23THRUST_200600_302600_NS6detail15normal_iteratorINS8_10device_ptrIjEEEENSA_INSB_IiEEEEZNS1_13binary_searchIS3_S5_SD_SD_SF_NS1_16binary_search_opENS9_16wrapped_functionINS0_4lessIvEEbEEEE10hipError_tPvRmT1_T2_T3_mmT4_T5_P12ihipStream_tbEUlRKjE_EESM_SQ_SR_mSS_SV_bEUlT_E_NS1_11comp_targetILNS1_3genE0ELNS1_11target_archE4294967295ELNS1_3gpuE0ELNS1_3repE0EEENS1_30default_config_static_selectorELNS0_4arch9wavefront6targetE0EEEvSP_
	.globl	_ZN7rocprim17ROCPRIM_400000_NS6detail17trampoline_kernelINS0_14default_configENS1_29binary_search_config_selectorIjiEEZNS1_14transform_implILb0ES3_S5_N6thrust23THRUST_200600_302600_NS6detail15normal_iteratorINS8_10device_ptrIjEEEENSA_INSB_IiEEEEZNS1_13binary_searchIS3_S5_SD_SD_SF_NS1_16binary_search_opENS9_16wrapped_functionINS0_4lessIvEEbEEEE10hipError_tPvRmT1_T2_T3_mmT4_T5_P12ihipStream_tbEUlRKjE_EESM_SQ_SR_mSS_SV_bEUlT_E_NS1_11comp_targetILNS1_3genE0ELNS1_11target_archE4294967295ELNS1_3gpuE0ELNS1_3repE0EEENS1_30default_config_static_selectorELNS0_4arch9wavefront6targetE0EEEvSP_
	.p2align	8
	.type	_ZN7rocprim17ROCPRIM_400000_NS6detail17trampoline_kernelINS0_14default_configENS1_29binary_search_config_selectorIjiEEZNS1_14transform_implILb0ES3_S5_N6thrust23THRUST_200600_302600_NS6detail15normal_iteratorINS8_10device_ptrIjEEEENSA_INSB_IiEEEEZNS1_13binary_searchIS3_S5_SD_SD_SF_NS1_16binary_search_opENS9_16wrapped_functionINS0_4lessIvEEbEEEE10hipError_tPvRmT1_T2_T3_mmT4_T5_P12ihipStream_tbEUlRKjE_EESM_SQ_SR_mSS_SV_bEUlT_E_NS1_11comp_targetILNS1_3genE0ELNS1_11target_archE4294967295ELNS1_3gpuE0ELNS1_3repE0EEENS1_30default_config_static_selectorELNS0_4arch9wavefront6targetE0EEEvSP_,@function
_ZN7rocprim17ROCPRIM_400000_NS6detail17trampoline_kernelINS0_14default_configENS1_29binary_search_config_selectorIjiEEZNS1_14transform_implILb0ES3_S5_N6thrust23THRUST_200600_302600_NS6detail15normal_iteratorINS8_10device_ptrIjEEEENSA_INSB_IiEEEEZNS1_13binary_searchIS3_S5_SD_SD_SF_NS1_16binary_search_opENS9_16wrapped_functionINS0_4lessIvEEbEEEE10hipError_tPvRmT1_T2_T3_mmT4_T5_P12ihipStream_tbEUlRKjE_EESM_SQ_SR_mSS_SV_bEUlT_E_NS1_11comp_targetILNS1_3genE0ELNS1_11target_archE4294967295ELNS1_3gpuE0ELNS1_3repE0EEENS1_30default_config_static_selectorELNS0_4arch9wavefront6targetE0EEEvSP_: ; @_ZN7rocprim17ROCPRIM_400000_NS6detail17trampoline_kernelINS0_14default_configENS1_29binary_search_config_selectorIjiEEZNS1_14transform_implILb0ES3_S5_N6thrust23THRUST_200600_302600_NS6detail15normal_iteratorINS8_10device_ptrIjEEEENSA_INSB_IiEEEEZNS1_13binary_searchIS3_S5_SD_SD_SF_NS1_16binary_search_opENS9_16wrapped_functionINS0_4lessIvEEbEEEE10hipError_tPvRmT1_T2_T3_mmT4_T5_P12ihipStream_tbEUlRKjE_EESM_SQ_SR_mSS_SV_bEUlT_E_NS1_11comp_targetILNS1_3genE0ELNS1_11target_archE4294967295ELNS1_3gpuE0ELNS1_3repE0EEENS1_30default_config_static_selectorELNS0_4arch9wavefront6targetE0EEEvSP_
; %bb.0:
	.section	.rodata,"a",@progbits
	.p2align	6, 0x0
	.amdhsa_kernel _ZN7rocprim17ROCPRIM_400000_NS6detail17trampoline_kernelINS0_14default_configENS1_29binary_search_config_selectorIjiEEZNS1_14transform_implILb0ES3_S5_N6thrust23THRUST_200600_302600_NS6detail15normal_iteratorINS8_10device_ptrIjEEEENSA_INSB_IiEEEEZNS1_13binary_searchIS3_S5_SD_SD_SF_NS1_16binary_search_opENS9_16wrapped_functionINS0_4lessIvEEbEEEE10hipError_tPvRmT1_T2_T3_mmT4_T5_P12ihipStream_tbEUlRKjE_EESM_SQ_SR_mSS_SV_bEUlT_E_NS1_11comp_targetILNS1_3genE0ELNS1_11target_archE4294967295ELNS1_3gpuE0ELNS1_3repE0EEENS1_30default_config_static_selectorELNS0_4arch9wavefront6targetE0EEEvSP_
		.amdhsa_group_segment_fixed_size 0
		.amdhsa_private_segment_fixed_size 0
		.amdhsa_kernarg_size 56
		.amdhsa_user_sgpr_count 15
		.amdhsa_user_sgpr_dispatch_ptr 0
		.amdhsa_user_sgpr_queue_ptr 0
		.amdhsa_user_sgpr_kernarg_segment_ptr 1
		.amdhsa_user_sgpr_dispatch_id 0
		.amdhsa_user_sgpr_private_segment_size 0
		.amdhsa_wavefront_size32 1
		.amdhsa_uses_dynamic_stack 0
		.amdhsa_enable_private_segment 0
		.amdhsa_system_sgpr_workgroup_id_x 1
		.amdhsa_system_sgpr_workgroup_id_y 0
		.amdhsa_system_sgpr_workgroup_id_z 0
		.amdhsa_system_sgpr_workgroup_info 0
		.amdhsa_system_vgpr_workitem_id 0
		.amdhsa_next_free_vgpr 1
		.amdhsa_next_free_sgpr 1
		.amdhsa_reserve_vcc 0
		.amdhsa_float_round_mode_32 0
		.amdhsa_float_round_mode_16_64 0
		.amdhsa_float_denorm_mode_32 3
		.amdhsa_float_denorm_mode_16_64 3
		.amdhsa_dx10_clamp 1
		.amdhsa_ieee_mode 1
		.amdhsa_fp16_overflow 0
		.amdhsa_workgroup_processor_mode 1
		.amdhsa_memory_ordered 1
		.amdhsa_forward_progress 0
		.amdhsa_shared_vgpr_count 0
		.amdhsa_exception_fp_ieee_invalid_op 0
		.amdhsa_exception_fp_denorm_src 0
		.amdhsa_exception_fp_ieee_div_zero 0
		.amdhsa_exception_fp_ieee_overflow 0
		.amdhsa_exception_fp_ieee_underflow 0
		.amdhsa_exception_fp_ieee_inexact 0
		.amdhsa_exception_int_div_zero 0
	.end_amdhsa_kernel
	.section	.text._ZN7rocprim17ROCPRIM_400000_NS6detail17trampoline_kernelINS0_14default_configENS1_29binary_search_config_selectorIjiEEZNS1_14transform_implILb0ES3_S5_N6thrust23THRUST_200600_302600_NS6detail15normal_iteratorINS8_10device_ptrIjEEEENSA_INSB_IiEEEEZNS1_13binary_searchIS3_S5_SD_SD_SF_NS1_16binary_search_opENS9_16wrapped_functionINS0_4lessIvEEbEEEE10hipError_tPvRmT1_T2_T3_mmT4_T5_P12ihipStream_tbEUlRKjE_EESM_SQ_SR_mSS_SV_bEUlT_E_NS1_11comp_targetILNS1_3genE0ELNS1_11target_archE4294967295ELNS1_3gpuE0ELNS1_3repE0EEENS1_30default_config_static_selectorELNS0_4arch9wavefront6targetE0EEEvSP_,"axG",@progbits,_ZN7rocprim17ROCPRIM_400000_NS6detail17trampoline_kernelINS0_14default_configENS1_29binary_search_config_selectorIjiEEZNS1_14transform_implILb0ES3_S5_N6thrust23THRUST_200600_302600_NS6detail15normal_iteratorINS8_10device_ptrIjEEEENSA_INSB_IiEEEEZNS1_13binary_searchIS3_S5_SD_SD_SF_NS1_16binary_search_opENS9_16wrapped_functionINS0_4lessIvEEbEEEE10hipError_tPvRmT1_T2_T3_mmT4_T5_P12ihipStream_tbEUlRKjE_EESM_SQ_SR_mSS_SV_bEUlT_E_NS1_11comp_targetILNS1_3genE0ELNS1_11target_archE4294967295ELNS1_3gpuE0ELNS1_3repE0EEENS1_30default_config_static_selectorELNS0_4arch9wavefront6targetE0EEEvSP_,comdat
.Lfunc_end465:
	.size	_ZN7rocprim17ROCPRIM_400000_NS6detail17trampoline_kernelINS0_14default_configENS1_29binary_search_config_selectorIjiEEZNS1_14transform_implILb0ES3_S5_N6thrust23THRUST_200600_302600_NS6detail15normal_iteratorINS8_10device_ptrIjEEEENSA_INSB_IiEEEEZNS1_13binary_searchIS3_S5_SD_SD_SF_NS1_16binary_search_opENS9_16wrapped_functionINS0_4lessIvEEbEEEE10hipError_tPvRmT1_T2_T3_mmT4_T5_P12ihipStream_tbEUlRKjE_EESM_SQ_SR_mSS_SV_bEUlT_E_NS1_11comp_targetILNS1_3genE0ELNS1_11target_archE4294967295ELNS1_3gpuE0ELNS1_3repE0EEENS1_30default_config_static_selectorELNS0_4arch9wavefront6targetE0EEEvSP_, .Lfunc_end465-_ZN7rocprim17ROCPRIM_400000_NS6detail17trampoline_kernelINS0_14default_configENS1_29binary_search_config_selectorIjiEEZNS1_14transform_implILb0ES3_S5_N6thrust23THRUST_200600_302600_NS6detail15normal_iteratorINS8_10device_ptrIjEEEENSA_INSB_IiEEEEZNS1_13binary_searchIS3_S5_SD_SD_SF_NS1_16binary_search_opENS9_16wrapped_functionINS0_4lessIvEEbEEEE10hipError_tPvRmT1_T2_T3_mmT4_T5_P12ihipStream_tbEUlRKjE_EESM_SQ_SR_mSS_SV_bEUlT_E_NS1_11comp_targetILNS1_3genE0ELNS1_11target_archE4294967295ELNS1_3gpuE0ELNS1_3repE0EEENS1_30default_config_static_selectorELNS0_4arch9wavefront6targetE0EEEvSP_
                                        ; -- End function
	.section	.AMDGPU.csdata,"",@progbits
; Kernel info:
; codeLenInByte = 0
; NumSgprs: 0
; NumVgprs: 0
; ScratchSize: 0
; MemoryBound: 0
; FloatMode: 240
; IeeeMode: 1
; LDSByteSize: 0 bytes/workgroup (compile time only)
; SGPRBlocks: 0
; VGPRBlocks: 0
; NumSGPRsForWavesPerEU: 1
; NumVGPRsForWavesPerEU: 1
; Occupancy: 16
; WaveLimiterHint : 0
; COMPUTE_PGM_RSRC2:SCRATCH_EN: 0
; COMPUTE_PGM_RSRC2:USER_SGPR: 15
; COMPUTE_PGM_RSRC2:TRAP_HANDLER: 0
; COMPUTE_PGM_RSRC2:TGID_X_EN: 1
; COMPUTE_PGM_RSRC2:TGID_Y_EN: 0
; COMPUTE_PGM_RSRC2:TGID_Z_EN: 0
; COMPUTE_PGM_RSRC2:TIDIG_COMP_CNT: 0
	.section	.text._ZN7rocprim17ROCPRIM_400000_NS6detail17trampoline_kernelINS0_14default_configENS1_29binary_search_config_selectorIjiEEZNS1_14transform_implILb0ES3_S5_N6thrust23THRUST_200600_302600_NS6detail15normal_iteratorINS8_10device_ptrIjEEEENSA_INSB_IiEEEEZNS1_13binary_searchIS3_S5_SD_SD_SF_NS1_16binary_search_opENS9_16wrapped_functionINS0_4lessIvEEbEEEE10hipError_tPvRmT1_T2_T3_mmT4_T5_P12ihipStream_tbEUlRKjE_EESM_SQ_SR_mSS_SV_bEUlT_E_NS1_11comp_targetILNS1_3genE5ELNS1_11target_archE942ELNS1_3gpuE9ELNS1_3repE0EEENS1_30default_config_static_selectorELNS0_4arch9wavefront6targetE0EEEvSP_,"axG",@progbits,_ZN7rocprim17ROCPRIM_400000_NS6detail17trampoline_kernelINS0_14default_configENS1_29binary_search_config_selectorIjiEEZNS1_14transform_implILb0ES3_S5_N6thrust23THRUST_200600_302600_NS6detail15normal_iteratorINS8_10device_ptrIjEEEENSA_INSB_IiEEEEZNS1_13binary_searchIS3_S5_SD_SD_SF_NS1_16binary_search_opENS9_16wrapped_functionINS0_4lessIvEEbEEEE10hipError_tPvRmT1_T2_T3_mmT4_T5_P12ihipStream_tbEUlRKjE_EESM_SQ_SR_mSS_SV_bEUlT_E_NS1_11comp_targetILNS1_3genE5ELNS1_11target_archE942ELNS1_3gpuE9ELNS1_3repE0EEENS1_30default_config_static_selectorELNS0_4arch9wavefront6targetE0EEEvSP_,comdat
	.protected	_ZN7rocprim17ROCPRIM_400000_NS6detail17trampoline_kernelINS0_14default_configENS1_29binary_search_config_selectorIjiEEZNS1_14transform_implILb0ES3_S5_N6thrust23THRUST_200600_302600_NS6detail15normal_iteratorINS8_10device_ptrIjEEEENSA_INSB_IiEEEEZNS1_13binary_searchIS3_S5_SD_SD_SF_NS1_16binary_search_opENS9_16wrapped_functionINS0_4lessIvEEbEEEE10hipError_tPvRmT1_T2_T3_mmT4_T5_P12ihipStream_tbEUlRKjE_EESM_SQ_SR_mSS_SV_bEUlT_E_NS1_11comp_targetILNS1_3genE5ELNS1_11target_archE942ELNS1_3gpuE9ELNS1_3repE0EEENS1_30default_config_static_selectorELNS0_4arch9wavefront6targetE0EEEvSP_ ; -- Begin function _ZN7rocprim17ROCPRIM_400000_NS6detail17trampoline_kernelINS0_14default_configENS1_29binary_search_config_selectorIjiEEZNS1_14transform_implILb0ES3_S5_N6thrust23THRUST_200600_302600_NS6detail15normal_iteratorINS8_10device_ptrIjEEEENSA_INSB_IiEEEEZNS1_13binary_searchIS3_S5_SD_SD_SF_NS1_16binary_search_opENS9_16wrapped_functionINS0_4lessIvEEbEEEE10hipError_tPvRmT1_T2_T3_mmT4_T5_P12ihipStream_tbEUlRKjE_EESM_SQ_SR_mSS_SV_bEUlT_E_NS1_11comp_targetILNS1_3genE5ELNS1_11target_archE942ELNS1_3gpuE9ELNS1_3repE0EEENS1_30default_config_static_selectorELNS0_4arch9wavefront6targetE0EEEvSP_
	.globl	_ZN7rocprim17ROCPRIM_400000_NS6detail17trampoline_kernelINS0_14default_configENS1_29binary_search_config_selectorIjiEEZNS1_14transform_implILb0ES3_S5_N6thrust23THRUST_200600_302600_NS6detail15normal_iteratorINS8_10device_ptrIjEEEENSA_INSB_IiEEEEZNS1_13binary_searchIS3_S5_SD_SD_SF_NS1_16binary_search_opENS9_16wrapped_functionINS0_4lessIvEEbEEEE10hipError_tPvRmT1_T2_T3_mmT4_T5_P12ihipStream_tbEUlRKjE_EESM_SQ_SR_mSS_SV_bEUlT_E_NS1_11comp_targetILNS1_3genE5ELNS1_11target_archE942ELNS1_3gpuE9ELNS1_3repE0EEENS1_30default_config_static_selectorELNS0_4arch9wavefront6targetE0EEEvSP_
	.p2align	8
	.type	_ZN7rocprim17ROCPRIM_400000_NS6detail17trampoline_kernelINS0_14default_configENS1_29binary_search_config_selectorIjiEEZNS1_14transform_implILb0ES3_S5_N6thrust23THRUST_200600_302600_NS6detail15normal_iteratorINS8_10device_ptrIjEEEENSA_INSB_IiEEEEZNS1_13binary_searchIS3_S5_SD_SD_SF_NS1_16binary_search_opENS9_16wrapped_functionINS0_4lessIvEEbEEEE10hipError_tPvRmT1_T2_T3_mmT4_T5_P12ihipStream_tbEUlRKjE_EESM_SQ_SR_mSS_SV_bEUlT_E_NS1_11comp_targetILNS1_3genE5ELNS1_11target_archE942ELNS1_3gpuE9ELNS1_3repE0EEENS1_30default_config_static_selectorELNS0_4arch9wavefront6targetE0EEEvSP_,@function
_ZN7rocprim17ROCPRIM_400000_NS6detail17trampoline_kernelINS0_14default_configENS1_29binary_search_config_selectorIjiEEZNS1_14transform_implILb0ES3_S5_N6thrust23THRUST_200600_302600_NS6detail15normal_iteratorINS8_10device_ptrIjEEEENSA_INSB_IiEEEEZNS1_13binary_searchIS3_S5_SD_SD_SF_NS1_16binary_search_opENS9_16wrapped_functionINS0_4lessIvEEbEEEE10hipError_tPvRmT1_T2_T3_mmT4_T5_P12ihipStream_tbEUlRKjE_EESM_SQ_SR_mSS_SV_bEUlT_E_NS1_11comp_targetILNS1_3genE5ELNS1_11target_archE942ELNS1_3gpuE9ELNS1_3repE0EEENS1_30default_config_static_selectorELNS0_4arch9wavefront6targetE0EEEvSP_: ; @_ZN7rocprim17ROCPRIM_400000_NS6detail17trampoline_kernelINS0_14default_configENS1_29binary_search_config_selectorIjiEEZNS1_14transform_implILb0ES3_S5_N6thrust23THRUST_200600_302600_NS6detail15normal_iteratorINS8_10device_ptrIjEEEENSA_INSB_IiEEEEZNS1_13binary_searchIS3_S5_SD_SD_SF_NS1_16binary_search_opENS9_16wrapped_functionINS0_4lessIvEEbEEEE10hipError_tPvRmT1_T2_T3_mmT4_T5_P12ihipStream_tbEUlRKjE_EESM_SQ_SR_mSS_SV_bEUlT_E_NS1_11comp_targetILNS1_3genE5ELNS1_11target_archE942ELNS1_3gpuE9ELNS1_3repE0EEENS1_30default_config_static_selectorELNS0_4arch9wavefront6targetE0EEEvSP_
; %bb.0:
	.section	.rodata,"a",@progbits
	.p2align	6, 0x0
	.amdhsa_kernel _ZN7rocprim17ROCPRIM_400000_NS6detail17trampoline_kernelINS0_14default_configENS1_29binary_search_config_selectorIjiEEZNS1_14transform_implILb0ES3_S5_N6thrust23THRUST_200600_302600_NS6detail15normal_iteratorINS8_10device_ptrIjEEEENSA_INSB_IiEEEEZNS1_13binary_searchIS3_S5_SD_SD_SF_NS1_16binary_search_opENS9_16wrapped_functionINS0_4lessIvEEbEEEE10hipError_tPvRmT1_T2_T3_mmT4_T5_P12ihipStream_tbEUlRKjE_EESM_SQ_SR_mSS_SV_bEUlT_E_NS1_11comp_targetILNS1_3genE5ELNS1_11target_archE942ELNS1_3gpuE9ELNS1_3repE0EEENS1_30default_config_static_selectorELNS0_4arch9wavefront6targetE0EEEvSP_
		.amdhsa_group_segment_fixed_size 0
		.amdhsa_private_segment_fixed_size 0
		.amdhsa_kernarg_size 56
		.amdhsa_user_sgpr_count 15
		.amdhsa_user_sgpr_dispatch_ptr 0
		.amdhsa_user_sgpr_queue_ptr 0
		.amdhsa_user_sgpr_kernarg_segment_ptr 1
		.amdhsa_user_sgpr_dispatch_id 0
		.amdhsa_user_sgpr_private_segment_size 0
		.amdhsa_wavefront_size32 1
		.amdhsa_uses_dynamic_stack 0
		.amdhsa_enable_private_segment 0
		.amdhsa_system_sgpr_workgroup_id_x 1
		.amdhsa_system_sgpr_workgroup_id_y 0
		.amdhsa_system_sgpr_workgroup_id_z 0
		.amdhsa_system_sgpr_workgroup_info 0
		.amdhsa_system_vgpr_workitem_id 0
		.amdhsa_next_free_vgpr 1
		.amdhsa_next_free_sgpr 1
		.amdhsa_reserve_vcc 0
		.amdhsa_float_round_mode_32 0
		.amdhsa_float_round_mode_16_64 0
		.amdhsa_float_denorm_mode_32 3
		.amdhsa_float_denorm_mode_16_64 3
		.amdhsa_dx10_clamp 1
		.amdhsa_ieee_mode 1
		.amdhsa_fp16_overflow 0
		.amdhsa_workgroup_processor_mode 1
		.amdhsa_memory_ordered 1
		.amdhsa_forward_progress 0
		.amdhsa_shared_vgpr_count 0
		.amdhsa_exception_fp_ieee_invalid_op 0
		.amdhsa_exception_fp_denorm_src 0
		.amdhsa_exception_fp_ieee_div_zero 0
		.amdhsa_exception_fp_ieee_overflow 0
		.amdhsa_exception_fp_ieee_underflow 0
		.amdhsa_exception_fp_ieee_inexact 0
		.amdhsa_exception_int_div_zero 0
	.end_amdhsa_kernel
	.section	.text._ZN7rocprim17ROCPRIM_400000_NS6detail17trampoline_kernelINS0_14default_configENS1_29binary_search_config_selectorIjiEEZNS1_14transform_implILb0ES3_S5_N6thrust23THRUST_200600_302600_NS6detail15normal_iteratorINS8_10device_ptrIjEEEENSA_INSB_IiEEEEZNS1_13binary_searchIS3_S5_SD_SD_SF_NS1_16binary_search_opENS9_16wrapped_functionINS0_4lessIvEEbEEEE10hipError_tPvRmT1_T2_T3_mmT4_T5_P12ihipStream_tbEUlRKjE_EESM_SQ_SR_mSS_SV_bEUlT_E_NS1_11comp_targetILNS1_3genE5ELNS1_11target_archE942ELNS1_3gpuE9ELNS1_3repE0EEENS1_30default_config_static_selectorELNS0_4arch9wavefront6targetE0EEEvSP_,"axG",@progbits,_ZN7rocprim17ROCPRIM_400000_NS6detail17trampoline_kernelINS0_14default_configENS1_29binary_search_config_selectorIjiEEZNS1_14transform_implILb0ES3_S5_N6thrust23THRUST_200600_302600_NS6detail15normal_iteratorINS8_10device_ptrIjEEEENSA_INSB_IiEEEEZNS1_13binary_searchIS3_S5_SD_SD_SF_NS1_16binary_search_opENS9_16wrapped_functionINS0_4lessIvEEbEEEE10hipError_tPvRmT1_T2_T3_mmT4_T5_P12ihipStream_tbEUlRKjE_EESM_SQ_SR_mSS_SV_bEUlT_E_NS1_11comp_targetILNS1_3genE5ELNS1_11target_archE942ELNS1_3gpuE9ELNS1_3repE0EEENS1_30default_config_static_selectorELNS0_4arch9wavefront6targetE0EEEvSP_,comdat
.Lfunc_end466:
	.size	_ZN7rocprim17ROCPRIM_400000_NS6detail17trampoline_kernelINS0_14default_configENS1_29binary_search_config_selectorIjiEEZNS1_14transform_implILb0ES3_S5_N6thrust23THRUST_200600_302600_NS6detail15normal_iteratorINS8_10device_ptrIjEEEENSA_INSB_IiEEEEZNS1_13binary_searchIS3_S5_SD_SD_SF_NS1_16binary_search_opENS9_16wrapped_functionINS0_4lessIvEEbEEEE10hipError_tPvRmT1_T2_T3_mmT4_T5_P12ihipStream_tbEUlRKjE_EESM_SQ_SR_mSS_SV_bEUlT_E_NS1_11comp_targetILNS1_3genE5ELNS1_11target_archE942ELNS1_3gpuE9ELNS1_3repE0EEENS1_30default_config_static_selectorELNS0_4arch9wavefront6targetE0EEEvSP_, .Lfunc_end466-_ZN7rocprim17ROCPRIM_400000_NS6detail17trampoline_kernelINS0_14default_configENS1_29binary_search_config_selectorIjiEEZNS1_14transform_implILb0ES3_S5_N6thrust23THRUST_200600_302600_NS6detail15normal_iteratorINS8_10device_ptrIjEEEENSA_INSB_IiEEEEZNS1_13binary_searchIS3_S5_SD_SD_SF_NS1_16binary_search_opENS9_16wrapped_functionINS0_4lessIvEEbEEEE10hipError_tPvRmT1_T2_T3_mmT4_T5_P12ihipStream_tbEUlRKjE_EESM_SQ_SR_mSS_SV_bEUlT_E_NS1_11comp_targetILNS1_3genE5ELNS1_11target_archE942ELNS1_3gpuE9ELNS1_3repE0EEENS1_30default_config_static_selectorELNS0_4arch9wavefront6targetE0EEEvSP_
                                        ; -- End function
	.section	.AMDGPU.csdata,"",@progbits
; Kernel info:
; codeLenInByte = 0
; NumSgprs: 0
; NumVgprs: 0
; ScratchSize: 0
; MemoryBound: 0
; FloatMode: 240
; IeeeMode: 1
; LDSByteSize: 0 bytes/workgroup (compile time only)
; SGPRBlocks: 0
; VGPRBlocks: 0
; NumSGPRsForWavesPerEU: 1
; NumVGPRsForWavesPerEU: 1
; Occupancy: 16
; WaveLimiterHint : 0
; COMPUTE_PGM_RSRC2:SCRATCH_EN: 0
; COMPUTE_PGM_RSRC2:USER_SGPR: 15
; COMPUTE_PGM_RSRC2:TRAP_HANDLER: 0
; COMPUTE_PGM_RSRC2:TGID_X_EN: 1
; COMPUTE_PGM_RSRC2:TGID_Y_EN: 0
; COMPUTE_PGM_RSRC2:TGID_Z_EN: 0
; COMPUTE_PGM_RSRC2:TIDIG_COMP_CNT: 0
	.section	.text._ZN7rocprim17ROCPRIM_400000_NS6detail17trampoline_kernelINS0_14default_configENS1_29binary_search_config_selectorIjiEEZNS1_14transform_implILb0ES3_S5_N6thrust23THRUST_200600_302600_NS6detail15normal_iteratorINS8_10device_ptrIjEEEENSA_INSB_IiEEEEZNS1_13binary_searchIS3_S5_SD_SD_SF_NS1_16binary_search_opENS9_16wrapped_functionINS0_4lessIvEEbEEEE10hipError_tPvRmT1_T2_T3_mmT4_T5_P12ihipStream_tbEUlRKjE_EESM_SQ_SR_mSS_SV_bEUlT_E_NS1_11comp_targetILNS1_3genE4ELNS1_11target_archE910ELNS1_3gpuE8ELNS1_3repE0EEENS1_30default_config_static_selectorELNS0_4arch9wavefront6targetE0EEEvSP_,"axG",@progbits,_ZN7rocprim17ROCPRIM_400000_NS6detail17trampoline_kernelINS0_14default_configENS1_29binary_search_config_selectorIjiEEZNS1_14transform_implILb0ES3_S5_N6thrust23THRUST_200600_302600_NS6detail15normal_iteratorINS8_10device_ptrIjEEEENSA_INSB_IiEEEEZNS1_13binary_searchIS3_S5_SD_SD_SF_NS1_16binary_search_opENS9_16wrapped_functionINS0_4lessIvEEbEEEE10hipError_tPvRmT1_T2_T3_mmT4_T5_P12ihipStream_tbEUlRKjE_EESM_SQ_SR_mSS_SV_bEUlT_E_NS1_11comp_targetILNS1_3genE4ELNS1_11target_archE910ELNS1_3gpuE8ELNS1_3repE0EEENS1_30default_config_static_selectorELNS0_4arch9wavefront6targetE0EEEvSP_,comdat
	.protected	_ZN7rocprim17ROCPRIM_400000_NS6detail17trampoline_kernelINS0_14default_configENS1_29binary_search_config_selectorIjiEEZNS1_14transform_implILb0ES3_S5_N6thrust23THRUST_200600_302600_NS6detail15normal_iteratorINS8_10device_ptrIjEEEENSA_INSB_IiEEEEZNS1_13binary_searchIS3_S5_SD_SD_SF_NS1_16binary_search_opENS9_16wrapped_functionINS0_4lessIvEEbEEEE10hipError_tPvRmT1_T2_T3_mmT4_T5_P12ihipStream_tbEUlRKjE_EESM_SQ_SR_mSS_SV_bEUlT_E_NS1_11comp_targetILNS1_3genE4ELNS1_11target_archE910ELNS1_3gpuE8ELNS1_3repE0EEENS1_30default_config_static_selectorELNS0_4arch9wavefront6targetE0EEEvSP_ ; -- Begin function _ZN7rocprim17ROCPRIM_400000_NS6detail17trampoline_kernelINS0_14default_configENS1_29binary_search_config_selectorIjiEEZNS1_14transform_implILb0ES3_S5_N6thrust23THRUST_200600_302600_NS6detail15normal_iteratorINS8_10device_ptrIjEEEENSA_INSB_IiEEEEZNS1_13binary_searchIS3_S5_SD_SD_SF_NS1_16binary_search_opENS9_16wrapped_functionINS0_4lessIvEEbEEEE10hipError_tPvRmT1_T2_T3_mmT4_T5_P12ihipStream_tbEUlRKjE_EESM_SQ_SR_mSS_SV_bEUlT_E_NS1_11comp_targetILNS1_3genE4ELNS1_11target_archE910ELNS1_3gpuE8ELNS1_3repE0EEENS1_30default_config_static_selectorELNS0_4arch9wavefront6targetE0EEEvSP_
	.globl	_ZN7rocprim17ROCPRIM_400000_NS6detail17trampoline_kernelINS0_14default_configENS1_29binary_search_config_selectorIjiEEZNS1_14transform_implILb0ES3_S5_N6thrust23THRUST_200600_302600_NS6detail15normal_iteratorINS8_10device_ptrIjEEEENSA_INSB_IiEEEEZNS1_13binary_searchIS3_S5_SD_SD_SF_NS1_16binary_search_opENS9_16wrapped_functionINS0_4lessIvEEbEEEE10hipError_tPvRmT1_T2_T3_mmT4_T5_P12ihipStream_tbEUlRKjE_EESM_SQ_SR_mSS_SV_bEUlT_E_NS1_11comp_targetILNS1_3genE4ELNS1_11target_archE910ELNS1_3gpuE8ELNS1_3repE0EEENS1_30default_config_static_selectorELNS0_4arch9wavefront6targetE0EEEvSP_
	.p2align	8
	.type	_ZN7rocprim17ROCPRIM_400000_NS6detail17trampoline_kernelINS0_14default_configENS1_29binary_search_config_selectorIjiEEZNS1_14transform_implILb0ES3_S5_N6thrust23THRUST_200600_302600_NS6detail15normal_iteratorINS8_10device_ptrIjEEEENSA_INSB_IiEEEEZNS1_13binary_searchIS3_S5_SD_SD_SF_NS1_16binary_search_opENS9_16wrapped_functionINS0_4lessIvEEbEEEE10hipError_tPvRmT1_T2_T3_mmT4_T5_P12ihipStream_tbEUlRKjE_EESM_SQ_SR_mSS_SV_bEUlT_E_NS1_11comp_targetILNS1_3genE4ELNS1_11target_archE910ELNS1_3gpuE8ELNS1_3repE0EEENS1_30default_config_static_selectorELNS0_4arch9wavefront6targetE0EEEvSP_,@function
_ZN7rocprim17ROCPRIM_400000_NS6detail17trampoline_kernelINS0_14default_configENS1_29binary_search_config_selectorIjiEEZNS1_14transform_implILb0ES3_S5_N6thrust23THRUST_200600_302600_NS6detail15normal_iteratorINS8_10device_ptrIjEEEENSA_INSB_IiEEEEZNS1_13binary_searchIS3_S5_SD_SD_SF_NS1_16binary_search_opENS9_16wrapped_functionINS0_4lessIvEEbEEEE10hipError_tPvRmT1_T2_T3_mmT4_T5_P12ihipStream_tbEUlRKjE_EESM_SQ_SR_mSS_SV_bEUlT_E_NS1_11comp_targetILNS1_3genE4ELNS1_11target_archE910ELNS1_3gpuE8ELNS1_3repE0EEENS1_30default_config_static_selectorELNS0_4arch9wavefront6targetE0EEEvSP_: ; @_ZN7rocprim17ROCPRIM_400000_NS6detail17trampoline_kernelINS0_14default_configENS1_29binary_search_config_selectorIjiEEZNS1_14transform_implILb0ES3_S5_N6thrust23THRUST_200600_302600_NS6detail15normal_iteratorINS8_10device_ptrIjEEEENSA_INSB_IiEEEEZNS1_13binary_searchIS3_S5_SD_SD_SF_NS1_16binary_search_opENS9_16wrapped_functionINS0_4lessIvEEbEEEE10hipError_tPvRmT1_T2_T3_mmT4_T5_P12ihipStream_tbEUlRKjE_EESM_SQ_SR_mSS_SV_bEUlT_E_NS1_11comp_targetILNS1_3genE4ELNS1_11target_archE910ELNS1_3gpuE8ELNS1_3repE0EEENS1_30default_config_static_selectorELNS0_4arch9wavefront6targetE0EEEvSP_
; %bb.0:
	.section	.rodata,"a",@progbits
	.p2align	6, 0x0
	.amdhsa_kernel _ZN7rocprim17ROCPRIM_400000_NS6detail17trampoline_kernelINS0_14default_configENS1_29binary_search_config_selectorIjiEEZNS1_14transform_implILb0ES3_S5_N6thrust23THRUST_200600_302600_NS6detail15normal_iteratorINS8_10device_ptrIjEEEENSA_INSB_IiEEEEZNS1_13binary_searchIS3_S5_SD_SD_SF_NS1_16binary_search_opENS9_16wrapped_functionINS0_4lessIvEEbEEEE10hipError_tPvRmT1_T2_T3_mmT4_T5_P12ihipStream_tbEUlRKjE_EESM_SQ_SR_mSS_SV_bEUlT_E_NS1_11comp_targetILNS1_3genE4ELNS1_11target_archE910ELNS1_3gpuE8ELNS1_3repE0EEENS1_30default_config_static_selectorELNS0_4arch9wavefront6targetE0EEEvSP_
		.amdhsa_group_segment_fixed_size 0
		.amdhsa_private_segment_fixed_size 0
		.amdhsa_kernarg_size 56
		.amdhsa_user_sgpr_count 15
		.amdhsa_user_sgpr_dispatch_ptr 0
		.amdhsa_user_sgpr_queue_ptr 0
		.amdhsa_user_sgpr_kernarg_segment_ptr 1
		.amdhsa_user_sgpr_dispatch_id 0
		.amdhsa_user_sgpr_private_segment_size 0
		.amdhsa_wavefront_size32 1
		.amdhsa_uses_dynamic_stack 0
		.amdhsa_enable_private_segment 0
		.amdhsa_system_sgpr_workgroup_id_x 1
		.amdhsa_system_sgpr_workgroup_id_y 0
		.amdhsa_system_sgpr_workgroup_id_z 0
		.amdhsa_system_sgpr_workgroup_info 0
		.amdhsa_system_vgpr_workitem_id 0
		.amdhsa_next_free_vgpr 1
		.amdhsa_next_free_sgpr 1
		.amdhsa_reserve_vcc 0
		.amdhsa_float_round_mode_32 0
		.amdhsa_float_round_mode_16_64 0
		.amdhsa_float_denorm_mode_32 3
		.amdhsa_float_denorm_mode_16_64 3
		.amdhsa_dx10_clamp 1
		.amdhsa_ieee_mode 1
		.amdhsa_fp16_overflow 0
		.amdhsa_workgroup_processor_mode 1
		.amdhsa_memory_ordered 1
		.amdhsa_forward_progress 0
		.amdhsa_shared_vgpr_count 0
		.amdhsa_exception_fp_ieee_invalid_op 0
		.amdhsa_exception_fp_denorm_src 0
		.amdhsa_exception_fp_ieee_div_zero 0
		.amdhsa_exception_fp_ieee_overflow 0
		.amdhsa_exception_fp_ieee_underflow 0
		.amdhsa_exception_fp_ieee_inexact 0
		.amdhsa_exception_int_div_zero 0
	.end_amdhsa_kernel
	.section	.text._ZN7rocprim17ROCPRIM_400000_NS6detail17trampoline_kernelINS0_14default_configENS1_29binary_search_config_selectorIjiEEZNS1_14transform_implILb0ES3_S5_N6thrust23THRUST_200600_302600_NS6detail15normal_iteratorINS8_10device_ptrIjEEEENSA_INSB_IiEEEEZNS1_13binary_searchIS3_S5_SD_SD_SF_NS1_16binary_search_opENS9_16wrapped_functionINS0_4lessIvEEbEEEE10hipError_tPvRmT1_T2_T3_mmT4_T5_P12ihipStream_tbEUlRKjE_EESM_SQ_SR_mSS_SV_bEUlT_E_NS1_11comp_targetILNS1_3genE4ELNS1_11target_archE910ELNS1_3gpuE8ELNS1_3repE0EEENS1_30default_config_static_selectorELNS0_4arch9wavefront6targetE0EEEvSP_,"axG",@progbits,_ZN7rocprim17ROCPRIM_400000_NS6detail17trampoline_kernelINS0_14default_configENS1_29binary_search_config_selectorIjiEEZNS1_14transform_implILb0ES3_S5_N6thrust23THRUST_200600_302600_NS6detail15normal_iteratorINS8_10device_ptrIjEEEENSA_INSB_IiEEEEZNS1_13binary_searchIS3_S5_SD_SD_SF_NS1_16binary_search_opENS9_16wrapped_functionINS0_4lessIvEEbEEEE10hipError_tPvRmT1_T2_T3_mmT4_T5_P12ihipStream_tbEUlRKjE_EESM_SQ_SR_mSS_SV_bEUlT_E_NS1_11comp_targetILNS1_3genE4ELNS1_11target_archE910ELNS1_3gpuE8ELNS1_3repE0EEENS1_30default_config_static_selectorELNS0_4arch9wavefront6targetE0EEEvSP_,comdat
.Lfunc_end467:
	.size	_ZN7rocprim17ROCPRIM_400000_NS6detail17trampoline_kernelINS0_14default_configENS1_29binary_search_config_selectorIjiEEZNS1_14transform_implILb0ES3_S5_N6thrust23THRUST_200600_302600_NS6detail15normal_iteratorINS8_10device_ptrIjEEEENSA_INSB_IiEEEEZNS1_13binary_searchIS3_S5_SD_SD_SF_NS1_16binary_search_opENS9_16wrapped_functionINS0_4lessIvEEbEEEE10hipError_tPvRmT1_T2_T3_mmT4_T5_P12ihipStream_tbEUlRKjE_EESM_SQ_SR_mSS_SV_bEUlT_E_NS1_11comp_targetILNS1_3genE4ELNS1_11target_archE910ELNS1_3gpuE8ELNS1_3repE0EEENS1_30default_config_static_selectorELNS0_4arch9wavefront6targetE0EEEvSP_, .Lfunc_end467-_ZN7rocprim17ROCPRIM_400000_NS6detail17trampoline_kernelINS0_14default_configENS1_29binary_search_config_selectorIjiEEZNS1_14transform_implILb0ES3_S5_N6thrust23THRUST_200600_302600_NS6detail15normal_iteratorINS8_10device_ptrIjEEEENSA_INSB_IiEEEEZNS1_13binary_searchIS3_S5_SD_SD_SF_NS1_16binary_search_opENS9_16wrapped_functionINS0_4lessIvEEbEEEE10hipError_tPvRmT1_T2_T3_mmT4_T5_P12ihipStream_tbEUlRKjE_EESM_SQ_SR_mSS_SV_bEUlT_E_NS1_11comp_targetILNS1_3genE4ELNS1_11target_archE910ELNS1_3gpuE8ELNS1_3repE0EEENS1_30default_config_static_selectorELNS0_4arch9wavefront6targetE0EEEvSP_
                                        ; -- End function
	.section	.AMDGPU.csdata,"",@progbits
; Kernel info:
; codeLenInByte = 0
; NumSgprs: 0
; NumVgprs: 0
; ScratchSize: 0
; MemoryBound: 0
; FloatMode: 240
; IeeeMode: 1
; LDSByteSize: 0 bytes/workgroup (compile time only)
; SGPRBlocks: 0
; VGPRBlocks: 0
; NumSGPRsForWavesPerEU: 1
; NumVGPRsForWavesPerEU: 1
; Occupancy: 16
; WaveLimiterHint : 0
; COMPUTE_PGM_RSRC2:SCRATCH_EN: 0
; COMPUTE_PGM_RSRC2:USER_SGPR: 15
; COMPUTE_PGM_RSRC2:TRAP_HANDLER: 0
; COMPUTE_PGM_RSRC2:TGID_X_EN: 1
; COMPUTE_PGM_RSRC2:TGID_Y_EN: 0
; COMPUTE_PGM_RSRC2:TGID_Z_EN: 0
; COMPUTE_PGM_RSRC2:TIDIG_COMP_CNT: 0
	.section	.text._ZN7rocprim17ROCPRIM_400000_NS6detail17trampoline_kernelINS0_14default_configENS1_29binary_search_config_selectorIjiEEZNS1_14transform_implILb0ES3_S5_N6thrust23THRUST_200600_302600_NS6detail15normal_iteratorINS8_10device_ptrIjEEEENSA_INSB_IiEEEEZNS1_13binary_searchIS3_S5_SD_SD_SF_NS1_16binary_search_opENS9_16wrapped_functionINS0_4lessIvEEbEEEE10hipError_tPvRmT1_T2_T3_mmT4_T5_P12ihipStream_tbEUlRKjE_EESM_SQ_SR_mSS_SV_bEUlT_E_NS1_11comp_targetILNS1_3genE3ELNS1_11target_archE908ELNS1_3gpuE7ELNS1_3repE0EEENS1_30default_config_static_selectorELNS0_4arch9wavefront6targetE0EEEvSP_,"axG",@progbits,_ZN7rocprim17ROCPRIM_400000_NS6detail17trampoline_kernelINS0_14default_configENS1_29binary_search_config_selectorIjiEEZNS1_14transform_implILb0ES3_S5_N6thrust23THRUST_200600_302600_NS6detail15normal_iteratorINS8_10device_ptrIjEEEENSA_INSB_IiEEEEZNS1_13binary_searchIS3_S5_SD_SD_SF_NS1_16binary_search_opENS9_16wrapped_functionINS0_4lessIvEEbEEEE10hipError_tPvRmT1_T2_T3_mmT4_T5_P12ihipStream_tbEUlRKjE_EESM_SQ_SR_mSS_SV_bEUlT_E_NS1_11comp_targetILNS1_3genE3ELNS1_11target_archE908ELNS1_3gpuE7ELNS1_3repE0EEENS1_30default_config_static_selectorELNS0_4arch9wavefront6targetE0EEEvSP_,comdat
	.protected	_ZN7rocprim17ROCPRIM_400000_NS6detail17trampoline_kernelINS0_14default_configENS1_29binary_search_config_selectorIjiEEZNS1_14transform_implILb0ES3_S5_N6thrust23THRUST_200600_302600_NS6detail15normal_iteratorINS8_10device_ptrIjEEEENSA_INSB_IiEEEEZNS1_13binary_searchIS3_S5_SD_SD_SF_NS1_16binary_search_opENS9_16wrapped_functionINS0_4lessIvEEbEEEE10hipError_tPvRmT1_T2_T3_mmT4_T5_P12ihipStream_tbEUlRKjE_EESM_SQ_SR_mSS_SV_bEUlT_E_NS1_11comp_targetILNS1_3genE3ELNS1_11target_archE908ELNS1_3gpuE7ELNS1_3repE0EEENS1_30default_config_static_selectorELNS0_4arch9wavefront6targetE0EEEvSP_ ; -- Begin function _ZN7rocprim17ROCPRIM_400000_NS6detail17trampoline_kernelINS0_14default_configENS1_29binary_search_config_selectorIjiEEZNS1_14transform_implILb0ES3_S5_N6thrust23THRUST_200600_302600_NS6detail15normal_iteratorINS8_10device_ptrIjEEEENSA_INSB_IiEEEEZNS1_13binary_searchIS3_S5_SD_SD_SF_NS1_16binary_search_opENS9_16wrapped_functionINS0_4lessIvEEbEEEE10hipError_tPvRmT1_T2_T3_mmT4_T5_P12ihipStream_tbEUlRKjE_EESM_SQ_SR_mSS_SV_bEUlT_E_NS1_11comp_targetILNS1_3genE3ELNS1_11target_archE908ELNS1_3gpuE7ELNS1_3repE0EEENS1_30default_config_static_selectorELNS0_4arch9wavefront6targetE0EEEvSP_
	.globl	_ZN7rocprim17ROCPRIM_400000_NS6detail17trampoline_kernelINS0_14default_configENS1_29binary_search_config_selectorIjiEEZNS1_14transform_implILb0ES3_S5_N6thrust23THRUST_200600_302600_NS6detail15normal_iteratorINS8_10device_ptrIjEEEENSA_INSB_IiEEEEZNS1_13binary_searchIS3_S5_SD_SD_SF_NS1_16binary_search_opENS9_16wrapped_functionINS0_4lessIvEEbEEEE10hipError_tPvRmT1_T2_T3_mmT4_T5_P12ihipStream_tbEUlRKjE_EESM_SQ_SR_mSS_SV_bEUlT_E_NS1_11comp_targetILNS1_3genE3ELNS1_11target_archE908ELNS1_3gpuE7ELNS1_3repE0EEENS1_30default_config_static_selectorELNS0_4arch9wavefront6targetE0EEEvSP_
	.p2align	8
	.type	_ZN7rocprim17ROCPRIM_400000_NS6detail17trampoline_kernelINS0_14default_configENS1_29binary_search_config_selectorIjiEEZNS1_14transform_implILb0ES3_S5_N6thrust23THRUST_200600_302600_NS6detail15normal_iteratorINS8_10device_ptrIjEEEENSA_INSB_IiEEEEZNS1_13binary_searchIS3_S5_SD_SD_SF_NS1_16binary_search_opENS9_16wrapped_functionINS0_4lessIvEEbEEEE10hipError_tPvRmT1_T2_T3_mmT4_T5_P12ihipStream_tbEUlRKjE_EESM_SQ_SR_mSS_SV_bEUlT_E_NS1_11comp_targetILNS1_3genE3ELNS1_11target_archE908ELNS1_3gpuE7ELNS1_3repE0EEENS1_30default_config_static_selectorELNS0_4arch9wavefront6targetE0EEEvSP_,@function
_ZN7rocprim17ROCPRIM_400000_NS6detail17trampoline_kernelINS0_14default_configENS1_29binary_search_config_selectorIjiEEZNS1_14transform_implILb0ES3_S5_N6thrust23THRUST_200600_302600_NS6detail15normal_iteratorINS8_10device_ptrIjEEEENSA_INSB_IiEEEEZNS1_13binary_searchIS3_S5_SD_SD_SF_NS1_16binary_search_opENS9_16wrapped_functionINS0_4lessIvEEbEEEE10hipError_tPvRmT1_T2_T3_mmT4_T5_P12ihipStream_tbEUlRKjE_EESM_SQ_SR_mSS_SV_bEUlT_E_NS1_11comp_targetILNS1_3genE3ELNS1_11target_archE908ELNS1_3gpuE7ELNS1_3repE0EEENS1_30default_config_static_selectorELNS0_4arch9wavefront6targetE0EEEvSP_: ; @_ZN7rocprim17ROCPRIM_400000_NS6detail17trampoline_kernelINS0_14default_configENS1_29binary_search_config_selectorIjiEEZNS1_14transform_implILb0ES3_S5_N6thrust23THRUST_200600_302600_NS6detail15normal_iteratorINS8_10device_ptrIjEEEENSA_INSB_IiEEEEZNS1_13binary_searchIS3_S5_SD_SD_SF_NS1_16binary_search_opENS9_16wrapped_functionINS0_4lessIvEEbEEEE10hipError_tPvRmT1_T2_T3_mmT4_T5_P12ihipStream_tbEUlRKjE_EESM_SQ_SR_mSS_SV_bEUlT_E_NS1_11comp_targetILNS1_3genE3ELNS1_11target_archE908ELNS1_3gpuE7ELNS1_3repE0EEENS1_30default_config_static_selectorELNS0_4arch9wavefront6targetE0EEEvSP_
; %bb.0:
	.section	.rodata,"a",@progbits
	.p2align	6, 0x0
	.amdhsa_kernel _ZN7rocprim17ROCPRIM_400000_NS6detail17trampoline_kernelINS0_14default_configENS1_29binary_search_config_selectorIjiEEZNS1_14transform_implILb0ES3_S5_N6thrust23THRUST_200600_302600_NS6detail15normal_iteratorINS8_10device_ptrIjEEEENSA_INSB_IiEEEEZNS1_13binary_searchIS3_S5_SD_SD_SF_NS1_16binary_search_opENS9_16wrapped_functionINS0_4lessIvEEbEEEE10hipError_tPvRmT1_T2_T3_mmT4_T5_P12ihipStream_tbEUlRKjE_EESM_SQ_SR_mSS_SV_bEUlT_E_NS1_11comp_targetILNS1_3genE3ELNS1_11target_archE908ELNS1_3gpuE7ELNS1_3repE0EEENS1_30default_config_static_selectorELNS0_4arch9wavefront6targetE0EEEvSP_
		.amdhsa_group_segment_fixed_size 0
		.amdhsa_private_segment_fixed_size 0
		.amdhsa_kernarg_size 56
		.amdhsa_user_sgpr_count 15
		.amdhsa_user_sgpr_dispatch_ptr 0
		.amdhsa_user_sgpr_queue_ptr 0
		.amdhsa_user_sgpr_kernarg_segment_ptr 1
		.amdhsa_user_sgpr_dispatch_id 0
		.amdhsa_user_sgpr_private_segment_size 0
		.amdhsa_wavefront_size32 1
		.amdhsa_uses_dynamic_stack 0
		.amdhsa_enable_private_segment 0
		.amdhsa_system_sgpr_workgroup_id_x 1
		.amdhsa_system_sgpr_workgroup_id_y 0
		.amdhsa_system_sgpr_workgroup_id_z 0
		.amdhsa_system_sgpr_workgroup_info 0
		.amdhsa_system_vgpr_workitem_id 0
		.amdhsa_next_free_vgpr 1
		.amdhsa_next_free_sgpr 1
		.amdhsa_reserve_vcc 0
		.amdhsa_float_round_mode_32 0
		.amdhsa_float_round_mode_16_64 0
		.amdhsa_float_denorm_mode_32 3
		.amdhsa_float_denorm_mode_16_64 3
		.amdhsa_dx10_clamp 1
		.amdhsa_ieee_mode 1
		.amdhsa_fp16_overflow 0
		.amdhsa_workgroup_processor_mode 1
		.amdhsa_memory_ordered 1
		.amdhsa_forward_progress 0
		.amdhsa_shared_vgpr_count 0
		.amdhsa_exception_fp_ieee_invalid_op 0
		.amdhsa_exception_fp_denorm_src 0
		.amdhsa_exception_fp_ieee_div_zero 0
		.amdhsa_exception_fp_ieee_overflow 0
		.amdhsa_exception_fp_ieee_underflow 0
		.amdhsa_exception_fp_ieee_inexact 0
		.amdhsa_exception_int_div_zero 0
	.end_amdhsa_kernel
	.section	.text._ZN7rocprim17ROCPRIM_400000_NS6detail17trampoline_kernelINS0_14default_configENS1_29binary_search_config_selectorIjiEEZNS1_14transform_implILb0ES3_S5_N6thrust23THRUST_200600_302600_NS6detail15normal_iteratorINS8_10device_ptrIjEEEENSA_INSB_IiEEEEZNS1_13binary_searchIS3_S5_SD_SD_SF_NS1_16binary_search_opENS9_16wrapped_functionINS0_4lessIvEEbEEEE10hipError_tPvRmT1_T2_T3_mmT4_T5_P12ihipStream_tbEUlRKjE_EESM_SQ_SR_mSS_SV_bEUlT_E_NS1_11comp_targetILNS1_3genE3ELNS1_11target_archE908ELNS1_3gpuE7ELNS1_3repE0EEENS1_30default_config_static_selectorELNS0_4arch9wavefront6targetE0EEEvSP_,"axG",@progbits,_ZN7rocprim17ROCPRIM_400000_NS6detail17trampoline_kernelINS0_14default_configENS1_29binary_search_config_selectorIjiEEZNS1_14transform_implILb0ES3_S5_N6thrust23THRUST_200600_302600_NS6detail15normal_iteratorINS8_10device_ptrIjEEEENSA_INSB_IiEEEEZNS1_13binary_searchIS3_S5_SD_SD_SF_NS1_16binary_search_opENS9_16wrapped_functionINS0_4lessIvEEbEEEE10hipError_tPvRmT1_T2_T3_mmT4_T5_P12ihipStream_tbEUlRKjE_EESM_SQ_SR_mSS_SV_bEUlT_E_NS1_11comp_targetILNS1_3genE3ELNS1_11target_archE908ELNS1_3gpuE7ELNS1_3repE0EEENS1_30default_config_static_selectorELNS0_4arch9wavefront6targetE0EEEvSP_,comdat
.Lfunc_end468:
	.size	_ZN7rocprim17ROCPRIM_400000_NS6detail17trampoline_kernelINS0_14default_configENS1_29binary_search_config_selectorIjiEEZNS1_14transform_implILb0ES3_S5_N6thrust23THRUST_200600_302600_NS6detail15normal_iteratorINS8_10device_ptrIjEEEENSA_INSB_IiEEEEZNS1_13binary_searchIS3_S5_SD_SD_SF_NS1_16binary_search_opENS9_16wrapped_functionINS0_4lessIvEEbEEEE10hipError_tPvRmT1_T2_T3_mmT4_T5_P12ihipStream_tbEUlRKjE_EESM_SQ_SR_mSS_SV_bEUlT_E_NS1_11comp_targetILNS1_3genE3ELNS1_11target_archE908ELNS1_3gpuE7ELNS1_3repE0EEENS1_30default_config_static_selectorELNS0_4arch9wavefront6targetE0EEEvSP_, .Lfunc_end468-_ZN7rocprim17ROCPRIM_400000_NS6detail17trampoline_kernelINS0_14default_configENS1_29binary_search_config_selectorIjiEEZNS1_14transform_implILb0ES3_S5_N6thrust23THRUST_200600_302600_NS6detail15normal_iteratorINS8_10device_ptrIjEEEENSA_INSB_IiEEEEZNS1_13binary_searchIS3_S5_SD_SD_SF_NS1_16binary_search_opENS9_16wrapped_functionINS0_4lessIvEEbEEEE10hipError_tPvRmT1_T2_T3_mmT4_T5_P12ihipStream_tbEUlRKjE_EESM_SQ_SR_mSS_SV_bEUlT_E_NS1_11comp_targetILNS1_3genE3ELNS1_11target_archE908ELNS1_3gpuE7ELNS1_3repE0EEENS1_30default_config_static_selectorELNS0_4arch9wavefront6targetE0EEEvSP_
                                        ; -- End function
	.section	.AMDGPU.csdata,"",@progbits
; Kernel info:
; codeLenInByte = 0
; NumSgprs: 0
; NumVgprs: 0
; ScratchSize: 0
; MemoryBound: 0
; FloatMode: 240
; IeeeMode: 1
; LDSByteSize: 0 bytes/workgroup (compile time only)
; SGPRBlocks: 0
; VGPRBlocks: 0
; NumSGPRsForWavesPerEU: 1
; NumVGPRsForWavesPerEU: 1
; Occupancy: 16
; WaveLimiterHint : 0
; COMPUTE_PGM_RSRC2:SCRATCH_EN: 0
; COMPUTE_PGM_RSRC2:USER_SGPR: 15
; COMPUTE_PGM_RSRC2:TRAP_HANDLER: 0
; COMPUTE_PGM_RSRC2:TGID_X_EN: 1
; COMPUTE_PGM_RSRC2:TGID_Y_EN: 0
; COMPUTE_PGM_RSRC2:TGID_Z_EN: 0
; COMPUTE_PGM_RSRC2:TIDIG_COMP_CNT: 0
	.section	.text._ZN7rocprim17ROCPRIM_400000_NS6detail17trampoline_kernelINS0_14default_configENS1_29binary_search_config_selectorIjiEEZNS1_14transform_implILb0ES3_S5_N6thrust23THRUST_200600_302600_NS6detail15normal_iteratorINS8_10device_ptrIjEEEENSA_INSB_IiEEEEZNS1_13binary_searchIS3_S5_SD_SD_SF_NS1_16binary_search_opENS9_16wrapped_functionINS0_4lessIvEEbEEEE10hipError_tPvRmT1_T2_T3_mmT4_T5_P12ihipStream_tbEUlRKjE_EESM_SQ_SR_mSS_SV_bEUlT_E_NS1_11comp_targetILNS1_3genE2ELNS1_11target_archE906ELNS1_3gpuE6ELNS1_3repE0EEENS1_30default_config_static_selectorELNS0_4arch9wavefront6targetE0EEEvSP_,"axG",@progbits,_ZN7rocprim17ROCPRIM_400000_NS6detail17trampoline_kernelINS0_14default_configENS1_29binary_search_config_selectorIjiEEZNS1_14transform_implILb0ES3_S5_N6thrust23THRUST_200600_302600_NS6detail15normal_iteratorINS8_10device_ptrIjEEEENSA_INSB_IiEEEEZNS1_13binary_searchIS3_S5_SD_SD_SF_NS1_16binary_search_opENS9_16wrapped_functionINS0_4lessIvEEbEEEE10hipError_tPvRmT1_T2_T3_mmT4_T5_P12ihipStream_tbEUlRKjE_EESM_SQ_SR_mSS_SV_bEUlT_E_NS1_11comp_targetILNS1_3genE2ELNS1_11target_archE906ELNS1_3gpuE6ELNS1_3repE0EEENS1_30default_config_static_selectorELNS0_4arch9wavefront6targetE0EEEvSP_,comdat
	.protected	_ZN7rocprim17ROCPRIM_400000_NS6detail17trampoline_kernelINS0_14default_configENS1_29binary_search_config_selectorIjiEEZNS1_14transform_implILb0ES3_S5_N6thrust23THRUST_200600_302600_NS6detail15normal_iteratorINS8_10device_ptrIjEEEENSA_INSB_IiEEEEZNS1_13binary_searchIS3_S5_SD_SD_SF_NS1_16binary_search_opENS9_16wrapped_functionINS0_4lessIvEEbEEEE10hipError_tPvRmT1_T2_T3_mmT4_T5_P12ihipStream_tbEUlRKjE_EESM_SQ_SR_mSS_SV_bEUlT_E_NS1_11comp_targetILNS1_3genE2ELNS1_11target_archE906ELNS1_3gpuE6ELNS1_3repE0EEENS1_30default_config_static_selectorELNS0_4arch9wavefront6targetE0EEEvSP_ ; -- Begin function _ZN7rocprim17ROCPRIM_400000_NS6detail17trampoline_kernelINS0_14default_configENS1_29binary_search_config_selectorIjiEEZNS1_14transform_implILb0ES3_S5_N6thrust23THRUST_200600_302600_NS6detail15normal_iteratorINS8_10device_ptrIjEEEENSA_INSB_IiEEEEZNS1_13binary_searchIS3_S5_SD_SD_SF_NS1_16binary_search_opENS9_16wrapped_functionINS0_4lessIvEEbEEEE10hipError_tPvRmT1_T2_T3_mmT4_T5_P12ihipStream_tbEUlRKjE_EESM_SQ_SR_mSS_SV_bEUlT_E_NS1_11comp_targetILNS1_3genE2ELNS1_11target_archE906ELNS1_3gpuE6ELNS1_3repE0EEENS1_30default_config_static_selectorELNS0_4arch9wavefront6targetE0EEEvSP_
	.globl	_ZN7rocprim17ROCPRIM_400000_NS6detail17trampoline_kernelINS0_14default_configENS1_29binary_search_config_selectorIjiEEZNS1_14transform_implILb0ES3_S5_N6thrust23THRUST_200600_302600_NS6detail15normal_iteratorINS8_10device_ptrIjEEEENSA_INSB_IiEEEEZNS1_13binary_searchIS3_S5_SD_SD_SF_NS1_16binary_search_opENS9_16wrapped_functionINS0_4lessIvEEbEEEE10hipError_tPvRmT1_T2_T3_mmT4_T5_P12ihipStream_tbEUlRKjE_EESM_SQ_SR_mSS_SV_bEUlT_E_NS1_11comp_targetILNS1_3genE2ELNS1_11target_archE906ELNS1_3gpuE6ELNS1_3repE0EEENS1_30default_config_static_selectorELNS0_4arch9wavefront6targetE0EEEvSP_
	.p2align	8
	.type	_ZN7rocprim17ROCPRIM_400000_NS6detail17trampoline_kernelINS0_14default_configENS1_29binary_search_config_selectorIjiEEZNS1_14transform_implILb0ES3_S5_N6thrust23THRUST_200600_302600_NS6detail15normal_iteratorINS8_10device_ptrIjEEEENSA_INSB_IiEEEEZNS1_13binary_searchIS3_S5_SD_SD_SF_NS1_16binary_search_opENS9_16wrapped_functionINS0_4lessIvEEbEEEE10hipError_tPvRmT1_T2_T3_mmT4_T5_P12ihipStream_tbEUlRKjE_EESM_SQ_SR_mSS_SV_bEUlT_E_NS1_11comp_targetILNS1_3genE2ELNS1_11target_archE906ELNS1_3gpuE6ELNS1_3repE0EEENS1_30default_config_static_selectorELNS0_4arch9wavefront6targetE0EEEvSP_,@function
_ZN7rocprim17ROCPRIM_400000_NS6detail17trampoline_kernelINS0_14default_configENS1_29binary_search_config_selectorIjiEEZNS1_14transform_implILb0ES3_S5_N6thrust23THRUST_200600_302600_NS6detail15normal_iteratorINS8_10device_ptrIjEEEENSA_INSB_IiEEEEZNS1_13binary_searchIS3_S5_SD_SD_SF_NS1_16binary_search_opENS9_16wrapped_functionINS0_4lessIvEEbEEEE10hipError_tPvRmT1_T2_T3_mmT4_T5_P12ihipStream_tbEUlRKjE_EESM_SQ_SR_mSS_SV_bEUlT_E_NS1_11comp_targetILNS1_3genE2ELNS1_11target_archE906ELNS1_3gpuE6ELNS1_3repE0EEENS1_30default_config_static_selectorELNS0_4arch9wavefront6targetE0EEEvSP_: ; @_ZN7rocprim17ROCPRIM_400000_NS6detail17trampoline_kernelINS0_14default_configENS1_29binary_search_config_selectorIjiEEZNS1_14transform_implILb0ES3_S5_N6thrust23THRUST_200600_302600_NS6detail15normal_iteratorINS8_10device_ptrIjEEEENSA_INSB_IiEEEEZNS1_13binary_searchIS3_S5_SD_SD_SF_NS1_16binary_search_opENS9_16wrapped_functionINS0_4lessIvEEbEEEE10hipError_tPvRmT1_T2_T3_mmT4_T5_P12ihipStream_tbEUlRKjE_EESM_SQ_SR_mSS_SV_bEUlT_E_NS1_11comp_targetILNS1_3genE2ELNS1_11target_archE906ELNS1_3gpuE6ELNS1_3repE0EEENS1_30default_config_static_selectorELNS0_4arch9wavefront6targetE0EEEvSP_
; %bb.0:
	.section	.rodata,"a",@progbits
	.p2align	6, 0x0
	.amdhsa_kernel _ZN7rocprim17ROCPRIM_400000_NS6detail17trampoline_kernelINS0_14default_configENS1_29binary_search_config_selectorIjiEEZNS1_14transform_implILb0ES3_S5_N6thrust23THRUST_200600_302600_NS6detail15normal_iteratorINS8_10device_ptrIjEEEENSA_INSB_IiEEEEZNS1_13binary_searchIS3_S5_SD_SD_SF_NS1_16binary_search_opENS9_16wrapped_functionINS0_4lessIvEEbEEEE10hipError_tPvRmT1_T2_T3_mmT4_T5_P12ihipStream_tbEUlRKjE_EESM_SQ_SR_mSS_SV_bEUlT_E_NS1_11comp_targetILNS1_3genE2ELNS1_11target_archE906ELNS1_3gpuE6ELNS1_3repE0EEENS1_30default_config_static_selectorELNS0_4arch9wavefront6targetE0EEEvSP_
		.amdhsa_group_segment_fixed_size 0
		.amdhsa_private_segment_fixed_size 0
		.amdhsa_kernarg_size 56
		.amdhsa_user_sgpr_count 15
		.amdhsa_user_sgpr_dispatch_ptr 0
		.amdhsa_user_sgpr_queue_ptr 0
		.amdhsa_user_sgpr_kernarg_segment_ptr 1
		.amdhsa_user_sgpr_dispatch_id 0
		.amdhsa_user_sgpr_private_segment_size 0
		.amdhsa_wavefront_size32 1
		.amdhsa_uses_dynamic_stack 0
		.amdhsa_enable_private_segment 0
		.amdhsa_system_sgpr_workgroup_id_x 1
		.amdhsa_system_sgpr_workgroup_id_y 0
		.amdhsa_system_sgpr_workgroup_id_z 0
		.amdhsa_system_sgpr_workgroup_info 0
		.amdhsa_system_vgpr_workitem_id 0
		.amdhsa_next_free_vgpr 1
		.amdhsa_next_free_sgpr 1
		.amdhsa_reserve_vcc 0
		.amdhsa_float_round_mode_32 0
		.amdhsa_float_round_mode_16_64 0
		.amdhsa_float_denorm_mode_32 3
		.amdhsa_float_denorm_mode_16_64 3
		.amdhsa_dx10_clamp 1
		.amdhsa_ieee_mode 1
		.amdhsa_fp16_overflow 0
		.amdhsa_workgroup_processor_mode 1
		.amdhsa_memory_ordered 1
		.amdhsa_forward_progress 0
		.amdhsa_shared_vgpr_count 0
		.amdhsa_exception_fp_ieee_invalid_op 0
		.amdhsa_exception_fp_denorm_src 0
		.amdhsa_exception_fp_ieee_div_zero 0
		.amdhsa_exception_fp_ieee_overflow 0
		.amdhsa_exception_fp_ieee_underflow 0
		.amdhsa_exception_fp_ieee_inexact 0
		.amdhsa_exception_int_div_zero 0
	.end_amdhsa_kernel
	.section	.text._ZN7rocprim17ROCPRIM_400000_NS6detail17trampoline_kernelINS0_14default_configENS1_29binary_search_config_selectorIjiEEZNS1_14transform_implILb0ES3_S5_N6thrust23THRUST_200600_302600_NS6detail15normal_iteratorINS8_10device_ptrIjEEEENSA_INSB_IiEEEEZNS1_13binary_searchIS3_S5_SD_SD_SF_NS1_16binary_search_opENS9_16wrapped_functionINS0_4lessIvEEbEEEE10hipError_tPvRmT1_T2_T3_mmT4_T5_P12ihipStream_tbEUlRKjE_EESM_SQ_SR_mSS_SV_bEUlT_E_NS1_11comp_targetILNS1_3genE2ELNS1_11target_archE906ELNS1_3gpuE6ELNS1_3repE0EEENS1_30default_config_static_selectorELNS0_4arch9wavefront6targetE0EEEvSP_,"axG",@progbits,_ZN7rocprim17ROCPRIM_400000_NS6detail17trampoline_kernelINS0_14default_configENS1_29binary_search_config_selectorIjiEEZNS1_14transform_implILb0ES3_S5_N6thrust23THRUST_200600_302600_NS6detail15normal_iteratorINS8_10device_ptrIjEEEENSA_INSB_IiEEEEZNS1_13binary_searchIS3_S5_SD_SD_SF_NS1_16binary_search_opENS9_16wrapped_functionINS0_4lessIvEEbEEEE10hipError_tPvRmT1_T2_T3_mmT4_T5_P12ihipStream_tbEUlRKjE_EESM_SQ_SR_mSS_SV_bEUlT_E_NS1_11comp_targetILNS1_3genE2ELNS1_11target_archE906ELNS1_3gpuE6ELNS1_3repE0EEENS1_30default_config_static_selectorELNS0_4arch9wavefront6targetE0EEEvSP_,comdat
.Lfunc_end469:
	.size	_ZN7rocprim17ROCPRIM_400000_NS6detail17trampoline_kernelINS0_14default_configENS1_29binary_search_config_selectorIjiEEZNS1_14transform_implILb0ES3_S5_N6thrust23THRUST_200600_302600_NS6detail15normal_iteratorINS8_10device_ptrIjEEEENSA_INSB_IiEEEEZNS1_13binary_searchIS3_S5_SD_SD_SF_NS1_16binary_search_opENS9_16wrapped_functionINS0_4lessIvEEbEEEE10hipError_tPvRmT1_T2_T3_mmT4_T5_P12ihipStream_tbEUlRKjE_EESM_SQ_SR_mSS_SV_bEUlT_E_NS1_11comp_targetILNS1_3genE2ELNS1_11target_archE906ELNS1_3gpuE6ELNS1_3repE0EEENS1_30default_config_static_selectorELNS0_4arch9wavefront6targetE0EEEvSP_, .Lfunc_end469-_ZN7rocprim17ROCPRIM_400000_NS6detail17trampoline_kernelINS0_14default_configENS1_29binary_search_config_selectorIjiEEZNS1_14transform_implILb0ES3_S5_N6thrust23THRUST_200600_302600_NS6detail15normal_iteratorINS8_10device_ptrIjEEEENSA_INSB_IiEEEEZNS1_13binary_searchIS3_S5_SD_SD_SF_NS1_16binary_search_opENS9_16wrapped_functionINS0_4lessIvEEbEEEE10hipError_tPvRmT1_T2_T3_mmT4_T5_P12ihipStream_tbEUlRKjE_EESM_SQ_SR_mSS_SV_bEUlT_E_NS1_11comp_targetILNS1_3genE2ELNS1_11target_archE906ELNS1_3gpuE6ELNS1_3repE0EEENS1_30default_config_static_selectorELNS0_4arch9wavefront6targetE0EEEvSP_
                                        ; -- End function
	.section	.AMDGPU.csdata,"",@progbits
; Kernel info:
; codeLenInByte = 0
; NumSgprs: 0
; NumVgprs: 0
; ScratchSize: 0
; MemoryBound: 0
; FloatMode: 240
; IeeeMode: 1
; LDSByteSize: 0 bytes/workgroup (compile time only)
; SGPRBlocks: 0
; VGPRBlocks: 0
; NumSGPRsForWavesPerEU: 1
; NumVGPRsForWavesPerEU: 1
; Occupancy: 16
; WaveLimiterHint : 0
; COMPUTE_PGM_RSRC2:SCRATCH_EN: 0
; COMPUTE_PGM_RSRC2:USER_SGPR: 15
; COMPUTE_PGM_RSRC2:TRAP_HANDLER: 0
; COMPUTE_PGM_RSRC2:TGID_X_EN: 1
; COMPUTE_PGM_RSRC2:TGID_Y_EN: 0
; COMPUTE_PGM_RSRC2:TGID_Z_EN: 0
; COMPUTE_PGM_RSRC2:TIDIG_COMP_CNT: 0
	.section	.text._ZN7rocprim17ROCPRIM_400000_NS6detail17trampoline_kernelINS0_14default_configENS1_29binary_search_config_selectorIjiEEZNS1_14transform_implILb0ES3_S5_N6thrust23THRUST_200600_302600_NS6detail15normal_iteratorINS8_10device_ptrIjEEEENSA_INSB_IiEEEEZNS1_13binary_searchIS3_S5_SD_SD_SF_NS1_16binary_search_opENS9_16wrapped_functionINS0_4lessIvEEbEEEE10hipError_tPvRmT1_T2_T3_mmT4_T5_P12ihipStream_tbEUlRKjE_EESM_SQ_SR_mSS_SV_bEUlT_E_NS1_11comp_targetILNS1_3genE10ELNS1_11target_archE1201ELNS1_3gpuE5ELNS1_3repE0EEENS1_30default_config_static_selectorELNS0_4arch9wavefront6targetE0EEEvSP_,"axG",@progbits,_ZN7rocprim17ROCPRIM_400000_NS6detail17trampoline_kernelINS0_14default_configENS1_29binary_search_config_selectorIjiEEZNS1_14transform_implILb0ES3_S5_N6thrust23THRUST_200600_302600_NS6detail15normal_iteratorINS8_10device_ptrIjEEEENSA_INSB_IiEEEEZNS1_13binary_searchIS3_S5_SD_SD_SF_NS1_16binary_search_opENS9_16wrapped_functionINS0_4lessIvEEbEEEE10hipError_tPvRmT1_T2_T3_mmT4_T5_P12ihipStream_tbEUlRKjE_EESM_SQ_SR_mSS_SV_bEUlT_E_NS1_11comp_targetILNS1_3genE10ELNS1_11target_archE1201ELNS1_3gpuE5ELNS1_3repE0EEENS1_30default_config_static_selectorELNS0_4arch9wavefront6targetE0EEEvSP_,comdat
	.protected	_ZN7rocprim17ROCPRIM_400000_NS6detail17trampoline_kernelINS0_14default_configENS1_29binary_search_config_selectorIjiEEZNS1_14transform_implILb0ES3_S5_N6thrust23THRUST_200600_302600_NS6detail15normal_iteratorINS8_10device_ptrIjEEEENSA_INSB_IiEEEEZNS1_13binary_searchIS3_S5_SD_SD_SF_NS1_16binary_search_opENS9_16wrapped_functionINS0_4lessIvEEbEEEE10hipError_tPvRmT1_T2_T3_mmT4_T5_P12ihipStream_tbEUlRKjE_EESM_SQ_SR_mSS_SV_bEUlT_E_NS1_11comp_targetILNS1_3genE10ELNS1_11target_archE1201ELNS1_3gpuE5ELNS1_3repE0EEENS1_30default_config_static_selectorELNS0_4arch9wavefront6targetE0EEEvSP_ ; -- Begin function _ZN7rocprim17ROCPRIM_400000_NS6detail17trampoline_kernelINS0_14default_configENS1_29binary_search_config_selectorIjiEEZNS1_14transform_implILb0ES3_S5_N6thrust23THRUST_200600_302600_NS6detail15normal_iteratorINS8_10device_ptrIjEEEENSA_INSB_IiEEEEZNS1_13binary_searchIS3_S5_SD_SD_SF_NS1_16binary_search_opENS9_16wrapped_functionINS0_4lessIvEEbEEEE10hipError_tPvRmT1_T2_T3_mmT4_T5_P12ihipStream_tbEUlRKjE_EESM_SQ_SR_mSS_SV_bEUlT_E_NS1_11comp_targetILNS1_3genE10ELNS1_11target_archE1201ELNS1_3gpuE5ELNS1_3repE0EEENS1_30default_config_static_selectorELNS0_4arch9wavefront6targetE0EEEvSP_
	.globl	_ZN7rocprim17ROCPRIM_400000_NS6detail17trampoline_kernelINS0_14default_configENS1_29binary_search_config_selectorIjiEEZNS1_14transform_implILb0ES3_S5_N6thrust23THRUST_200600_302600_NS6detail15normal_iteratorINS8_10device_ptrIjEEEENSA_INSB_IiEEEEZNS1_13binary_searchIS3_S5_SD_SD_SF_NS1_16binary_search_opENS9_16wrapped_functionINS0_4lessIvEEbEEEE10hipError_tPvRmT1_T2_T3_mmT4_T5_P12ihipStream_tbEUlRKjE_EESM_SQ_SR_mSS_SV_bEUlT_E_NS1_11comp_targetILNS1_3genE10ELNS1_11target_archE1201ELNS1_3gpuE5ELNS1_3repE0EEENS1_30default_config_static_selectorELNS0_4arch9wavefront6targetE0EEEvSP_
	.p2align	8
	.type	_ZN7rocprim17ROCPRIM_400000_NS6detail17trampoline_kernelINS0_14default_configENS1_29binary_search_config_selectorIjiEEZNS1_14transform_implILb0ES3_S5_N6thrust23THRUST_200600_302600_NS6detail15normal_iteratorINS8_10device_ptrIjEEEENSA_INSB_IiEEEEZNS1_13binary_searchIS3_S5_SD_SD_SF_NS1_16binary_search_opENS9_16wrapped_functionINS0_4lessIvEEbEEEE10hipError_tPvRmT1_T2_T3_mmT4_T5_P12ihipStream_tbEUlRKjE_EESM_SQ_SR_mSS_SV_bEUlT_E_NS1_11comp_targetILNS1_3genE10ELNS1_11target_archE1201ELNS1_3gpuE5ELNS1_3repE0EEENS1_30default_config_static_selectorELNS0_4arch9wavefront6targetE0EEEvSP_,@function
_ZN7rocprim17ROCPRIM_400000_NS6detail17trampoline_kernelINS0_14default_configENS1_29binary_search_config_selectorIjiEEZNS1_14transform_implILb0ES3_S5_N6thrust23THRUST_200600_302600_NS6detail15normal_iteratorINS8_10device_ptrIjEEEENSA_INSB_IiEEEEZNS1_13binary_searchIS3_S5_SD_SD_SF_NS1_16binary_search_opENS9_16wrapped_functionINS0_4lessIvEEbEEEE10hipError_tPvRmT1_T2_T3_mmT4_T5_P12ihipStream_tbEUlRKjE_EESM_SQ_SR_mSS_SV_bEUlT_E_NS1_11comp_targetILNS1_3genE10ELNS1_11target_archE1201ELNS1_3gpuE5ELNS1_3repE0EEENS1_30default_config_static_selectorELNS0_4arch9wavefront6targetE0EEEvSP_: ; @_ZN7rocprim17ROCPRIM_400000_NS6detail17trampoline_kernelINS0_14default_configENS1_29binary_search_config_selectorIjiEEZNS1_14transform_implILb0ES3_S5_N6thrust23THRUST_200600_302600_NS6detail15normal_iteratorINS8_10device_ptrIjEEEENSA_INSB_IiEEEEZNS1_13binary_searchIS3_S5_SD_SD_SF_NS1_16binary_search_opENS9_16wrapped_functionINS0_4lessIvEEbEEEE10hipError_tPvRmT1_T2_T3_mmT4_T5_P12ihipStream_tbEUlRKjE_EESM_SQ_SR_mSS_SV_bEUlT_E_NS1_11comp_targetILNS1_3genE10ELNS1_11target_archE1201ELNS1_3gpuE5ELNS1_3repE0EEENS1_30default_config_static_selectorELNS0_4arch9wavefront6targetE0EEEvSP_
; %bb.0:
	.section	.rodata,"a",@progbits
	.p2align	6, 0x0
	.amdhsa_kernel _ZN7rocprim17ROCPRIM_400000_NS6detail17trampoline_kernelINS0_14default_configENS1_29binary_search_config_selectorIjiEEZNS1_14transform_implILb0ES3_S5_N6thrust23THRUST_200600_302600_NS6detail15normal_iteratorINS8_10device_ptrIjEEEENSA_INSB_IiEEEEZNS1_13binary_searchIS3_S5_SD_SD_SF_NS1_16binary_search_opENS9_16wrapped_functionINS0_4lessIvEEbEEEE10hipError_tPvRmT1_T2_T3_mmT4_T5_P12ihipStream_tbEUlRKjE_EESM_SQ_SR_mSS_SV_bEUlT_E_NS1_11comp_targetILNS1_3genE10ELNS1_11target_archE1201ELNS1_3gpuE5ELNS1_3repE0EEENS1_30default_config_static_selectorELNS0_4arch9wavefront6targetE0EEEvSP_
		.amdhsa_group_segment_fixed_size 0
		.amdhsa_private_segment_fixed_size 0
		.amdhsa_kernarg_size 56
		.amdhsa_user_sgpr_count 15
		.amdhsa_user_sgpr_dispatch_ptr 0
		.amdhsa_user_sgpr_queue_ptr 0
		.amdhsa_user_sgpr_kernarg_segment_ptr 1
		.amdhsa_user_sgpr_dispatch_id 0
		.amdhsa_user_sgpr_private_segment_size 0
		.amdhsa_wavefront_size32 1
		.amdhsa_uses_dynamic_stack 0
		.amdhsa_enable_private_segment 0
		.amdhsa_system_sgpr_workgroup_id_x 1
		.amdhsa_system_sgpr_workgroup_id_y 0
		.amdhsa_system_sgpr_workgroup_id_z 0
		.amdhsa_system_sgpr_workgroup_info 0
		.amdhsa_system_vgpr_workitem_id 0
		.amdhsa_next_free_vgpr 1
		.amdhsa_next_free_sgpr 1
		.amdhsa_reserve_vcc 0
		.amdhsa_float_round_mode_32 0
		.amdhsa_float_round_mode_16_64 0
		.amdhsa_float_denorm_mode_32 3
		.amdhsa_float_denorm_mode_16_64 3
		.amdhsa_dx10_clamp 1
		.amdhsa_ieee_mode 1
		.amdhsa_fp16_overflow 0
		.amdhsa_workgroup_processor_mode 1
		.amdhsa_memory_ordered 1
		.amdhsa_forward_progress 0
		.amdhsa_shared_vgpr_count 0
		.amdhsa_exception_fp_ieee_invalid_op 0
		.amdhsa_exception_fp_denorm_src 0
		.amdhsa_exception_fp_ieee_div_zero 0
		.amdhsa_exception_fp_ieee_overflow 0
		.amdhsa_exception_fp_ieee_underflow 0
		.amdhsa_exception_fp_ieee_inexact 0
		.amdhsa_exception_int_div_zero 0
	.end_amdhsa_kernel
	.section	.text._ZN7rocprim17ROCPRIM_400000_NS6detail17trampoline_kernelINS0_14default_configENS1_29binary_search_config_selectorIjiEEZNS1_14transform_implILb0ES3_S5_N6thrust23THRUST_200600_302600_NS6detail15normal_iteratorINS8_10device_ptrIjEEEENSA_INSB_IiEEEEZNS1_13binary_searchIS3_S5_SD_SD_SF_NS1_16binary_search_opENS9_16wrapped_functionINS0_4lessIvEEbEEEE10hipError_tPvRmT1_T2_T3_mmT4_T5_P12ihipStream_tbEUlRKjE_EESM_SQ_SR_mSS_SV_bEUlT_E_NS1_11comp_targetILNS1_3genE10ELNS1_11target_archE1201ELNS1_3gpuE5ELNS1_3repE0EEENS1_30default_config_static_selectorELNS0_4arch9wavefront6targetE0EEEvSP_,"axG",@progbits,_ZN7rocprim17ROCPRIM_400000_NS6detail17trampoline_kernelINS0_14default_configENS1_29binary_search_config_selectorIjiEEZNS1_14transform_implILb0ES3_S5_N6thrust23THRUST_200600_302600_NS6detail15normal_iteratorINS8_10device_ptrIjEEEENSA_INSB_IiEEEEZNS1_13binary_searchIS3_S5_SD_SD_SF_NS1_16binary_search_opENS9_16wrapped_functionINS0_4lessIvEEbEEEE10hipError_tPvRmT1_T2_T3_mmT4_T5_P12ihipStream_tbEUlRKjE_EESM_SQ_SR_mSS_SV_bEUlT_E_NS1_11comp_targetILNS1_3genE10ELNS1_11target_archE1201ELNS1_3gpuE5ELNS1_3repE0EEENS1_30default_config_static_selectorELNS0_4arch9wavefront6targetE0EEEvSP_,comdat
.Lfunc_end470:
	.size	_ZN7rocprim17ROCPRIM_400000_NS6detail17trampoline_kernelINS0_14default_configENS1_29binary_search_config_selectorIjiEEZNS1_14transform_implILb0ES3_S5_N6thrust23THRUST_200600_302600_NS6detail15normal_iteratorINS8_10device_ptrIjEEEENSA_INSB_IiEEEEZNS1_13binary_searchIS3_S5_SD_SD_SF_NS1_16binary_search_opENS9_16wrapped_functionINS0_4lessIvEEbEEEE10hipError_tPvRmT1_T2_T3_mmT4_T5_P12ihipStream_tbEUlRKjE_EESM_SQ_SR_mSS_SV_bEUlT_E_NS1_11comp_targetILNS1_3genE10ELNS1_11target_archE1201ELNS1_3gpuE5ELNS1_3repE0EEENS1_30default_config_static_selectorELNS0_4arch9wavefront6targetE0EEEvSP_, .Lfunc_end470-_ZN7rocprim17ROCPRIM_400000_NS6detail17trampoline_kernelINS0_14default_configENS1_29binary_search_config_selectorIjiEEZNS1_14transform_implILb0ES3_S5_N6thrust23THRUST_200600_302600_NS6detail15normal_iteratorINS8_10device_ptrIjEEEENSA_INSB_IiEEEEZNS1_13binary_searchIS3_S5_SD_SD_SF_NS1_16binary_search_opENS9_16wrapped_functionINS0_4lessIvEEbEEEE10hipError_tPvRmT1_T2_T3_mmT4_T5_P12ihipStream_tbEUlRKjE_EESM_SQ_SR_mSS_SV_bEUlT_E_NS1_11comp_targetILNS1_3genE10ELNS1_11target_archE1201ELNS1_3gpuE5ELNS1_3repE0EEENS1_30default_config_static_selectorELNS0_4arch9wavefront6targetE0EEEvSP_
                                        ; -- End function
	.section	.AMDGPU.csdata,"",@progbits
; Kernel info:
; codeLenInByte = 0
; NumSgprs: 0
; NumVgprs: 0
; ScratchSize: 0
; MemoryBound: 0
; FloatMode: 240
; IeeeMode: 1
; LDSByteSize: 0 bytes/workgroup (compile time only)
; SGPRBlocks: 0
; VGPRBlocks: 0
; NumSGPRsForWavesPerEU: 1
; NumVGPRsForWavesPerEU: 1
; Occupancy: 16
; WaveLimiterHint : 0
; COMPUTE_PGM_RSRC2:SCRATCH_EN: 0
; COMPUTE_PGM_RSRC2:USER_SGPR: 15
; COMPUTE_PGM_RSRC2:TRAP_HANDLER: 0
; COMPUTE_PGM_RSRC2:TGID_X_EN: 1
; COMPUTE_PGM_RSRC2:TGID_Y_EN: 0
; COMPUTE_PGM_RSRC2:TGID_Z_EN: 0
; COMPUTE_PGM_RSRC2:TIDIG_COMP_CNT: 0
	.section	.text._ZN7rocprim17ROCPRIM_400000_NS6detail17trampoline_kernelINS0_14default_configENS1_29binary_search_config_selectorIjiEEZNS1_14transform_implILb0ES3_S5_N6thrust23THRUST_200600_302600_NS6detail15normal_iteratorINS8_10device_ptrIjEEEENSA_INSB_IiEEEEZNS1_13binary_searchIS3_S5_SD_SD_SF_NS1_16binary_search_opENS9_16wrapped_functionINS0_4lessIvEEbEEEE10hipError_tPvRmT1_T2_T3_mmT4_T5_P12ihipStream_tbEUlRKjE_EESM_SQ_SR_mSS_SV_bEUlT_E_NS1_11comp_targetILNS1_3genE10ELNS1_11target_archE1200ELNS1_3gpuE4ELNS1_3repE0EEENS1_30default_config_static_selectorELNS0_4arch9wavefront6targetE0EEEvSP_,"axG",@progbits,_ZN7rocprim17ROCPRIM_400000_NS6detail17trampoline_kernelINS0_14default_configENS1_29binary_search_config_selectorIjiEEZNS1_14transform_implILb0ES3_S5_N6thrust23THRUST_200600_302600_NS6detail15normal_iteratorINS8_10device_ptrIjEEEENSA_INSB_IiEEEEZNS1_13binary_searchIS3_S5_SD_SD_SF_NS1_16binary_search_opENS9_16wrapped_functionINS0_4lessIvEEbEEEE10hipError_tPvRmT1_T2_T3_mmT4_T5_P12ihipStream_tbEUlRKjE_EESM_SQ_SR_mSS_SV_bEUlT_E_NS1_11comp_targetILNS1_3genE10ELNS1_11target_archE1200ELNS1_3gpuE4ELNS1_3repE0EEENS1_30default_config_static_selectorELNS0_4arch9wavefront6targetE0EEEvSP_,comdat
	.protected	_ZN7rocprim17ROCPRIM_400000_NS6detail17trampoline_kernelINS0_14default_configENS1_29binary_search_config_selectorIjiEEZNS1_14transform_implILb0ES3_S5_N6thrust23THRUST_200600_302600_NS6detail15normal_iteratorINS8_10device_ptrIjEEEENSA_INSB_IiEEEEZNS1_13binary_searchIS3_S5_SD_SD_SF_NS1_16binary_search_opENS9_16wrapped_functionINS0_4lessIvEEbEEEE10hipError_tPvRmT1_T2_T3_mmT4_T5_P12ihipStream_tbEUlRKjE_EESM_SQ_SR_mSS_SV_bEUlT_E_NS1_11comp_targetILNS1_3genE10ELNS1_11target_archE1200ELNS1_3gpuE4ELNS1_3repE0EEENS1_30default_config_static_selectorELNS0_4arch9wavefront6targetE0EEEvSP_ ; -- Begin function _ZN7rocprim17ROCPRIM_400000_NS6detail17trampoline_kernelINS0_14default_configENS1_29binary_search_config_selectorIjiEEZNS1_14transform_implILb0ES3_S5_N6thrust23THRUST_200600_302600_NS6detail15normal_iteratorINS8_10device_ptrIjEEEENSA_INSB_IiEEEEZNS1_13binary_searchIS3_S5_SD_SD_SF_NS1_16binary_search_opENS9_16wrapped_functionINS0_4lessIvEEbEEEE10hipError_tPvRmT1_T2_T3_mmT4_T5_P12ihipStream_tbEUlRKjE_EESM_SQ_SR_mSS_SV_bEUlT_E_NS1_11comp_targetILNS1_3genE10ELNS1_11target_archE1200ELNS1_3gpuE4ELNS1_3repE0EEENS1_30default_config_static_selectorELNS0_4arch9wavefront6targetE0EEEvSP_
	.globl	_ZN7rocprim17ROCPRIM_400000_NS6detail17trampoline_kernelINS0_14default_configENS1_29binary_search_config_selectorIjiEEZNS1_14transform_implILb0ES3_S5_N6thrust23THRUST_200600_302600_NS6detail15normal_iteratorINS8_10device_ptrIjEEEENSA_INSB_IiEEEEZNS1_13binary_searchIS3_S5_SD_SD_SF_NS1_16binary_search_opENS9_16wrapped_functionINS0_4lessIvEEbEEEE10hipError_tPvRmT1_T2_T3_mmT4_T5_P12ihipStream_tbEUlRKjE_EESM_SQ_SR_mSS_SV_bEUlT_E_NS1_11comp_targetILNS1_3genE10ELNS1_11target_archE1200ELNS1_3gpuE4ELNS1_3repE0EEENS1_30default_config_static_selectorELNS0_4arch9wavefront6targetE0EEEvSP_
	.p2align	8
	.type	_ZN7rocprim17ROCPRIM_400000_NS6detail17trampoline_kernelINS0_14default_configENS1_29binary_search_config_selectorIjiEEZNS1_14transform_implILb0ES3_S5_N6thrust23THRUST_200600_302600_NS6detail15normal_iteratorINS8_10device_ptrIjEEEENSA_INSB_IiEEEEZNS1_13binary_searchIS3_S5_SD_SD_SF_NS1_16binary_search_opENS9_16wrapped_functionINS0_4lessIvEEbEEEE10hipError_tPvRmT1_T2_T3_mmT4_T5_P12ihipStream_tbEUlRKjE_EESM_SQ_SR_mSS_SV_bEUlT_E_NS1_11comp_targetILNS1_3genE10ELNS1_11target_archE1200ELNS1_3gpuE4ELNS1_3repE0EEENS1_30default_config_static_selectorELNS0_4arch9wavefront6targetE0EEEvSP_,@function
_ZN7rocprim17ROCPRIM_400000_NS6detail17trampoline_kernelINS0_14default_configENS1_29binary_search_config_selectorIjiEEZNS1_14transform_implILb0ES3_S5_N6thrust23THRUST_200600_302600_NS6detail15normal_iteratorINS8_10device_ptrIjEEEENSA_INSB_IiEEEEZNS1_13binary_searchIS3_S5_SD_SD_SF_NS1_16binary_search_opENS9_16wrapped_functionINS0_4lessIvEEbEEEE10hipError_tPvRmT1_T2_T3_mmT4_T5_P12ihipStream_tbEUlRKjE_EESM_SQ_SR_mSS_SV_bEUlT_E_NS1_11comp_targetILNS1_3genE10ELNS1_11target_archE1200ELNS1_3gpuE4ELNS1_3repE0EEENS1_30default_config_static_selectorELNS0_4arch9wavefront6targetE0EEEvSP_: ; @_ZN7rocprim17ROCPRIM_400000_NS6detail17trampoline_kernelINS0_14default_configENS1_29binary_search_config_selectorIjiEEZNS1_14transform_implILb0ES3_S5_N6thrust23THRUST_200600_302600_NS6detail15normal_iteratorINS8_10device_ptrIjEEEENSA_INSB_IiEEEEZNS1_13binary_searchIS3_S5_SD_SD_SF_NS1_16binary_search_opENS9_16wrapped_functionINS0_4lessIvEEbEEEE10hipError_tPvRmT1_T2_T3_mmT4_T5_P12ihipStream_tbEUlRKjE_EESM_SQ_SR_mSS_SV_bEUlT_E_NS1_11comp_targetILNS1_3genE10ELNS1_11target_archE1200ELNS1_3gpuE4ELNS1_3repE0EEENS1_30default_config_static_selectorELNS0_4arch9wavefront6targetE0EEEvSP_
; %bb.0:
	.section	.rodata,"a",@progbits
	.p2align	6, 0x0
	.amdhsa_kernel _ZN7rocprim17ROCPRIM_400000_NS6detail17trampoline_kernelINS0_14default_configENS1_29binary_search_config_selectorIjiEEZNS1_14transform_implILb0ES3_S5_N6thrust23THRUST_200600_302600_NS6detail15normal_iteratorINS8_10device_ptrIjEEEENSA_INSB_IiEEEEZNS1_13binary_searchIS3_S5_SD_SD_SF_NS1_16binary_search_opENS9_16wrapped_functionINS0_4lessIvEEbEEEE10hipError_tPvRmT1_T2_T3_mmT4_T5_P12ihipStream_tbEUlRKjE_EESM_SQ_SR_mSS_SV_bEUlT_E_NS1_11comp_targetILNS1_3genE10ELNS1_11target_archE1200ELNS1_3gpuE4ELNS1_3repE0EEENS1_30default_config_static_selectorELNS0_4arch9wavefront6targetE0EEEvSP_
		.amdhsa_group_segment_fixed_size 0
		.amdhsa_private_segment_fixed_size 0
		.amdhsa_kernarg_size 56
		.amdhsa_user_sgpr_count 15
		.amdhsa_user_sgpr_dispatch_ptr 0
		.amdhsa_user_sgpr_queue_ptr 0
		.amdhsa_user_sgpr_kernarg_segment_ptr 1
		.amdhsa_user_sgpr_dispatch_id 0
		.amdhsa_user_sgpr_private_segment_size 0
		.amdhsa_wavefront_size32 1
		.amdhsa_uses_dynamic_stack 0
		.amdhsa_enable_private_segment 0
		.amdhsa_system_sgpr_workgroup_id_x 1
		.amdhsa_system_sgpr_workgroup_id_y 0
		.amdhsa_system_sgpr_workgroup_id_z 0
		.amdhsa_system_sgpr_workgroup_info 0
		.amdhsa_system_vgpr_workitem_id 0
		.amdhsa_next_free_vgpr 1
		.amdhsa_next_free_sgpr 1
		.amdhsa_reserve_vcc 0
		.amdhsa_float_round_mode_32 0
		.amdhsa_float_round_mode_16_64 0
		.amdhsa_float_denorm_mode_32 3
		.amdhsa_float_denorm_mode_16_64 3
		.amdhsa_dx10_clamp 1
		.amdhsa_ieee_mode 1
		.amdhsa_fp16_overflow 0
		.amdhsa_workgroup_processor_mode 1
		.amdhsa_memory_ordered 1
		.amdhsa_forward_progress 0
		.amdhsa_shared_vgpr_count 0
		.amdhsa_exception_fp_ieee_invalid_op 0
		.amdhsa_exception_fp_denorm_src 0
		.amdhsa_exception_fp_ieee_div_zero 0
		.amdhsa_exception_fp_ieee_overflow 0
		.amdhsa_exception_fp_ieee_underflow 0
		.amdhsa_exception_fp_ieee_inexact 0
		.amdhsa_exception_int_div_zero 0
	.end_amdhsa_kernel
	.section	.text._ZN7rocprim17ROCPRIM_400000_NS6detail17trampoline_kernelINS0_14default_configENS1_29binary_search_config_selectorIjiEEZNS1_14transform_implILb0ES3_S5_N6thrust23THRUST_200600_302600_NS6detail15normal_iteratorINS8_10device_ptrIjEEEENSA_INSB_IiEEEEZNS1_13binary_searchIS3_S5_SD_SD_SF_NS1_16binary_search_opENS9_16wrapped_functionINS0_4lessIvEEbEEEE10hipError_tPvRmT1_T2_T3_mmT4_T5_P12ihipStream_tbEUlRKjE_EESM_SQ_SR_mSS_SV_bEUlT_E_NS1_11comp_targetILNS1_3genE10ELNS1_11target_archE1200ELNS1_3gpuE4ELNS1_3repE0EEENS1_30default_config_static_selectorELNS0_4arch9wavefront6targetE0EEEvSP_,"axG",@progbits,_ZN7rocprim17ROCPRIM_400000_NS6detail17trampoline_kernelINS0_14default_configENS1_29binary_search_config_selectorIjiEEZNS1_14transform_implILb0ES3_S5_N6thrust23THRUST_200600_302600_NS6detail15normal_iteratorINS8_10device_ptrIjEEEENSA_INSB_IiEEEEZNS1_13binary_searchIS3_S5_SD_SD_SF_NS1_16binary_search_opENS9_16wrapped_functionINS0_4lessIvEEbEEEE10hipError_tPvRmT1_T2_T3_mmT4_T5_P12ihipStream_tbEUlRKjE_EESM_SQ_SR_mSS_SV_bEUlT_E_NS1_11comp_targetILNS1_3genE10ELNS1_11target_archE1200ELNS1_3gpuE4ELNS1_3repE0EEENS1_30default_config_static_selectorELNS0_4arch9wavefront6targetE0EEEvSP_,comdat
.Lfunc_end471:
	.size	_ZN7rocprim17ROCPRIM_400000_NS6detail17trampoline_kernelINS0_14default_configENS1_29binary_search_config_selectorIjiEEZNS1_14transform_implILb0ES3_S5_N6thrust23THRUST_200600_302600_NS6detail15normal_iteratorINS8_10device_ptrIjEEEENSA_INSB_IiEEEEZNS1_13binary_searchIS3_S5_SD_SD_SF_NS1_16binary_search_opENS9_16wrapped_functionINS0_4lessIvEEbEEEE10hipError_tPvRmT1_T2_T3_mmT4_T5_P12ihipStream_tbEUlRKjE_EESM_SQ_SR_mSS_SV_bEUlT_E_NS1_11comp_targetILNS1_3genE10ELNS1_11target_archE1200ELNS1_3gpuE4ELNS1_3repE0EEENS1_30default_config_static_selectorELNS0_4arch9wavefront6targetE0EEEvSP_, .Lfunc_end471-_ZN7rocprim17ROCPRIM_400000_NS6detail17trampoline_kernelINS0_14default_configENS1_29binary_search_config_selectorIjiEEZNS1_14transform_implILb0ES3_S5_N6thrust23THRUST_200600_302600_NS6detail15normal_iteratorINS8_10device_ptrIjEEEENSA_INSB_IiEEEEZNS1_13binary_searchIS3_S5_SD_SD_SF_NS1_16binary_search_opENS9_16wrapped_functionINS0_4lessIvEEbEEEE10hipError_tPvRmT1_T2_T3_mmT4_T5_P12ihipStream_tbEUlRKjE_EESM_SQ_SR_mSS_SV_bEUlT_E_NS1_11comp_targetILNS1_3genE10ELNS1_11target_archE1200ELNS1_3gpuE4ELNS1_3repE0EEENS1_30default_config_static_selectorELNS0_4arch9wavefront6targetE0EEEvSP_
                                        ; -- End function
	.section	.AMDGPU.csdata,"",@progbits
; Kernel info:
; codeLenInByte = 0
; NumSgprs: 0
; NumVgprs: 0
; ScratchSize: 0
; MemoryBound: 0
; FloatMode: 240
; IeeeMode: 1
; LDSByteSize: 0 bytes/workgroup (compile time only)
; SGPRBlocks: 0
; VGPRBlocks: 0
; NumSGPRsForWavesPerEU: 1
; NumVGPRsForWavesPerEU: 1
; Occupancy: 16
; WaveLimiterHint : 0
; COMPUTE_PGM_RSRC2:SCRATCH_EN: 0
; COMPUTE_PGM_RSRC2:USER_SGPR: 15
; COMPUTE_PGM_RSRC2:TRAP_HANDLER: 0
; COMPUTE_PGM_RSRC2:TGID_X_EN: 1
; COMPUTE_PGM_RSRC2:TGID_Y_EN: 0
; COMPUTE_PGM_RSRC2:TGID_Z_EN: 0
; COMPUTE_PGM_RSRC2:TIDIG_COMP_CNT: 0
	.section	.text._ZN7rocprim17ROCPRIM_400000_NS6detail17trampoline_kernelINS0_14default_configENS1_29binary_search_config_selectorIjiEEZNS1_14transform_implILb0ES3_S5_N6thrust23THRUST_200600_302600_NS6detail15normal_iteratorINS8_10device_ptrIjEEEENSA_INSB_IiEEEEZNS1_13binary_searchIS3_S5_SD_SD_SF_NS1_16binary_search_opENS9_16wrapped_functionINS0_4lessIvEEbEEEE10hipError_tPvRmT1_T2_T3_mmT4_T5_P12ihipStream_tbEUlRKjE_EESM_SQ_SR_mSS_SV_bEUlT_E_NS1_11comp_targetILNS1_3genE9ELNS1_11target_archE1100ELNS1_3gpuE3ELNS1_3repE0EEENS1_30default_config_static_selectorELNS0_4arch9wavefront6targetE0EEEvSP_,"axG",@progbits,_ZN7rocprim17ROCPRIM_400000_NS6detail17trampoline_kernelINS0_14default_configENS1_29binary_search_config_selectorIjiEEZNS1_14transform_implILb0ES3_S5_N6thrust23THRUST_200600_302600_NS6detail15normal_iteratorINS8_10device_ptrIjEEEENSA_INSB_IiEEEEZNS1_13binary_searchIS3_S5_SD_SD_SF_NS1_16binary_search_opENS9_16wrapped_functionINS0_4lessIvEEbEEEE10hipError_tPvRmT1_T2_T3_mmT4_T5_P12ihipStream_tbEUlRKjE_EESM_SQ_SR_mSS_SV_bEUlT_E_NS1_11comp_targetILNS1_3genE9ELNS1_11target_archE1100ELNS1_3gpuE3ELNS1_3repE0EEENS1_30default_config_static_selectorELNS0_4arch9wavefront6targetE0EEEvSP_,comdat
	.protected	_ZN7rocprim17ROCPRIM_400000_NS6detail17trampoline_kernelINS0_14default_configENS1_29binary_search_config_selectorIjiEEZNS1_14transform_implILb0ES3_S5_N6thrust23THRUST_200600_302600_NS6detail15normal_iteratorINS8_10device_ptrIjEEEENSA_INSB_IiEEEEZNS1_13binary_searchIS3_S5_SD_SD_SF_NS1_16binary_search_opENS9_16wrapped_functionINS0_4lessIvEEbEEEE10hipError_tPvRmT1_T2_T3_mmT4_T5_P12ihipStream_tbEUlRKjE_EESM_SQ_SR_mSS_SV_bEUlT_E_NS1_11comp_targetILNS1_3genE9ELNS1_11target_archE1100ELNS1_3gpuE3ELNS1_3repE0EEENS1_30default_config_static_selectorELNS0_4arch9wavefront6targetE0EEEvSP_ ; -- Begin function _ZN7rocprim17ROCPRIM_400000_NS6detail17trampoline_kernelINS0_14default_configENS1_29binary_search_config_selectorIjiEEZNS1_14transform_implILb0ES3_S5_N6thrust23THRUST_200600_302600_NS6detail15normal_iteratorINS8_10device_ptrIjEEEENSA_INSB_IiEEEEZNS1_13binary_searchIS3_S5_SD_SD_SF_NS1_16binary_search_opENS9_16wrapped_functionINS0_4lessIvEEbEEEE10hipError_tPvRmT1_T2_T3_mmT4_T5_P12ihipStream_tbEUlRKjE_EESM_SQ_SR_mSS_SV_bEUlT_E_NS1_11comp_targetILNS1_3genE9ELNS1_11target_archE1100ELNS1_3gpuE3ELNS1_3repE0EEENS1_30default_config_static_selectorELNS0_4arch9wavefront6targetE0EEEvSP_
	.globl	_ZN7rocprim17ROCPRIM_400000_NS6detail17trampoline_kernelINS0_14default_configENS1_29binary_search_config_selectorIjiEEZNS1_14transform_implILb0ES3_S5_N6thrust23THRUST_200600_302600_NS6detail15normal_iteratorINS8_10device_ptrIjEEEENSA_INSB_IiEEEEZNS1_13binary_searchIS3_S5_SD_SD_SF_NS1_16binary_search_opENS9_16wrapped_functionINS0_4lessIvEEbEEEE10hipError_tPvRmT1_T2_T3_mmT4_T5_P12ihipStream_tbEUlRKjE_EESM_SQ_SR_mSS_SV_bEUlT_E_NS1_11comp_targetILNS1_3genE9ELNS1_11target_archE1100ELNS1_3gpuE3ELNS1_3repE0EEENS1_30default_config_static_selectorELNS0_4arch9wavefront6targetE0EEEvSP_
	.p2align	8
	.type	_ZN7rocprim17ROCPRIM_400000_NS6detail17trampoline_kernelINS0_14default_configENS1_29binary_search_config_selectorIjiEEZNS1_14transform_implILb0ES3_S5_N6thrust23THRUST_200600_302600_NS6detail15normal_iteratorINS8_10device_ptrIjEEEENSA_INSB_IiEEEEZNS1_13binary_searchIS3_S5_SD_SD_SF_NS1_16binary_search_opENS9_16wrapped_functionINS0_4lessIvEEbEEEE10hipError_tPvRmT1_T2_T3_mmT4_T5_P12ihipStream_tbEUlRKjE_EESM_SQ_SR_mSS_SV_bEUlT_E_NS1_11comp_targetILNS1_3genE9ELNS1_11target_archE1100ELNS1_3gpuE3ELNS1_3repE0EEENS1_30default_config_static_selectorELNS0_4arch9wavefront6targetE0EEEvSP_,@function
_ZN7rocprim17ROCPRIM_400000_NS6detail17trampoline_kernelINS0_14default_configENS1_29binary_search_config_selectorIjiEEZNS1_14transform_implILb0ES3_S5_N6thrust23THRUST_200600_302600_NS6detail15normal_iteratorINS8_10device_ptrIjEEEENSA_INSB_IiEEEEZNS1_13binary_searchIS3_S5_SD_SD_SF_NS1_16binary_search_opENS9_16wrapped_functionINS0_4lessIvEEbEEEE10hipError_tPvRmT1_T2_T3_mmT4_T5_P12ihipStream_tbEUlRKjE_EESM_SQ_SR_mSS_SV_bEUlT_E_NS1_11comp_targetILNS1_3genE9ELNS1_11target_archE1100ELNS1_3gpuE3ELNS1_3repE0EEENS1_30default_config_static_selectorELNS0_4arch9wavefront6targetE0EEEvSP_: ; @_ZN7rocprim17ROCPRIM_400000_NS6detail17trampoline_kernelINS0_14default_configENS1_29binary_search_config_selectorIjiEEZNS1_14transform_implILb0ES3_S5_N6thrust23THRUST_200600_302600_NS6detail15normal_iteratorINS8_10device_ptrIjEEEENSA_INSB_IiEEEEZNS1_13binary_searchIS3_S5_SD_SD_SF_NS1_16binary_search_opENS9_16wrapped_functionINS0_4lessIvEEbEEEE10hipError_tPvRmT1_T2_T3_mmT4_T5_P12ihipStream_tbEUlRKjE_EESM_SQ_SR_mSS_SV_bEUlT_E_NS1_11comp_targetILNS1_3genE9ELNS1_11target_archE1100ELNS1_3gpuE3ELNS1_3repE0EEENS1_30default_config_static_selectorELNS0_4arch9wavefront6targetE0EEEvSP_
; %bb.0:
	s_clause 0x3
	s_load_b128 s[16:19], s[0:1], 0x0
	s_load_b128 s[4:7], s[0:1], 0x18
	s_load_b32 s14, s[0:1], 0x38
	s_load_b64 s[8:9], s[0:1], 0x28
	s_waitcnt lgkmcnt(0)
	s_lshl_b64 s[2:3], s[18:19], 2
	s_delay_alu instid0(SALU_CYCLE_1)
	s_add_u32 s12, s16, s2
	s_addc_u32 s13, s17, s3
	s_add_u32 s10, s4, s2
	s_addc_u32 s11, s5, s3
	s_add_i32 s14, s14, -1
	s_lshl_b32 s2, s15, 8
	s_mov_b32 s3, 0
	s_cmp_lg_u32 s15, s14
	s_mov_b32 s4, -1
	s_cbranch_scc0 .LBB472_8
; %bb.1:
	v_lshlrev_b32_e32 v5, 2, v0
	s_lshl_b64 s[4:5], s[2:3], 2
	s_delay_alu instid0(SALU_CYCLE_1) | instskip(SKIP_1) | instid1(VALU_DEP_1)
	s_add_u32 s14, s12, s4
	s_addc_u32 s15, s13, s5
	v_add_co_u32 v1, s14, s14, v5
	s_delay_alu instid0(VALU_DEP_1)
	v_add_co_ci_u32_e64 v2, null, s15, 0, s14
	s_cmp_eq_u64 s[8:9], 0
	flat_load_b32 v6, v[1:2]
	v_mov_b32_e32 v1, 0
	v_mov_b32_e32 v2, 0
	s_cbranch_scc1 .LBB472_5
; %bb.2:
	v_mov_b32_e32 v1, 0
	v_dual_mov_b32 v2, 0 :: v_dual_mov_b32 v3, s8
	v_mov_b32_e32 v4, s9
	s_mov_b32 s14, s3
	.p2align	6
.LBB472_3:                              ; =>This Inner Loop Header: Depth=1
	s_delay_alu instid0(VALU_DEP_2) | instskip(NEXT) | instid1(VALU_DEP_2)
	v_sub_co_u32 v7, vcc_lo, v3, v1
	v_sub_co_ci_u32_e32 v8, vcc_lo, v4, v2, vcc_lo
	s_delay_alu instid0(VALU_DEP_1) | instskip(SKIP_1) | instid1(VALU_DEP_2)
	v_lshrrev_b64 v[9:10], 1, v[7:8]
	v_lshrrev_b64 v[7:8], 6, v[7:8]
	v_add_co_u32 v9, vcc_lo, v9, v1
	s_delay_alu instid0(VALU_DEP_3) | instskip(NEXT) | instid1(VALU_DEP_2)
	v_add_co_ci_u32_e32 v10, vcc_lo, v10, v2, vcc_lo
	v_add_co_u32 v7, vcc_lo, v9, v7
	s_delay_alu instid0(VALU_DEP_2) | instskip(NEXT) | instid1(VALU_DEP_1)
	v_add_co_ci_u32_e32 v8, vcc_lo, v10, v8, vcc_lo
	v_lshlrev_b64 v[9:10], 2, v[7:8]
	s_delay_alu instid0(VALU_DEP_1) | instskip(NEXT) | instid1(VALU_DEP_2)
	v_add_co_u32 v9, vcc_lo, s6, v9
	v_add_co_ci_u32_e32 v10, vcc_lo, s7, v10, vcc_lo
	global_load_b32 v9, v[9:10], off
	v_add_co_u32 v10, vcc_lo, v7, 1
	v_add_co_ci_u32_e32 v11, vcc_lo, 0, v8, vcc_lo
	s_waitcnt vmcnt(0) lgkmcnt(0)
	v_cmp_lt_u32_e32 vcc_lo, v9, v6
	v_dual_cndmask_b32 v4, v8, v4 :: v_dual_cndmask_b32 v3, v7, v3
	s_delay_alu instid0(VALU_DEP_3) | instskip(NEXT) | instid1(VALU_DEP_1)
	v_dual_cndmask_b32 v2, v2, v11 :: v_dual_cndmask_b32 v1, v1, v10
	v_cmp_ge_u64_e32 vcc_lo, v[1:2], v[3:4]
	s_or_b32 s14, vcc_lo, s14
	s_delay_alu instid0(SALU_CYCLE_1)
	s_and_not1_b32 exec_lo, exec_lo, s14
	s_cbranch_execnz .LBB472_3
; %bb.4:
	s_or_b32 exec_lo, exec_lo, s14
.LBB472_5:
	v_mov_b32_e32 v3, 0
	s_mov_b32 s14, exec_lo
	s_delay_alu instid0(VALU_DEP_2)
	v_cmpx_ne_u64_e64 s[8:9], v[1:2]
	s_cbranch_execz .LBB472_7
; %bb.6:
	v_lshlrev_b64 v[1:2], 2, v[1:2]
	s_delay_alu instid0(VALU_DEP_1) | instskip(NEXT) | instid1(VALU_DEP_2)
	v_add_co_u32 v1, vcc_lo, s6, v1
	v_add_co_ci_u32_e32 v2, vcc_lo, s7, v2, vcc_lo
	global_load_b32 v1, v[1:2], off
	s_waitcnt vmcnt(0) lgkmcnt(0)
	v_cmp_le_u32_e32 vcc_lo, v1, v6
	v_cndmask_b32_e64 v3, 0, 1, vcc_lo
.LBB472_7:
	s_or_b32 exec_lo, exec_lo, s14
	s_add_u32 s4, s10, s4
	s_addc_u32 s5, s11, s5
	v_add_co_u32 v1, s4, s4, v5
	s_delay_alu instid0(VALU_DEP_1)
	v_add_co_ci_u32_e64 v2, null, s5, 0, s4
	s_mov_b32 s4, 0
	flat_store_b32 v[1:2], v3
.LBB472_8:
	s_and_b32 vcc_lo, exec_lo, s4
	s_cbranch_vccz .LBB472_13
; %bb.9:
	s_load_b32 s0, s[0:1], 0x10
                                        ; implicit-def: $vgpr5
	s_waitcnt lgkmcnt(0)
	s_sub_i32 s0, s0, s2
	s_delay_alu instid0(SALU_CYCLE_1)
	v_cmp_gt_u32_e32 vcc_lo, s0, v0
	s_and_saveexec_b32 s0, vcc_lo
	s_cbranch_execnz .LBB472_14
; %bb.10:
	s_or_b32 exec_lo, exec_lo, s0
                                        ; implicit-def: $vgpr3
	s_and_saveexec_b32 s1, vcc_lo
	s_cbranch_execnz .LBB472_15
.LBB472_11:
	s_or_b32 exec_lo, exec_lo, s1
	s_and_saveexec_b32 s0, vcc_lo
	s_cbranch_execz .LBB472_13
.LBB472_12:
	v_lshlrev_b32_e32 v0, 2, v0
	s_lshl_b64 s[0:1], s[2:3], 2
	s_delay_alu instid0(SALU_CYCLE_1) | instskip(SKIP_1) | instid1(VALU_DEP_1)
	s_add_u32 s0, s10, s0
	s_addc_u32 s1, s11, s1
	v_add_co_u32 v0, s0, s0, v0
	s_delay_alu instid0(VALU_DEP_1)
	v_add_co_ci_u32_e64 v1, null, s1, 0, s0
	flat_store_b32 v[0:1], v3
.LBB472_13:
	s_endpgm
.LBB472_14:
	v_lshlrev_b32_e32 v1, 2, v0
	s_lshl_b64 s[4:5], s[2:3], 2
	s_delay_alu instid0(SALU_CYCLE_1) | instskip(SKIP_1) | instid1(VALU_DEP_1)
	s_add_u32 s1, s12, s4
	s_addc_u32 s4, s13, s5
	v_add_co_u32 v1, s1, s1, v1
	s_delay_alu instid0(VALU_DEP_1)
	v_add_co_ci_u32_e64 v2, null, s4, 0, s1
	flat_load_b32 v5, v[1:2]
	s_or_b32 exec_lo, exec_lo, s0
                                        ; implicit-def: $vgpr3
	s_and_saveexec_b32 s1, vcc_lo
	s_cbranch_execz .LBB472_11
.LBB472_15:
	v_mov_b32_e32 v1, 0
	v_mov_b32_e32 v2, 0
	s_cmp_eq_u64 s[8:9], 0
	s_cbranch_scc1 .LBB472_19
; %bb.16:
	v_mov_b32_e32 v1, 0
	v_dual_mov_b32 v2, 0 :: v_dual_mov_b32 v3, s8
	v_mov_b32_e32 v4, s9
	s_mov_b32 s4, 0
	s_set_inst_prefetch_distance 0x1
	.p2align	6
.LBB472_17:                             ; =>This Inner Loop Header: Depth=1
	s_waitcnt vmcnt(0)
	v_sub_co_u32 v6, s0, v3, v1
	s_delay_alu instid0(VALU_DEP_1) | instskip(NEXT) | instid1(VALU_DEP_1)
	v_sub_co_ci_u32_e64 v7, s0, v4, v2, s0
	v_lshrrev_b64 v[8:9], 1, v[6:7]
	v_lshrrev_b64 v[6:7], 6, v[6:7]
	s_delay_alu instid0(VALU_DEP_2) | instskip(NEXT) | instid1(VALU_DEP_1)
	v_add_co_u32 v8, s0, v8, v1
	v_add_co_ci_u32_e64 v9, s0, v9, v2, s0
	s_delay_alu instid0(VALU_DEP_2) | instskip(NEXT) | instid1(VALU_DEP_1)
	v_add_co_u32 v6, s0, v8, v6
	v_add_co_ci_u32_e64 v7, s0, v9, v7, s0
	s_delay_alu instid0(VALU_DEP_1) | instskip(NEXT) | instid1(VALU_DEP_1)
	v_lshlrev_b64 v[8:9], 2, v[6:7]
	v_add_co_u32 v8, s0, s6, v8
	s_delay_alu instid0(VALU_DEP_1) | instskip(SKIP_2) | instid1(VALU_DEP_1)
	v_add_co_ci_u32_e64 v9, s0, s7, v9, s0
	global_load_b32 v8, v[8:9], off
	v_add_co_u32 v9, s0, v6, 1
	v_add_co_ci_u32_e64 v10, s0, 0, v7, s0
	s_waitcnt vmcnt(0) lgkmcnt(0)
	v_cmp_lt_u32_e64 s0, v8, v5
	s_delay_alu instid0(VALU_DEP_1) | instskip(SKIP_3) | instid1(VALU_DEP_1)
	v_cndmask_b32_e64 v4, v7, v4, s0
	v_cndmask_b32_e64 v3, v6, v3, s0
	;; [unrolled: 1-line block ×4, first 2 shown]
	v_cmp_ge_u64_e64 s0, v[1:2], v[3:4]
	s_delay_alu instid0(VALU_DEP_1) | instskip(NEXT) | instid1(SALU_CYCLE_1)
	s_or_b32 s4, s0, s4
	s_and_not1_b32 exec_lo, exec_lo, s4
	s_cbranch_execnz .LBB472_17
; %bb.18:
	s_set_inst_prefetch_distance 0x2
	s_or_b32 exec_lo, exec_lo, s4
.LBB472_19:
	v_mov_b32_e32 v3, 0
	s_mov_b32 s4, exec_lo
	v_cmpx_ne_u64_e64 s[8:9], v[1:2]
	s_cbranch_execz .LBB472_21
; %bb.20:
	v_lshlrev_b64 v[1:2], 2, v[1:2]
	s_delay_alu instid0(VALU_DEP_1) | instskip(NEXT) | instid1(VALU_DEP_1)
	v_add_co_u32 v1, s0, s6, v1
	v_add_co_ci_u32_e64 v2, s0, s7, v2, s0
	global_load_b32 v1, v[1:2], off
	s_waitcnt vmcnt(0) lgkmcnt(0)
	v_cmp_le_u32_e64 s0, v1, v5
	s_delay_alu instid0(VALU_DEP_1)
	v_cndmask_b32_e64 v3, 0, 1, s0
.LBB472_21:
	s_or_b32 exec_lo, exec_lo, s4
	s_delay_alu instid0(SALU_CYCLE_1)
	s_or_b32 exec_lo, exec_lo, s1
	s_and_saveexec_b32 s0, vcc_lo
	s_cbranch_execnz .LBB472_12
	s_branch .LBB472_13
	.section	.rodata,"a",@progbits
	.p2align	6, 0x0
	.amdhsa_kernel _ZN7rocprim17ROCPRIM_400000_NS6detail17trampoline_kernelINS0_14default_configENS1_29binary_search_config_selectorIjiEEZNS1_14transform_implILb0ES3_S5_N6thrust23THRUST_200600_302600_NS6detail15normal_iteratorINS8_10device_ptrIjEEEENSA_INSB_IiEEEEZNS1_13binary_searchIS3_S5_SD_SD_SF_NS1_16binary_search_opENS9_16wrapped_functionINS0_4lessIvEEbEEEE10hipError_tPvRmT1_T2_T3_mmT4_T5_P12ihipStream_tbEUlRKjE_EESM_SQ_SR_mSS_SV_bEUlT_E_NS1_11comp_targetILNS1_3genE9ELNS1_11target_archE1100ELNS1_3gpuE3ELNS1_3repE0EEENS1_30default_config_static_selectorELNS0_4arch9wavefront6targetE0EEEvSP_
		.amdhsa_group_segment_fixed_size 0
		.amdhsa_private_segment_fixed_size 0
		.amdhsa_kernarg_size 312
		.amdhsa_user_sgpr_count 15
		.amdhsa_user_sgpr_dispatch_ptr 0
		.amdhsa_user_sgpr_queue_ptr 0
		.amdhsa_user_sgpr_kernarg_segment_ptr 1
		.amdhsa_user_sgpr_dispatch_id 0
		.amdhsa_user_sgpr_private_segment_size 0
		.amdhsa_wavefront_size32 1
		.amdhsa_uses_dynamic_stack 0
		.amdhsa_enable_private_segment 0
		.amdhsa_system_sgpr_workgroup_id_x 1
		.amdhsa_system_sgpr_workgroup_id_y 0
		.amdhsa_system_sgpr_workgroup_id_z 0
		.amdhsa_system_sgpr_workgroup_info 0
		.amdhsa_system_vgpr_workitem_id 0
		.amdhsa_next_free_vgpr 12
		.amdhsa_next_free_sgpr 20
		.amdhsa_reserve_vcc 1
		.amdhsa_float_round_mode_32 0
		.amdhsa_float_round_mode_16_64 0
		.amdhsa_float_denorm_mode_32 3
		.amdhsa_float_denorm_mode_16_64 3
		.amdhsa_dx10_clamp 1
		.amdhsa_ieee_mode 1
		.amdhsa_fp16_overflow 0
		.amdhsa_workgroup_processor_mode 1
		.amdhsa_memory_ordered 1
		.amdhsa_forward_progress 0
		.amdhsa_shared_vgpr_count 0
		.amdhsa_exception_fp_ieee_invalid_op 0
		.amdhsa_exception_fp_denorm_src 0
		.amdhsa_exception_fp_ieee_div_zero 0
		.amdhsa_exception_fp_ieee_overflow 0
		.amdhsa_exception_fp_ieee_underflow 0
		.amdhsa_exception_fp_ieee_inexact 0
		.amdhsa_exception_int_div_zero 0
	.end_amdhsa_kernel
	.section	.text._ZN7rocprim17ROCPRIM_400000_NS6detail17trampoline_kernelINS0_14default_configENS1_29binary_search_config_selectorIjiEEZNS1_14transform_implILb0ES3_S5_N6thrust23THRUST_200600_302600_NS6detail15normal_iteratorINS8_10device_ptrIjEEEENSA_INSB_IiEEEEZNS1_13binary_searchIS3_S5_SD_SD_SF_NS1_16binary_search_opENS9_16wrapped_functionINS0_4lessIvEEbEEEE10hipError_tPvRmT1_T2_T3_mmT4_T5_P12ihipStream_tbEUlRKjE_EESM_SQ_SR_mSS_SV_bEUlT_E_NS1_11comp_targetILNS1_3genE9ELNS1_11target_archE1100ELNS1_3gpuE3ELNS1_3repE0EEENS1_30default_config_static_selectorELNS0_4arch9wavefront6targetE0EEEvSP_,"axG",@progbits,_ZN7rocprim17ROCPRIM_400000_NS6detail17trampoline_kernelINS0_14default_configENS1_29binary_search_config_selectorIjiEEZNS1_14transform_implILb0ES3_S5_N6thrust23THRUST_200600_302600_NS6detail15normal_iteratorINS8_10device_ptrIjEEEENSA_INSB_IiEEEEZNS1_13binary_searchIS3_S5_SD_SD_SF_NS1_16binary_search_opENS9_16wrapped_functionINS0_4lessIvEEbEEEE10hipError_tPvRmT1_T2_T3_mmT4_T5_P12ihipStream_tbEUlRKjE_EESM_SQ_SR_mSS_SV_bEUlT_E_NS1_11comp_targetILNS1_3genE9ELNS1_11target_archE1100ELNS1_3gpuE3ELNS1_3repE0EEENS1_30default_config_static_selectorELNS0_4arch9wavefront6targetE0EEEvSP_,comdat
.Lfunc_end472:
	.size	_ZN7rocprim17ROCPRIM_400000_NS6detail17trampoline_kernelINS0_14default_configENS1_29binary_search_config_selectorIjiEEZNS1_14transform_implILb0ES3_S5_N6thrust23THRUST_200600_302600_NS6detail15normal_iteratorINS8_10device_ptrIjEEEENSA_INSB_IiEEEEZNS1_13binary_searchIS3_S5_SD_SD_SF_NS1_16binary_search_opENS9_16wrapped_functionINS0_4lessIvEEbEEEE10hipError_tPvRmT1_T2_T3_mmT4_T5_P12ihipStream_tbEUlRKjE_EESM_SQ_SR_mSS_SV_bEUlT_E_NS1_11comp_targetILNS1_3genE9ELNS1_11target_archE1100ELNS1_3gpuE3ELNS1_3repE0EEENS1_30default_config_static_selectorELNS0_4arch9wavefront6targetE0EEEvSP_, .Lfunc_end472-_ZN7rocprim17ROCPRIM_400000_NS6detail17trampoline_kernelINS0_14default_configENS1_29binary_search_config_selectorIjiEEZNS1_14transform_implILb0ES3_S5_N6thrust23THRUST_200600_302600_NS6detail15normal_iteratorINS8_10device_ptrIjEEEENSA_INSB_IiEEEEZNS1_13binary_searchIS3_S5_SD_SD_SF_NS1_16binary_search_opENS9_16wrapped_functionINS0_4lessIvEEbEEEE10hipError_tPvRmT1_T2_T3_mmT4_T5_P12ihipStream_tbEUlRKjE_EESM_SQ_SR_mSS_SV_bEUlT_E_NS1_11comp_targetILNS1_3genE9ELNS1_11target_archE1100ELNS1_3gpuE3ELNS1_3repE0EEENS1_30default_config_static_selectorELNS0_4arch9wavefront6targetE0EEEvSP_
                                        ; -- End function
	.section	.AMDGPU.csdata,"",@progbits
; Kernel info:
; codeLenInByte = 988
; NumSgprs: 22
; NumVgprs: 12
; ScratchSize: 0
; MemoryBound: 0
; FloatMode: 240
; IeeeMode: 1
; LDSByteSize: 0 bytes/workgroup (compile time only)
; SGPRBlocks: 2
; VGPRBlocks: 1
; NumSGPRsForWavesPerEU: 22
; NumVGPRsForWavesPerEU: 12
; Occupancy: 16
; WaveLimiterHint : 0
; COMPUTE_PGM_RSRC2:SCRATCH_EN: 0
; COMPUTE_PGM_RSRC2:USER_SGPR: 15
; COMPUTE_PGM_RSRC2:TRAP_HANDLER: 0
; COMPUTE_PGM_RSRC2:TGID_X_EN: 1
; COMPUTE_PGM_RSRC2:TGID_Y_EN: 0
; COMPUTE_PGM_RSRC2:TGID_Z_EN: 0
; COMPUTE_PGM_RSRC2:TIDIG_COMP_CNT: 0
	.section	.text._ZN7rocprim17ROCPRIM_400000_NS6detail17trampoline_kernelINS0_14default_configENS1_29binary_search_config_selectorIjiEEZNS1_14transform_implILb0ES3_S5_N6thrust23THRUST_200600_302600_NS6detail15normal_iteratorINS8_10device_ptrIjEEEENSA_INSB_IiEEEEZNS1_13binary_searchIS3_S5_SD_SD_SF_NS1_16binary_search_opENS9_16wrapped_functionINS0_4lessIvEEbEEEE10hipError_tPvRmT1_T2_T3_mmT4_T5_P12ihipStream_tbEUlRKjE_EESM_SQ_SR_mSS_SV_bEUlT_E_NS1_11comp_targetILNS1_3genE8ELNS1_11target_archE1030ELNS1_3gpuE2ELNS1_3repE0EEENS1_30default_config_static_selectorELNS0_4arch9wavefront6targetE0EEEvSP_,"axG",@progbits,_ZN7rocprim17ROCPRIM_400000_NS6detail17trampoline_kernelINS0_14default_configENS1_29binary_search_config_selectorIjiEEZNS1_14transform_implILb0ES3_S5_N6thrust23THRUST_200600_302600_NS6detail15normal_iteratorINS8_10device_ptrIjEEEENSA_INSB_IiEEEEZNS1_13binary_searchIS3_S5_SD_SD_SF_NS1_16binary_search_opENS9_16wrapped_functionINS0_4lessIvEEbEEEE10hipError_tPvRmT1_T2_T3_mmT4_T5_P12ihipStream_tbEUlRKjE_EESM_SQ_SR_mSS_SV_bEUlT_E_NS1_11comp_targetILNS1_3genE8ELNS1_11target_archE1030ELNS1_3gpuE2ELNS1_3repE0EEENS1_30default_config_static_selectorELNS0_4arch9wavefront6targetE0EEEvSP_,comdat
	.protected	_ZN7rocprim17ROCPRIM_400000_NS6detail17trampoline_kernelINS0_14default_configENS1_29binary_search_config_selectorIjiEEZNS1_14transform_implILb0ES3_S5_N6thrust23THRUST_200600_302600_NS6detail15normal_iteratorINS8_10device_ptrIjEEEENSA_INSB_IiEEEEZNS1_13binary_searchIS3_S5_SD_SD_SF_NS1_16binary_search_opENS9_16wrapped_functionINS0_4lessIvEEbEEEE10hipError_tPvRmT1_T2_T3_mmT4_T5_P12ihipStream_tbEUlRKjE_EESM_SQ_SR_mSS_SV_bEUlT_E_NS1_11comp_targetILNS1_3genE8ELNS1_11target_archE1030ELNS1_3gpuE2ELNS1_3repE0EEENS1_30default_config_static_selectorELNS0_4arch9wavefront6targetE0EEEvSP_ ; -- Begin function _ZN7rocprim17ROCPRIM_400000_NS6detail17trampoline_kernelINS0_14default_configENS1_29binary_search_config_selectorIjiEEZNS1_14transform_implILb0ES3_S5_N6thrust23THRUST_200600_302600_NS6detail15normal_iteratorINS8_10device_ptrIjEEEENSA_INSB_IiEEEEZNS1_13binary_searchIS3_S5_SD_SD_SF_NS1_16binary_search_opENS9_16wrapped_functionINS0_4lessIvEEbEEEE10hipError_tPvRmT1_T2_T3_mmT4_T5_P12ihipStream_tbEUlRKjE_EESM_SQ_SR_mSS_SV_bEUlT_E_NS1_11comp_targetILNS1_3genE8ELNS1_11target_archE1030ELNS1_3gpuE2ELNS1_3repE0EEENS1_30default_config_static_selectorELNS0_4arch9wavefront6targetE0EEEvSP_
	.globl	_ZN7rocprim17ROCPRIM_400000_NS6detail17trampoline_kernelINS0_14default_configENS1_29binary_search_config_selectorIjiEEZNS1_14transform_implILb0ES3_S5_N6thrust23THRUST_200600_302600_NS6detail15normal_iteratorINS8_10device_ptrIjEEEENSA_INSB_IiEEEEZNS1_13binary_searchIS3_S5_SD_SD_SF_NS1_16binary_search_opENS9_16wrapped_functionINS0_4lessIvEEbEEEE10hipError_tPvRmT1_T2_T3_mmT4_T5_P12ihipStream_tbEUlRKjE_EESM_SQ_SR_mSS_SV_bEUlT_E_NS1_11comp_targetILNS1_3genE8ELNS1_11target_archE1030ELNS1_3gpuE2ELNS1_3repE0EEENS1_30default_config_static_selectorELNS0_4arch9wavefront6targetE0EEEvSP_
	.p2align	8
	.type	_ZN7rocprim17ROCPRIM_400000_NS6detail17trampoline_kernelINS0_14default_configENS1_29binary_search_config_selectorIjiEEZNS1_14transform_implILb0ES3_S5_N6thrust23THRUST_200600_302600_NS6detail15normal_iteratorINS8_10device_ptrIjEEEENSA_INSB_IiEEEEZNS1_13binary_searchIS3_S5_SD_SD_SF_NS1_16binary_search_opENS9_16wrapped_functionINS0_4lessIvEEbEEEE10hipError_tPvRmT1_T2_T3_mmT4_T5_P12ihipStream_tbEUlRKjE_EESM_SQ_SR_mSS_SV_bEUlT_E_NS1_11comp_targetILNS1_3genE8ELNS1_11target_archE1030ELNS1_3gpuE2ELNS1_3repE0EEENS1_30default_config_static_selectorELNS0_4arch9wavefront6targetE0EEEvSP_,@function
_ZN7rocprim17ROCPRIM_400000_NS6detail17trampoline_kernelINS0_14default_configENS1_29binary_search_config_selectorIjiEEZNS1_14transform_implILb0ES3_S5_N6thrust23THRUST_200600_302600_NS6detail15normal_iteratorINS8_10device_ptrIjEEEENSA_INSB_IiEEEEZNS1_13binary_searchIS3_S5_SD_SD_SF_NS1_16binary_search_opENS9_16wrapped_functionINS0_4lessIvEEbEEEE10hipError_tPvRmT1_T2_T3_mmT4_T5_P12ihipStream_tbEUlRKjE_EESM_SQ_SR_mSS_SV_bEUlT_E_NS1_11comp_targetILNS1_3genE8ELNS1_11target_archE1030ELNS1_3gpuE2ELNS1_3repE0EEENS1_30default_config_static_selectorELNS0_4arch9wavefront6targetE0EEEvSP_: ; @_ZN7rocprim17ROCPRIM_400000_NS6detail17trampoline_kernelINS0_14default_configENS1_29binary_search_config_selectorIjiEEZNS1_14transform_implILb0ES3_S5_N6thrust23THRUST_200600_302600_NS6detail15normal_iteratorINS8_10device_ptrIjEEEENSA_INSB_IiEEEEZNS1_13binary_searchIS3_S5_SD_SD_SF_NS1_16binary_search_opENS9_16wrapped_functionINS0_4lessIvEEbEEEE10hipError_tPvRmT1_T2_T3_mmT4_T5_P12ihipStream_tbEUlRKjE_EESM_SQ_SR_mSS_SV_bEUlT_E_NS1_11comp_targetILNS1_3genE8ELNS1_11target_archE1030ELNS1_3gpuE2ELNS1_3repE0EEENS1_30default_config_static_selectorELNS0_4arch9wavefront6targetE0EEEvSP_
; %bb.0:
	.section	.rodata,"a",@progbits
	.p2align	6, 0x0
	.amdhsa_kernel _ZN7rocprim17ROCPRIM_400000_NS6detail17trampoline_kernelINS0_14default_configENS1_29binary_search_config_selectorIjiEEZNS1_14transform_implILb0ES3_S5_N6thrust23THRUST_200600_302600_NS6detail15normal_iteratorINS8_10device_ptrIjEEEENSA_INSB_IiEEEEZNS1_13binary_searchIS3_S5_SD_SD_SF_NS1_16binary_search_opENS9_16wrapped_functionINS0_4lessIvEEbEEEE10hipError_tPvRmT1_T2_T3_mmT4_T5_P12ihipStream_tbEUlRKjE_EESM_SQ_SR_mSS_SV_bEUlT_E_NS1_11comp_targetILNS1_3genE8ELNS1_11target_archE1030ELNS1_3gpuE2ELNS1_3repE0EEENS1_30default_config_static_selectorELNS0_4arch9wavefront6targetE0EEEvSP_
		.amdhsa_group_segment_fixed_size 0
		.amdhsa_private_segment_fixed_size 0
		.amdhsa_kernarg_size 56
		.amdhsa_user_sgpr_count 15
		.amdhsa_user_sgpr_dispatch_ptr 0
		.amdhsa_user_sgpr_queue_ptr 0
		.amdhsa_user_sgpr_kernarg_segment_ptr 1
		.amdhsa_user_sgpr_dispatch_id 0
		.amdhsa_user_sgpr_private_segment_size 0
		.amdhsa_wavefront_size32 1
		.amdhsa_uses_dynamic_stack 0
		.amdhsa_enable_private_segment 0
		.amdhsa_system_sgpr_workgroup_id_x 1
		.amdhsa_system_sgpr_workgroup_id_y 0
		.amdhsa_system_sgpr_workgroup_id_z 0
		.amdhsa_system_sgpr_workgroup_info 0
		.amdhsa_system_vgpr_workitem_id 0
		.amdhsa_next_free_vgpr 1
		.amdhsa_next_free_sgpr 1
		.amdhsa_reserve_vcc 0
		.amdhsa_float_round_mode_32 0
		.amdhsa_float_round_mode_16_64 0
		.amdhsa_float_denorm_mode_32 3
		.amdhsa_float_denorm_mode_16_64 3
		.amdhsa_dx10_clamp 1
		.amdhsa_ieee_mode 1
		.amdhsa_fp16_overflow 0
		.amdhsa_workgroup_processor_mode 1
		.amdhsa_memory_ordered 1
		.amdhsa_forward_progress 0
		.amdhsa_shared_vgpr_count 0
		.amdhsa_exception_fp_ieee_invalid_op 0
		.amdhsa_exception_fp_denorm_src 0
		.amdhsa_exception_fp_ieee_div_zero 0
		.amdhsa_exception_fp_ieee_overflow 0
		.amdhsa_exception_fp_ieee_underflow 0
		.amdhsa_exception_fp_ieee_inexact 0
		.amdhsa_exception_int_div_zero 0
	.end_amdhsa_kernel
	.section	.text._ZN7rocprim17ROCPRIM_400000_NS6detail17trampoline_kernelINS0_14default_configENS1_29binary_search_config_selectorIjiEEZNS1_14transform_implILb0ES3_S5_N6thrust23THRUST_200600_302600_NS6detail15normal_iteratorINS8_10device_ptrIjEEEENSA_INSB_IiEEEEZNS1_13binary_searchIS3_S5_SD_SD_SF_NS1_16binary_search_opENS9_16wrapped_functionINS0_4lessIvEEbEEEE10hipError_tPvRmT1_T2_T3_mmT4_T5_P12ihipStream_tbEUlRKjE_EESM_SQ_SR_mSS_SV_bEUlT_E_NS1_11comp_targetILNS1_3genE8ELNS1_11target_archE1030ELNS1_3gpuE2ELNS1_3repE0EEENS1_30default_config_static_selectorELNS0_4arch9wavefront6targetE0EEEvSP_,"axG",@progbits,_ZN7rocprim17ROCPRIM_400000_NS6detail17trampoline_kernelINS0_14default_configENS1_29binary_search_config_selectorIjiEEZNS1_14transform_implILb0ES3_S5_N6thrust23THRUST_200600_302600_NS6detail15normal_iteratorINS8_10device_ptrIjEEEENSA_INSB_IiEEEEZNS1_13binary_searchIS3_S5_SD_SD_SF_NS1_16binary_search_opENS9_16wrapped_functionINS0_4lessIvEEbEEEE10hipError_tPvRmT1_T2_T3_mmT4_T5_P12ihipStream_tbEUlRKjE_EESM_SQ_SR_mSS_SV_bEUlT_E_NS1_11comp_targetILNS1_3genE8ELNS1_11target_archE1030ELNS1_3gpuE2ELNS1_3repE0EEENS1_30default_config_static_selectorELNS0_4arch9wavefront6targetE0EEEvSP_,comdat
.Lfunc_end473:
	.size	_ZN7rocprim17ROCPRIM_400000_NS6detail17trampoline_kernelINS0_14default_configENS1_29binary_search_config_selectorIjiEEZNS1_14transform_implILb0ES3_S5_N6thrust23THRUST_200600_302600_NS6detail15normal_iteratorINS8_10device_ptrIjEEEENSA_INSB_IiEEEEZNS1_13binary_searchIS3_S5_SD_SD_SF_NS1_16binary_search_opENS9_16wrapped_functionINS0_4lessIvEEbEEEE10hipError_tPvRmT1_T2_T3_mmT4_T5_P12ihipStream_tbEUlRKjE_EESM_SQ_SR_mSS_SV_bEUlT_E_NS1_11comp_targetILNS1_3genE8ELNS1_11target_archE1030ELNS1_3gpuE2ELNS1_3repE0EEENS1_30default_config_static_selectorELNS0_4arch9wavefront6targetE0EEEvSP_, .Lfunc_end473-_ZN7rocprim17ROCPRIM_400000_NS6detail17trampoline_kernelINS0_14default_configENS1_29binary_search_config_selectorIjiEEZNS1_14transform_implILb0ES3_S5_N6thrust23THRUST_200600_302600_NS6detail15normal_iteratorINS8_10device_ptrIjEEEENSA_INSB_IiEEEEZNS1_13binary_searchIS3_S5_SD_SD_SF_NS1_16binary_search_opENS9_16wrapped_functionINS0_4lessIvEEbEEEE10hipError_tPvRmT1_T2_T3_mmT4_T5_P12ihipStream_tbEUlRKjE_EESM_SQ_SR_mSS_SV_bEUlT_E_NS1_11comp_targetILNS1_3genE8ELNS1_11target_archE1030ELNS1_3gpuE2ELNS1_3repE0EEENS1_30default_config_static_selectorELNS0_4arch9wavefront6targetE0EEEvSP_
                                        ; -- End function
	.section	.AMDGPU.csdata,"",@progbits
; Kernel info:
; codeLenInByte = 0
; NumSgprs: 0
; NumVgprs: 0
; ScratchSize: 0
; MemoryBound: 0
; FloatMode: 240
; IeeeMode: 1
; LDSByteSize: 0 bytes/workgroup (compile time only)
; SGPRBlocks: 0
; VGPRBlocks: 0
; NumSGPRsForWavesPerEU: 1
; NumVGPRsForWavesPerEU: 1
; Occupancy: 16
; WaveLimiterHint : 0
; COMPUTE_PGM_RSRC2:SCRATCH_EN: 0
; COMPUTE_PGM_RSRC2:USER_SGPR: 15
; COMPUTE_PGM_RSRC2:TRAP_HANDLER: 0
; COMPUTE_PGM_RSRC2:TGID_X_EN: 1
; COMPUTE_PGM_RSRC2:TGID_Y_EN: 0
; COMPUTE_PGM_RSRC2:TGID_Z_EN: 0
; COMPUTE_PGM_RSRC2:TIDIG_COMP_CNT: 0
	.section	.text._ZN7rocprim17ROCPRIM_400000_NS6detail17trampoline_kernelINS0_14default_configENS1_29binary_search_config_selectorItbEEZNS1_14transform_implILb0ES3_S5_N6thrust23THRUST_200600_302600_NS6detail15normal_iteratorINS8_10device_ptrItEEEENSA_INSB_IbEEEEZNS1_13binary_searchIS3_S5_SD_SD_SF_NS1_16binary_search_opENS9_16wrapped_functionINS0_4lessIvEEbEEEE10hipError_tPvRmT1_T2_T3_mmT4_T5_P12ihipStream_tbEUlRKtE_EESM_SQ_SR_mSS_SV_bEUlT_E_NS1_11comp_targetILNS1_3genE0ELNS1_11target_archE4294967295ELNS1_3gpuE0ELNS1_3repE0EEENS1_30default_config_static_selectorELNS0_4arch9wavefront6targetE0EEEvSP_,"axG",@progbits,_ZN7rocprim17ROCPRIM_400000_NS6detail17trampoline_kernelINS0_14default_configENS1_29binary_search_config_selectorItbEEZNS1_14transform_implILb0ES3_S5_N6thrust23THRUST_200600_302600_NS6detail15normal_iteratorINS8_10device_ptrItEEEENSA_INSB_IbEEEEZNS1_13binary_searchIS3_S5_SD_SD_SF_NS1_16binary_search_opENS9_16wrapped_functionINS0_4lessIvEEbEEEE10hipError_tPvRmT1_T2_T3_mmT4_T5_P12ihipStream_tbEUlRKtE_EESM_SQ_SR_mSS_SV_bEUlT_E_NS1_11comp_targetILNS1_3genE0ELNS1_11target_archE4294967295ELNS1_3gpuE0ELNS1_3repE0EEENS1_30default_config_static_selectorELNS0_4arch9wavefront6targetE0EEEvSP_,comdat
	.protected	_ZN7rocprim17ROCPRIM_400000_NS6detail17trampoline_kernelINS0_14default_configENS1_29binary_search_config_selectorItbEEZNS1_14transform_implILb0ES3_S5_N6thrust23THRUST_200600_302600_NS6detail15normal_iteratorINS8_10device_ptrItEEEENSA_INSB_IbEEEEZNS1_13binary_searchIS3_S5_SD_SD_SF_NS1_16binary_search_opENS9_16wrapped_functionINS0_4lessIvEEbEEEE10hipError_tPvRmT1_T2_T3_mmT4_T5_P12ihipStream_tbEUlRKtE_EESM_SQ_SR_mSS_SV_bEUlT_E_NS1_11comp_targetILNS1_3genE0ELNS1_11target_archE4294967295ELNS1_3gpuE0ELNS1_3repE0EEENS1_30default_config_static_selectorELNS0_4arch9wavefront6targetE0EEEvSP_ ; -- Begin function _ZN7rocprim17ROCPRIM_400000_NS6detail17trampoline_kernelINS0_14default_configENS1_29binary_search_config_selectorItbEEZNS1_14transform_implILb0ES3_S5_N6thrust23THRUST_200600_302600_NS6detail15normal_iteratorINS8_10device_ptrItEEEENSA_INSB_IbEEEEZNS1_13binary_searchIS3_S5_SD_SD_SF_NS1_16binary_search_opENS9_16wrapped_functionINS0_4lessIvEEbEEEE10hipError_tPvRmT1_T2_T3_mmT4_T5_P12ihipStream_tbEUlRKtE_EESM_SQ_SR_mSS_SV_bEUlT_E_NS1_11comp_targetILNS1_3genE0ELNS1_11target_archE4294967295ELNS1_3gpuE0ELNS1_3repE0EEENS1_30default_config_static_selectorELNS0_4arch9wavefront6targetE0EEEvSP_
	.globl	_ZN7rocprim17ROCPRIM_400000_NS6detail17trampoline_kernelINS0_14default_configENS1_29binary_search_config_selectorItbEEZNS1_14transform_implILb0ES3_S5_N6thrust23THRUST_200600_302600_NS6detail15normal_iteratorINS8_10device_ptrItEEEENSA_INSB_IbEEEEZNS1_13binary_searchIS3_S5_SD_SD_SF_NS1_16binary_search_opENS9_16wrapped_functionINS0_4lessIvEEbEEEE10hipError_tPvRmT1_T2_T3_mmT4_T5_P12ihipStream_tbEUlRKtE_EESM_SQ_SR_mSS_SV_bEUlT_E_NS1_11comp_targetILNS1_3genE0ELNS1_11target_archE4294967295ELNS1_3gpuE0ELNS1_3repE0EEENS1_30default_config_static_selectorELNS0_4arch9wavefront6targetE0EEEvSP_
	.p2align	8
	.type	_ZN7rocprim17ROCPRIM_400000_NS6detail17trampoline_kernelINS0_14default_configENS1_29binary_search_config_selectorItbEEZNS1_14transform_implILb0ES3_S5_N6thrust23THRUST_200600_302600_NS6detail15normal_iteratorINS8_10device_ptrItEEEENSA_INSB_IbEEEEZNS1_13binary_searchIS3_S5_SD_SD_SF_NS1_16binary_search_opENS9_16wrapped_functionINS0_4lessIvEEbEEEE10hipError_tPvRmT1_T2_T3_mmT4_T5_P12ihipStream_tbEUlRKtE_EESM_SQ_SR_mSS_SV_bEUlT_E_NS1_11comp_targetILNS1_3genE0ELNS1_11target_archE4294967295ELNS1_3gpuE0ELNS1_3repE0EEENS1_30default_config_static_selectorELNS0_4arch9wavefront6targetE0EEEvSP_,@function
_ZN7rocprim17ROCPRIM_400000_NS6detail17trampoline_kernelINS0_14default_configENS1_29binary_search_config_selectorItbEEZNS1_14transform_implILb0ES3_S5_N6thrust23THRUST_200600_302600_NS6detail15normal_iteratorINS8_10device_ptrItEEEENSA_INSB_IbEEEEZNS1_13binary_searchIS3_S5_SD_SD_SF_NS1_16binary_search_opENS9_16wrapped_functionINS0_4lessIvEEbEEEE10hipError_tPvRmT1_T2_T3_mmT4_T5_P12ihipStream_tbEUlRKtE_EESM_SQ_SR_mSS_SV_bEUlT_E_NS1_11comp_targetILNS1_3genE0ELNS1_11target_archE4294967295ELNS1_3gpuE0ELNS1_3repE0EEENS1_30default_config_static_selectorELNS0_4arch9wavefront6targetE0EEEvSP_: ; @_ZN7rocprim17ROCPRIM_400000_NS6detail17trampoline_kernelINS0_14default_configENS1_29binary_search_config_selectorItbEEZNS1_14transform_implILb0ES3_S5_N6thrust23THRUST_200600_302600_NS6detail15normal_iteratorINS8_10device_ptrItEEEENSA_INSB_IbEEEEZNS1_13binary_searchIS3_S5_SD_SD_SF_NS1_16binary_search_opENS9_16wrapped_functionINS0_4lessIvEEbEEEE10hipError_tPvRmT1_T2_T3_mmT4_T5_P12ihipStream_tbEUlRKtE_EESM_SQ_SR_mSS_SV_bEUlT_E_NS1_11comp_targetILNS1_3genE0ELNS1_11target_archE4294967295ELNS1_3gpuE0ELNS1_3repE0EEENS1_30default_config_static_selectorELNS0_4arch9wavefront6targetE0EEEvSP_
; %bb.0:
	.section	.rodata,"a",@progbits
	.p2align	6, 0x0
	.amdhsa_kernel _ZN7rocprim17ROCPRIM_400000_NS6detail17trampoline_kernelINS0_14default_configENS1_29binary_search_config_selectorItbEEZNS1_14transform_implILb0ES3_S5_N6thrust23THRUST_200600_302600_NS6detail15normal_iteratorINS8_10device_ptrItEEEENSA_INSB_IbEEEEZNS1_13binary_searchIS3_S5_SD_SD_SF_NS1_16binary_search_opENS9_16wrapped_functionINS0_4lessIvEEbEEEE10hipError_tPvRmT1_T2_T3_mmT4_T5_P12ihipStream_tbEUlRKtE_EESM_SQ_SR_mSS_SV_bEUlT_E_NS1_11comp_targetILNS1_3genE0ELNS1_11target_archE4294967295ELNS1_3gpuE0ELNS1_3repE0EEENS1_30default_config_static_selectorELNS0_4arch9wavefront6targetE0EEEvSP_
		.amdhsa_group_segment_fixed_size 0
		.amdhsa_private_segment_fixed_size 0
		.amdhsa_kernarg_size 56
		.amdhsa_user_sgpr_count 15
		.amdhsa_user_sgpr_dispatch_ptr 0
		.amdhsa_user_sgpr_queue_ptr 0
		.amdhsa_user_sgpr_kernarg_segment_ptr 1
		.amdhsa_user_sgpr_dispatch_id 0
		.amdhsa_user_sgpr_private_segment_size 0
		.amdhsa_wavefront_size32 1
		.amdhsa_uses_dynamic_stack 0
		.amdhsa_enable_private_segment 0
		.amdhsa_system_sgpr_workgroup_id_x 1
		.amdhsa_system_sgpr_workgroup_id_y 0
		.amdhsa_system_sgpr_workgroup_id_z 0
		.amdhsa_system_sgpr_workgroup_info 0
		.amdhsa_system_vgpr_workitem_id 0
		.amdhsa_next_free_vgpr 1
		.amdhsa_next_free_sgpr 1
		.amdhsa_reserve_vcc 0
		.amdhsa_float_round_mode_32 0
		.amdhsa_float_round_mode_16_64 0
		.amdhsa_float_denorm_mode_32 3
		.amdhsa_float_denorm_mode_16_64 3
		.amdhsa_dx10_clamp 1
		.amdhsa_ieee_mode 1
		.amdhsa_fp16_overflow 0
		.amdhsa_workgroup_processor_mode 1
		.amdhsa_memory_ordered 1
		.amdhsa_forward_progress 0
		.amdhsa_shared_vgpr_count 0
		.amdhsa_exception_fp_ieee_invalid_op 0
		.amdhsa_exception_fp_denorm_src 0
		.amdhsa_exception_fp_ieee_div_zero 0
		.amdhsa_exception_fp_ieee_overflow 0
		.amdhsa_exception_fp_ieee_underflow 0
		.amdhsa_exception_fp_ieee_inexact 0
		.amdhsa_exception_int_div_zero 0
	.end_amdhsa_kernel
	.section	.text._ZN7rocprim17ROCPRIM_400000_NS6detail17trampoline_kernelINS0_14default_configENS1_29binary_search_config_selectorItbEEZNS1_14transform_implILb0ES3_S5_N6thrust23THRUST_200600_302600_NS6detail15normal_iteratorINS8_10device_ptrItEEEENSA_INSB_IbEEEEZNS1_13binary_searchIS3_S5_SD_SD_SF_NS1_16binary_search_opENS9_16wrapped_functionINS0_4lessIvEEbEEEE10hipError_tPvRmT1_T2_T3_mmT4_T5_P12ihipStream_tbEUlRKtE_EESM_SQ_SR_mSS_SV_bEUlT_E_NS1_11comp_targetILNS1_3genE0ELNS1_11target_archE4294967295ELNS1_3gpuE0ELNS1_3repE0EEENS1_30default_config_static_selectorELNS0_4arch9wavefront6targetE0EEEvSP_,"axG",@progbits,_ZN7rocprim17ROCPRIM_400000_NS6detail17trampoline_kernelINS0_14default_configENS1_29binary_search_config_selectorItbEEZNS1_14transform_implILb0ES3_S5_N6thrust23THRUST_200600_302600_NS6detail15normal_iteratorINS8_10device_ptrItEEEENSA_INSB_IbEEEEZNS1_13binary_searchIS3_S5_SD_SD_SF_NS1_16binary_search_opENS9_16wrapped_functionINS0_4lessIvEEbEEEE10hipError_tPvRmT1_T2_T3_mmT4_T5_P12ihipStream_tbEUlRKtE_EESM_SQ_SR_mSS_SV_bEUlT_E_NS1_11comp_targetILNS1_3genE0ELNS1_11target_archE4294967295ELNS1_3gpuE0ELNS1_3repE0EEENS1_30default_config_static_selectorELNS0_4arch9wavefront6targetE0EEEvSP_,comdat
.Lfunc_end474:
	.size	_ZN7rocprim17ROCPRIM_400000_NS6detail17trampoline_kernelINS0_14default_configENS1_29binary_search_config_selectorItbEEZNS1_14transform_implILb0ES3_S5_N6thrust23THRUST_200600_302600_NS6detail15normal_iteratorINS8_10device_ptrItEEEENSA_INSB_IbEEEEZNS1_13binary_searchIS3_S5_SD_SD_SF_NS1_16binary_search_opENS9_16wrapped_functionINS0_4lessIvEEbEEEE10hipError_tPvRmT1_T2_T3_mmT4_T5_P12ihipStream_tbEUlRKtE_EESM_SQ_SR_mSS_SV_bEUlT_E_NS1_11comp_targetILNS1_3genE0ELNS1_11target_archE4294967295ELNS1_3gpuE0ELNS1_3repE0EEENS1_30default_config_static_selectorELNS0_4arch9wavefront6targetE0EEEvSP_, .Lfunc_end474-_ZN7rocprim17ROCPRIM_400000_NS6detail17trampoline_kernelINS0_14default_configENS1_29binary_search_config_selectorItbEEZNS1_14transform_implILb0ES3_S5_N6thrust23THRUST_200600_302600_NS6detail15normal_iteratorINS8_10device_ptrItEEEENSA_INSB_IbEEEEZNS1_13binary_searchIS3_S5_SD_SD_SF_NS1_16binary_search_opENS9_16wrapped_functionINS0_4lessIvEEbEEEE10hipError_tPvRmT1_T2_T3_mmT4_T5_P12ihipStream_tbEUlRKtE_EESM_SQ_SR_mSS_SV_bEUlT_E_NS1_11comp_targetILNS1_3genE0ELNS1_11target_archE4294967295ELNS1_3gpuE0ELNS1_3repE0EEENS1_30default_config_static_selectorELNS0_4arch9wavefront6targetE0EEEvSP_
                                        ; -- End function
	.section	.AMDGPU.csdata,"",@progbits
; Kernel info:
; codeLenInByte = 0
; NumSgprs: 0
; NumVgprs: 0
; ScratchSize: 0
; MemoryBound: 0
; FloatMode: 240
; IeeeMode: 1
; LDSByteSize: 0 bytes/workgroup (compile time only)
; SGPRBlocks: 0
; VGPRBlocks: 0
; NumSGPRsForWavesPerEU: 1
; NumVGPRsForWavesPerEU: 1
; Occupancy: 16
; WaveLimiterHint : 0
; COMPUTE_PGM_RSRC2:SCRATCH_EN: 0
; COMPUTE_PGM_RSRC2:USER_SGPR: 15
; COMPUTE_PGM_RSRC2:TRAP_HANDLER: 0
; COMPUTE_PGM_RSRC2:TGID_X_EN: 1
; COMPUTE_PGM_RSRC2:TGID_Y_EN: 0
; COMPUTE_PGM_RSRC2:TGID_Z_EN: 0
; COMPUTE_PGM_RSRC2:TIDIG_COMP_CNT: 0
	.section	.text._ZN7rocprim17ROCPRIM_400000_NS6detail17trampoline_kernelINS0_14default_configENS1_29binary_search_config_selectorItbEEZNS1_14transform_implILb0ES3_S5_N6thrust23THRUST_200600_302600_NS6detail15normal_iteratorINS8_10device_ptrItEEEENSA_INSB_IbEEEEZNS1_13binary_searchIS3_S5_SD_SD_SF_NS1_16binary_search_opENS9_16wrapped_functionINS0_4lessIvEEbEEEE10hipError_tPvRmT1_T2_T3_mmT4_T5_P12ihipStream_tbEUlRKtE_EESM_SQ_SR_mSS_SV_bEUlT_E_NS1_11comp_targetILNS1_3genE5ELNS1_11target_archE942ELNS1_3gpuE9ELNS1_3repE0EEENS1_30default_config_static_selectorELNS0_4arch9wavefront6targetE0EEEvSP_,"axG",@progbits,_ZN7rocprim17ROCPRIM_400000_NS6detail17trampoline_kernelINS0_14default_configENS1_29binary_search_config_selectorItbEEZNS1_14transform_implILb0ES3_S5_N6thrust23THRUST_200600_302600_NS6detail15normal_iteratorINS8_10device_ptrItEEEENSA_INSB_IbEEEEZNS1_13binary_searchIS3_S5_SD_SD_SF_NS1_16binary_search_opENS9_16wrapped_functionINS0_4lessIvEEbEEEE10hipError_tPvRmT1_T2_T3_mmT4_T5_P12ihipStream_tbEUlRKtE_EESM_SQ_SR_mSS_SV_bEUlT_E_NS1_11comp_targetILNS1_3genE5ELNS1_11target_archE942ELNS1_3gpuE9ELNS1_3repE0EEENS1_30default_config_static_selectorELNS0_4arch9wavefront6targetE0EEEvSP_,comdat
	.protected	_ZN7rocprim17ROCPRIM_400000_NS6detail17trampoline_kernelINS0_14default_configENS1_29binary_search_config_selectorItbEEZNS1_14transform_implILb0ES3_S5_N6thrust23THRUST_200600_302600_NS6detail15normal_iteratorINS8_10device_ptrItEEEENSA_INSB_IbEEEEZNS1_13binary_searchIS3_S5_SD_SD_SF_NS1_16binary_search_opENS9_16wrapped_functionINS0_4lessIvEEbEEEE10hipError_tPvRmT1_T2_T3_mmT4_T5_P12ihipStream_tbEUlRKtE_EESM_SQ_SR_mSS_SV_bEUlT_E_NS1_11comp_targetILNS1_3genE5ELNS1_11target_archE942ELNS1_3gpuE9ELNS1_3repE0EEENS1_30default_config_static_selectorELNS0_4arch9wavefront6targetE0EEEvSP_ ; -- Begin function _ZN7rocprim17ROCPRIM_400000_NS6detail17trampoline_kernelINS0_14default_configENS1_29binary_search_config_selectorItbEEZNS1_14transform_implILb0ES3_S5_N6thrust23THRUST_200600_302600_NS6detail15normal_iteratorINS8_10device_ptrItEEEENSA_INSB_IbEEEEZNS1_13binary_searchIS3_S5_SD_SD_SF_NS1_16binary_search_opENS9_16wrapped_functionINS0_4lessIvEEbEEEE10hipError_tPvRmT1_T2_T3_mmT4_T5_P12ihipStream_tbEUlRKtE_EESM_SQ_SR_mSS_SV_bEUlT_E_NS1_11comp_targetILNS1_3genE5ELNS1_11target_archE942ELNS1_3gpuE9ELNS1_3repE0EEENS1_30default_config_static_selectorELNS0_4arch9wavefront6targetE0EEEvSP_
	.globl	_ZN7rocprim17ROCPRIM_400000_NS6detail17trampoline_kernelINS0_14default_configENS1_29binary_search_config_selectorItbEEZNS1_14transform_implILb0ES3_S5_N6thrust23THRUST_200600_302600_NS6detail15normal_iteratorINS8_10device_ptrItEEEENSA_INSB_IbEEEEZNS1_13binary_searchIS3_S5_SD_SD_SF_NS1_16binary_search_opENS9_16wrapped_functionINS0_4lessIvEEbEEEE10hipError_tPvRmT1_T2_T3_mmT4_T5_P12ihipStream_tbEUlRKtE_EESM_SQ_SR_mSS_SV_bEUlT_E_NS1_11comp_targetILNS1_3genE5ELNS1_11target_archE942ELNS1_3gpuE9ELNS1_3repE0EEENS1_30default_config_static_selectorELNS0_4arch9wavefront6targetE0EEEvSP_
	.p2align	8
	.type	_ZN7rocprim17ROCPRIM_400000_NS6detail17trampoline_kernelINS0_14default_configENS1_29binary_search_config_selectorItbEEZNS1_14transform_implILb0ES3_S5_N6thrust23THRUST_200600_302600_NS6detail15normal_iteratorINS8_10device_ptrItEEEENSA_INSB_IbEEEEZNS1_13binary_searchIS3_S5_SD_SD_SF_NS1_16binary_search_opENS9_16wrapped_functionINS0_4lessIvEEbEEEE10hipError_tPvRmT1_T2_T3_mmT4_T5_P12ihipStream_tbEUlRKtE_EESM_SQ_SR_mSS_SV_bEUlT_E_NS1_11comp_targetILNS1_3genE5ELNS1_11target_archE942ELNS1_3gpuE9ELNS1_3repE0EEENS1_30default_config_static_selectorELNS0_4arch9wavefront6targetE0EEEvSP_,@function
_ZN7rocprim17ROCPRIM_400000_NS6detail17trampoline_kernelINS0_14default_configENS1_29binary_search_config_selectorItbEEZNS1_14transform_implILb0ES3_S5_N6thrust23THRUST_200600_302600_NS6detail15normal_iteratorINS8_10device_ptrItEEEENSA_INSB_IbEEEEZNS1_13binary_searchIS3_S5_SD_SD_SF_NS1_16binary_search_opENS9_16wrapped_functionINS0_4lessIvEEbEEEE10hipError_tPvRmT1_T2_T3_mmT4_T5_P12ihipStream_tbEUlRKtE_EESM_SQ_SR_mSS_SV_bEUlT_E_NS1_11comp_targetILNS1_3genE5ELNS1_11target_archE942ELNS1_3gpuE9ELNS1_3repE0EEENS1_30default_config_static_selectorELNS0_4arch9wavefront6targetE0EEEvSP_: ; @_ZN7rocprim17ROCPRIM_400000_NS6detail17trampoline_kernelINS0_14default_configENS1_29binary_search_config_selectorItbEEZNS1_14transform_implILb0ES3_S5_N6thrust23THRUST_200600_302600_NS6detail15normal_iteratorINS8_10device_ptrItEEEENSA_INSB_IbEEEEZNS1_13binary_searchIS3_S5_SD_SD_SF_NS1_16binary_search_opENS9_16wrapped_functionINS0_4lessIvEEbEEEE10hipError_tPvRmT1_T2_T3_mmT4_T5_P12ihipStream_tbEUlRKtE_EESM_SQ_SR_mSS_SV_bEUlT_E_NS1_11comp_targetILNS1_3genE5ELNS1_11target_archE942ELNS1_3gpuE9ELNS1_3repE0EEENS1_30default_config_static_selectorELNS0_4arch9wavefront6targetE0EEEvSP_
; %bb.0:
	.section	.rodata,"a",@progbits
	.p2align	6, 0x0
	.amdhsa_kernel _ZN7rocprim17ROCPRIM_400000_NS6detail17trampoline_kernelINS0_14default_configENS1_29binary_search_config_selectorItbEEZNS1_14transform_implILb0ES3_S5_N6thrust23THRUST_200600_302600_NS6detail15normal_iteratorINS8_10device_ptrItEEEENSA_INSB_IbEEEEZNS1_13binary_searchIS3_S5_SD_SD_SF_NS1_16binary_search_opENS9_16wrapped_functionINS0_4lessIvEEbEEEE10hipError_tPvRmT1_T2_T3_mmT4_T5_P12ihipStream_tbEUlRKtE_EESM_SQ_SR_mSS_SV_bEUlT_E_NS1_11comp_targetILNS1_3genE5ELNS1_11target_archE942ELNS1_3gpuE9ELNS1_3repE0EEENS1_30default_config_static_selectorELNS0_4arch9wavefront6targetE0EEEvSP_
		.amdhsa_group_segment_fixed_size 0
		.amdhsa_private_segment_fixed_size 0
		.amdhsa_kernarg_size 56
		.amdhsa_user_sgpr_count 15
		.amdhsa_user_sgpr_dispatch_ptr 0
		.amdhsa_user_sgpr_queue_ptr 0
		.amdhsa_user_sgpr_kernarg_segment_ptr 1
		.amdhsa_user_sgpr_dispatch_id 0
		.amdhsa_user_sgpr_private_segment_size 0
		.amdhsa_wavefront_size32 1
		.amdhsa_uses_dynamic_stack 0
		.amdhsa_enable_private_segment 0
		.amdhsa_system_sgpr_workgroup_id_x 1
		.amdhsa_system_sgpr_workgroup_id_y 0
		.amdhsa_system_sgpr_workgroup_id_z 0
		.amdhsa_system_sgpr_workgroup_info 0
		.amdhsa_system_vgpr_workitem_id 0
		.amdhsa_next_free_vgpr 1
		.amdhsa_next_free_sgpr 1
		.amdhsa_reserve_vcc 0
		.amdhsa_float_round_mode_32 0
		.amdhsa_float_round_mode_16_64 0
		.amdhsa_float_denorm_mode_32 3
		.amdhsa_float_denorm_mode_16_64 3
		.amdhsa_dx10_clamp 1
		.amdhsa_ieee_mode 1
		.amdhsa_fp16_overflow 0
		.amdhsa_workgroup_processor_mode 1
		.amdhsa_memory_ordered 1
		.amdhsa_forward_progress 0
		.amdhsa_shared_vgpr_count 0
		.amdhsa_exception_fp_ieee_invalid_op 0
		.amdhsa_exception_fp_denorm_src 0
		.amdhsa_exception_fp_ieee_div_zero 0
		.amdhsa_exception_fp_ieee_overflow 0
		.amdhsa_exception_fp_ieee_underflow 0
		.amdhsa_exception_fp_ieee_inexact 0
		.amdhsa_exception_int_div_zero 0
	.end_amdhsa_kernel
	.section	.text._ZN7rocprim17ROCPRIM_400000_NS6detail17trampoline_kernelINS0_14default_configENS1_29binary_search_config_selectorItbEEZNS1_14transform_implILb0ES3_S5_N6thrust23THRUST_200600_302600_NS6detail15normal_iteratorINS8_10device_ptrItEEEENSA_INSB_IbEEEEZNS1_13binary_searchIS3_S5_SD_SD_SF_NS1_16binary_search_opENS9_16wrapped_functionINS0_4lessIvEEbEEEE10hipError_tPvRmT1_T2_T3_mmT4_T5_P12ihipStream_tbEUlRKtE_EESM_SQ_SR_mSS_SV_bEUlT_E_NS1_11comp_targetILNS1_3genE5ELNS1_11target_archE942ELNS1_3gpuE9ELNS1_3repE0EEENS1_30default_config_static_selectorELNS0_4arch9wavefront6targetE0EEEvSP_,"axG",@progbits,_ZN7rocprim17ROCPRIM_400000_NS6detail17trampoline_kernelINS0_14default_configENS1_29binary_search_config_selectorItbEEZNS1_14transform_implILb0ES3_S5_N6thrust23THRUST_200600_302600_NS6detail15normal_iteratorINS8_10device_ptrItEEEENSA_INSB_IbEEEEZNS1_13binary_searchIS3_S5_SD_SD_SF_NS1_16binary_search_opENS9_16wrapped_functionINS0_4lessIvEEbEEEE10hipError_tPvRmT1_T2_T3_mmT4_T5_P12ihipStream_tbEUlRKtE_EESM_SQ_SR_mSS_SV_bEUlT_E_NS1_11comp_targetILNS1_3genE5ELNS1_11target_archE942ELNS1_3gpuE9ELNS1_3repE0EEENS1_30default_config_static_selectorELNS0_4arch9wavefront6targetE0EEEvSP_,comdat
.Lfunc_end475:
	.size	_ZN7rocprim17ROCPRIM_400000_NS6detail17trampoline_kernelINS0_14default_configENS1_29binary_search_config_selectorItbEEZNS1_14transform_implILb0ES3_S5_N6thrust23THRUST_200600_302600_NS6detail15normal_iteratorINS8_10device_ptrItEEEENSA_INSB_IbEEEEZNS1_13binary_searchIS3_S5_SD_SD_SF_NS1_16binary_search_opENS9_16wrapped_functionINS0_4lessIvEEbEEEE10hipError_tPvRmT1_T2_T3_mmT4_T5_P12ihipStream_tbEUlRKtE_EESM_SQ_SR_mSS_SV_bEUlT_E_NS1_11comp_targetILNS1_3genE5ELNS1_11target_archE942ELNS1_3gpuE9ELNS1_3repE0EEENS1_30default_config_static_selectorELNS0_4arch9wavefront6targetE0EEEvSP_, .Lfunc_end475-_ZN7rocprim17ROCPRIM_400000_NS6detail17trampoline_kernelINS0_14default_configENS1_29binary_search_config_selectorItbEEZNS1_14transform_implILb0ES3_S5_N6thrust23THRUST_200600_302600_NS6detail15normal_iteratorINS8_10device_ptrItEEEENSA_INSB_IbEEEEZNS1_13binary_searchIS3_S5_SD_SD_SF_NS1_16binary_search_opENS9_16wrapped_functionINS0_4lessIvEEbEEEE10hipError_tPvRmT1_T2_T3_mmT4_T5_P12ihipStream_tbEUlRKtE_EESM_SQ_SR_mSS_SV_bEUlT_E_NS1_11comp_targetILNS1_3genE5ELNS1_11target_archE942ELNS1_3gpuE9ELNS1_3repE0EEENS1_30default_config_static_selectorELNS0_4arch9wavefront6targetE0EEEvSP_
                                        ; -- End function
	.section	.AMDGPU.csdata,"",@progbits
; Kernel info:
; codeLenInByte = 0
; NumSgprs: 0
; NumVgprs: 0
; ScratchSize: 0
; MemoryBound: 0
; FloatMode: 240
; IeeeMode: 1
; LDSByteSize: 0 bytes/workgroup (compile time only)
; SGPRBlocks: 0
; VGPRBlocks: 0
; NumSGPRsForWavesPerEU: 1
; NumVGPRsForWavesPerEU: 1
; Occupancy: 16
; WaveLimiterHint : 0
; COMPUTE_PGM_RSRC2:SCRATCH_EN: 0
; COMPUTE_PGM_RSRC2:USER_SGPR: 15
; COMPUTE_PGM_RSRC2:TRAP_HANDLER: 0
; COMPUTE_PGM_RSRC2:TGID_X_EN: 1
; COMPUTE_PGM_RSRC2:TGID_Y_EN: 0
; COMPUTE_PGM_RSRC2:TGID_Z_EN: 0
; COMPUTE_PGM_RSRC2:TIDIG_COMP_CNT: 0
	.section	.text._ZN7rocprim17ROCPRIM_400000_NS6detail17trampoline_kernelINS0_14default_configENS1_29binary_search_config_selectorItbEEZNS1_14transform_implILb0ES3_S5_N6thrust23THRUST_200600_302600_NS6detail15normal_iteratorINS8_10device_ptrItEEEENSA_INSB_IbEEEEZNS1_13binary_searchIS3_S5_SD_SD_SF_NS1_16binary_search_opENS9_16wrapped_functionINS0_4lessIvEEbEEEE10hipError_tPvRmT1_T2_T3_mmT4_T5_P12ihipStream_tbEUlRKtE_EESM_SQ_SR_mSS_SV_bEUlT_E_NS1_11comp_targetILNS1_3genE4ELNS1_11target_archE910ELNS1_3gpuE8ELNS1_3repE0EEENS1_30default_config_static_selectorELNS0_4arch9wavefront6targetE0EEEvSP_,"axG",@progbits,_ZN7rocprim17ROCPRIM_400000_NS6detail17trampoline_kernelINS0_14default_configENS1_29binary_search_config_selectorItbEEZNS1_14transform_implILb0ES3_S5_N6thrust23THRUST_200600_302600_NS6detail15normal_iteratorINS8_10device_ptrItEEEENSA_INSB_IbEEEEZNS1_13binary_searchIS3_S5_SD_SD_SF_NS1_16binary_search_opENS9_16wrapped_functionINS0_4lessIvEEbEEEE10hipError_tPvRmT1_T2_T3_mmT4_T5_P12ihipStream_tbEUlRKtE_EESM_SQ_SR_mSS_SV_bEUlT_E_NS1_11comp_targetILNS1_3genE4ELNS1_11target_archE910ELNS1_3gpuE8ELNS1_3repE0EEENS1_30default_config_static_selectorELNS0_4arch9wavefront6targetE0EEEvSP_,comdat
	.protected	_ZN7rocprim17ROCPRIM_400000_NS6detail17trampoline_kernelINS0_14default_configENS1_29binary_search_config_selectorItbEEZNS1_14transform_implILb0ES3_S5_N6thrust23THRUST_200600_302600_NS6detail15normal_iteratorINS8_10device_ptrItEEEENSA_INSB_IbEEEEZNS1_13binary_searchIS3_S5_SD_SD_SF_NS1_16binary_search_opENS9_16wrapped_functionINS0_4lessIvEEbEEEE10hipError_tPvRmT1_T2_T3_mmT4_T5_P12ihipStream_tbEUlRKtE_EESM_SQ_SR_mSS_SV_bEUlT_E_NS1_11comp_targetILNS1_3genE4ELNS1_11target_archE910ELNS1_3gpuE8ELNS1_3repE0EEENS1_30default_config_static_selectorELNS0_4arch9wavefront6targetE0EEEvSP_ ; -- Begin function _ZN7rocprim17ROCPRIM_400000_NS6detail17trampoline_kernelINS0_14default_configENS1_29binary_search_config_selectorItbEEZNS1_14transform_implILb0ES3_S5_N6thrust23THRUST_200600_302600_NS6detail15normal_iteratorINS8_10device_ptrItEEEENSA_INSB_IbEEEEZNS1_13binary_searchIS3_S5_SD_SD_SF_NS1_16binary_search_opENS9_16wrapped_functionINS0_4lessIvEEbEEEE10hipError_tPvRmT1_T2_T3_mmT4_T5_P12ihipStream_tbEUlRKtE_EESM_SQ_SR_mSS_SV_bEUlT_E_NS1_11comp_targetILNS1_3genE4ELNS1_11target_archE910ELNS1_3gpuE8ELNS1_3repE0EEENS1_30default_config_static_selectorELNS0_4arch9wavefront6targetE0EEEvSP_
	.globl	_ZN7rocprim17ROCPRIM_400000_NS6detail17trampoline_kernelINS0_14default_configENS1_29binary_search_config_selectorItbEEZNS1_14transform_implILb0ES3_S5_N6thrust23THRUST_200600_302600_NS6detail15normal_iteratorINS8_10device_ptrItEEEENSA_INSB_IbEEEEZNS1_13binary_searchIS3_S5_SD_SD_SF_NS1_16binary_search_opENS9_16wrapped_functionINS0_4lessIvEEbEEEE10hipError_tPvRmT1_T2_T3_mmT4_T5_P12ihipStream_tbEUlRKtE_EESM_SQ_SR_mSS_SV_bEUlT_E_NS1_11comp_targetILNS1_3genE4ELNS1_11target_archE910ELNS1_3gpuE8ELNS1_3repE0EEENS1_30default_config_static_selectorELNS0_4arch9wavefront6targetE0EEEvSP_
	.p2align	8
	.type	_ZN7rocprim17ROCPRIM_400000_NS6detail17trampoline_kernelINS0_14default_configENS1_29binary_search_config_selectorItbEEZNS1_14transform_implILb0ES3_S5_N6thrust23THRUST_200600_302600_NS6detail15normal_iteratorINS8_10device_ptrItEEEENSA_INSB_IbEEEEZNS1_13binary_searchIS3_S5_SD_SD_SF_NS1_16binary_search_opENS9_16wrapped_functionINS0_4lessIvEEbEEEE10hipError_tPvRmT1_T2_T3_mmT4_T5_P12ihipStream_tbEUlRKtE_EESM_SQ_SR_mSS_SV_bEUlT_E_NS1_11comp_targetILNS1_3genE4ELNS1_11target_archE910ELNS1_3gpuE8ELNS1_3repE0EEENS1_30default_config_static_selectorELNS0_4arch9wavefront6targetE0EEEvSP_,@function
_ZN7rocprim17ROCPRIM_400000_NS6detail17trampoline_kernelINS0_14default_configENS1_29binary_search_config_selectorItbEEZNS1_14transform_implILb0ES3_S5_N6thrust23THRUST_200600_302600_NS6detail15normal_iteratorINS8_10device_ptrItEEEENSA_INSB_IbEEEEZNS1_13binary_searchIS3_S5_SD_SD_SF_NS1_16binary_search_opENS9_16wrapped_functionINS0_4lessIvEEbEEEE10hipError_tPvRmT1_T2_T3_mmT4_T5_P12ihipStream_tbEUlRKtE_EESM_SQ_SR_mSS_SV_bEUlT_E_NS1_11comp_targetILNS1_3genE4ELNS1_11target_archE910ELNS1_3gpuE8ELNS1_3repE0EEENS1_30default_config_static_selectorELNS0_4arch9wavefront6targetE0EEEvSP_: ; @_ZN7rocprim17ROCPRIM_400000_NS6detail17trampoline_kernelINS0_14default_configENS1_29binary_search_config_selectorItbEEZNS1_14transform_implILb0ES3_S5_N6thrust23THRUST_200600_302600_NS6detail15normal_iteratorINS8_10device_ptrItEEEENSA_INSB_IbEEEEZNS1_13binary_searchIS3_S5_SD_SD_SF_NS1_16binary_search_opENS9_16wrapped_functionINS0_4lessIvEEbEEEE10hipError_tPvRmT1_T2_T3_mmT4_T5_P12ihipStream_tbEUlRKtE_EESM_SQ_SR_mSS_SV_bEUlT_E_NS1_11comp_targetILNS1_3genE4ELNS1_11target_archE910ELNS1_3gpuE8ELNS1_3repE0EEENS1_30default_config_static_selectorELNS0_4arch9wavefront6targetE0EEEvSP_
; %bb.0:
	.section	.rodata,"a",@progbits
	.p2align	6, 0x0
	.amdhsa_kernel _ZN7rocprim17ROCPRIM_400000_NS6detail17trampoline_kernelINS0_14default_configENS1_29binary_search_config_selectorItbEEZNS1_14transform_implILb0ES3_S5_N6thrust23THRUST_200600_302600_NS6detail15normal_iteratorINS8_10device_ptrItEEEENSA_INSB_IbEEEEZNS1_13binary_searchIS3_S5_SD_SD_SF_NS1_16binary_search_opENS9_16wrapped_functionINS0_4lessIvEEbEEEE10hipError_tPvRmT1_T2_T3_mmT4_T5_P12ihipStream_tbEUlRKtE_EESM_SQ_SR_mSS_SV_bEUlT_E_NS1_11comp_targetILNS1_3genE4ELNS1_11target_archE910ELNS1_3gpuE8ELNS1_3repE0EEENS1_30default_config_static_selectorELNS0_4arch9wavefront6targetE0EEEvSP_
		.amdhsa_group_segment_fixed_size 0
		.amdhsa_private_segment_fixed_size 0
		.amdhsa_kernarg_size 56
		.amdhsa_user_sgpr_count 15
		.amdhsa_user_sgpr_dispatch_ptr 0
		.amdhsa_user_sgpr_queue_ptr 0
		.amdhsa_user_sgpr_kernarg_segment_ptr 1
		.amdhsa_user_sgpr_dispatch_id 0
		.amdhsa_user_sgpr_private_segment_size 0
		.amdhsa_wavefront_size32 1
		.amdhsa_uses_dynamic_stack 0
		.amdhsa_enable_private_segment 0
		.amdhsa_system_sgpr_workgroup_id_x 1
		.amdhsa_system_sgpr_workgroup_id_y 0
		.amdhsa_system_sgpr_workgroup_id_z 0
		.amdhsa_system_sgpr_workgroup_info 0
		.amdhsa_system_vgpr_workitem_id 0
		.amdhsa_next_free_vgpr 1
		.amdhsa_next_free_sgpr 1
		.amdhsa_reserve_vcc 0
		.amdhsa_float_round_mode_32 0
		.amdhsa_float_round_mode_16_64 0
		.amdhsa_float_denorm_mode_32 3
		.amdhsa_float_denorm_mode_16_64 3
		.amdhsa_dx10_clamp 1
		.amdhsa_ieee_mode 1
		.amdhsa_fp16_overflow 0
		.amdhsa_workgroup_processor_mode 1
		.amdhsa_memory_ordered 1
		.amdhsa_forward_progress 0
		.amdhsa_shared_vgpr_count 0
		.amdhsa_exception_fp_ieee_invalid_op 0
		.amdhsa_exception_fp_denorm_src 0
		.amdhsa_exception_fp_ieee_div_zero 0
		.amdhsa_exception_fp_ieee_overflow 0
		.amdhsa_exception_fp_ieee_underflow 0
		.amdhsa_exception_fp_ieee_inexact 0
		.amdhsa_exception_int_div_zero 0
	.end_amdhsa_kernel
	.section	.text._ZN7rocprim17ROCPRIM_400000_NS6detail17trampoline_kernelINS0_14default_configENS1_29binary_search_config_selectorItbEEZNS1_14transform_implILb0ES3_S5_N6thrust23THRUST_200600_302600_NS6detail15normal_iteratorINS8_10device_ptrItEEEENSA_INSB_IbEEEEZNS1_13binary_searchIS3_S5_SD_SD_SF_NS1_16binary_search_opENS9_16wrapped_functionINS0_4lessIvEEbEEEE10hipError_tPvRmT1_T2_T3_mmT4_T5_P12ihipStream_tbEUlRKtE_EESM_SQ_SR_mSS_SV_bEUlT_E_NS1_11comp_targetILNS1_3genE4ELNS1_11target_archE910ELNS1_3gpuE8ELNS1_3repE0EEENS1_30default_config_static_selectorELNS0_4arch9wavefront6targetE0EEEvSP_,"axG",@progbits,_ZN7rocprim17ROCPRIM_400000_NS6detail17trampoline_kernelINS0_14default_configENS1_29binary_search_config_selectorItbEEZNS1_14transform_implILb0ES3_S5_N6thrust23THRUST_200600_302600_NS6detail15normal_iteratorINS8_10device_ptrItEEEENSA_INSB_IbEEEEZNS1_13binary_searchIS3_S5_SD_SD_SF_NS1_16binary_search_opENS9_16wrapped_functionINS0_4lessIvEEbEEEE10hipError_tPvRmT1_T2_T3_mmT4_T5_P12ihipStream_tbEUlRKtE_EESM_SQ_SR_mSS_SV_bEUlT_E_NS1_11comp_targetILNS1_3genE4ELNS1_11target_archE910ELNS1_3gpuE8ELNS1_3repE0EEENS1_30default_config_static_selectorELNS0_4arch9wavefront6targetE0EEEvSP_,comdat
.Lfunc_end476:
	.size	_ZN7rocprim17ROCPRIM_400000_NS6detail17trampoline_kernelINS0_14default_configENS1_29binary_search_config_selectorItbEEZNS1_14transform_implILb0ES3_S5_N6thrust23THRUST_200600_302600_NS6detail15normal_iteratorINS8_10device_ptrItEEEENSA_INSB_IbEEEEZNS1_13binary_searchIS3_S5_SD_SD_SF_NS1_16binary_search_opENS9_16wrapped_functionINS0_4lessIvEEbEEEE10hipError_tPvRmT1_T2_T3_mmT4_T5_P12ihipStream_tbEUlRKtE_EESM_SQ_SR_mSS_SV_bEUlT_E_NS1_11comp_targetILNS1_3genE4ELNS1_11target_archE910ELNS1_3gpuE8ELNS1_3repE0EEENS1_30default_config_static_selectorELNS0_4arch9wavefront6targetE0EEEvSP_, .Lfunc_end476-_ZN7rocprim17ROCPRIM_400000_NS6detail17trampoline_kernelINS0_14default_configENS1_29binary_search_config_selectorItbEEZNS1_14transform_implILb0ES3_S5_N6thrust23THRUST_200600_302600_NS6detail15normal_iteratorINS8_10device_ptrItEEEENSA_INSB_IbEEEEZNS1_13binary_searchIS3_S5_SD_SD_SF_NS1_16binary_search_opENS9_16wrapped_functionINS0_4lessIvEEbEEEE10hipError_tPvRmT1_T2_T3_mmT4_T5_P12ihipStream_tbEUlRKtE_EESM_SQ_SR_mSS_SV_bEUlT_E_NS1_11comp_targetILNS1_3genE4ELNS1_11target_archE910ELNS1_3gpuE8ELNS1_3repE0EEENS1_30default_config_static_selectorELNS0_4arch9wavefront6targetE0EEEvSP_
                                        ; -- End function
	.section	.AMDGPU.csdata,"",@progbits
; Kernel info:
; codeLenInByte = 0
; NumSgprs: 0
; NumVgprs: 0
; ScratchSize: 0
; MemoryBound: 0
; FloatMode: 240
; IeeeMode: 1
; LDSByteSize: 0 bytes/workgroup (compile time only)
; SGPRBlocks: 0
; VGPRBlocks: 0
; NumSGPRsForWavesPerEU: 1
; NumVGPRsForWavesPerEU: 1
; Occupancy: 16
; WaveLimiterHint : 0
; COMPUTE_PGM_RSRC2:SCRATCH_EN: 0
; COMPUTE_PGM_RSRC2:USER_SGPR: 15
; COMPUTE_PGM_RSRC2:TRAP_HANDLER: 0
; COMPUTE_PGM_RSRC2:TGID_X_EN: 1
; COMPUTE_PGM_RSRC2:TGID_Y_EN: 0
; COMPUTE_PGM_RSRC2:TGID_Z_EN: 0
; COMPUTE_PGM_RSRC2:TIDIG_COMP_CNT: 0
	.section	.text._ZN7rocprim17ROCPRIM_400000_NS6detail17trampoline_kernelINS0_14default_configENS1_29binary_search_config_selectorItbEEZNS1_14transform_implILb0ES3_S5_N6thrust23THRUST_200600_302600_NS6detail15normal_iteratorINS8_10device_ptrItEEEENSA_INSB_IbEEEEZNS1_13binary_searchIS3_S5_SD_SD_SF_NS1_16binary_search_opENS9_16wrapped_functionINS0_4lessIvEEbEEEE10hipError_tPvRmT1_T2_T3_mmT4_T5_P12ihipStream_tbEUlRKtE_EESM_SQ_SR_mSS_SV_bEUlT_E_NS1_11comp_targetILNS1_3genE3ELNS1_11target_archE908ELNS1_3gpuE7ELNS1_3repE0EEENS1_30default_config_static_selectorELNS0_4arch9wavefront6targetE0EEEvSP_,"axG",@progbits,_ZN7rocprim17ROCPRIM_400000_NS6detail17trampoline_kernelINS0_14default_configENS1_29binary_search_config_selectorItbEEZNS1_14transform_implILb0ES3_S5_N6thrust23THRUST_200600_302600_NS6detail15normal_iteratorINS8_10device_ptrItEEEENSA_INSB_IbEEEEZNS1_13binary_searchIS3_S5_SD_SD_SF_NS1_16binary_search_opENS9_16wrapped_functionINS0_4lessIvEEbEEEE10hipError_tPvRmT1_T2_T3_mmT4_T5_P12ihipStream_tbEUlRKtE_EESM_SQ_SR_mSS_SV_bEUlT_E_NS1_11comp_targetILNS1_3genE3ELNS1_11target_archE908ELNS1_3gpuE7ELNS1_3repE0EEENS1_30default_config_static_selectorELNS0_4arch9wavefront6targetE0EEEvSP_,comdat
	.protected	_ZN7rocprim17ROCPRIM_400000_NS6detail17trampoline_kernelINS0_14default_configENS1_29binary_search_config_selectorItbEEZNS1_14transform_implILb0ES3_S5_N6thrust23THRUST_200600_302600_NS6detail15normal_iteratorINS8_10device_ptrItEEEENSA_INSB_IbEEEEZNS1_13binary_searchIS3_S5_SD_SD_SF_NS1_16binary_search_opENS9_16wrapped_functionINS0_4lessIvEEbEEEE10hipError_tPvRmT1_T2_T3_mmT4_T5_P12ihipStream_tbEUlRKtE_EESM_SQ_SR_mSS_SV_bEUlT_E_NS1_11comp_targetILNS1_3genE3ELNS1_11target_archE908ELNS1_3gpuE7ELNS1_3repE0EEENS1_30default_config_static_selectorELNS0_4arch9wavefront6targetE0EEEvSP_ ; -- Begin function _ZN7rocprim17ROCPRIM_400000_NS6detail17trampoline_kernelINS0_14default_configENS1_29binary_search_config_selectorItbEEZNS1_14transform_implILb0ES3_S5_N6thrust23THRUST_200600_302600_NS6detail15normal_iteratorINS8_10device_ptrItEEEENSA_INSB_IbEEEEZNS1_13binary_searchIS3_S5_SD_SD_SF_NS1_16binary_search_opENS9_16wrapped_functionINS0_4lessIvEEbEEEE10hipError_tPvRmT1_T2_T3_mmT4_T5_P12ihipStream_tbEUlRKtE_EESM_SQ_SR_mSS_SV_bEUlT_E_NS1_11comp_targetILNS1_3genE3ELNS1_11target_archE908ELNS1_3gpuE7ELNS1_3repE0EEENS1_30default_config_static_selectorELNS0_4arch9wavefront6targetE0EEEvSP_
	.globl	_ZN7rocprim17ROCPRIM_400000_NS6detail17trampoline_kernelINS0_14default_configENS1_29binary_search_config_selectorItbEEZNS1_14transform_implILb0ES3_S5_N6thrust23THRUST_200600_302600_NS6detail15normal_iteratorINS8_10device_ptrItEEEENSA_INSB_IbEEEEZNS1_13binary_searchIS3_S5_SD_SD_SF_NS1_16binary_search_opENS9_16wrapped_functionINS0_4lessIvEEbEEEE10hipError_tPvRmT1_T2_T3_mmT4_T5_P12ihipStream_tbEUlRKtE_EESM_SQ_SR_mSS_SV_bEUlT_E_NS1_11comp_targetILNS1_3genE3ELNS1_11target_archE908ELNS1_3gpuE7ELNS1_3repE0EEENS1_30default_config_static_selectorELNS0_4arch9wavefront6targetE0EEEvSP_
	.p2align	8
	.type	_ZN7rocprim17ROCPRIM_400000_NS6detail17trampoline_kernelINS0_14default_configENS1_29binary_search_config_selectorItbEEZNS1_14transform_implILb0ES3_S5_N6thrust23THRUST_200600_302600_NS6detail15normal_iteratorINS8_10device_ptrItEEEENSA_INSB_IbEEEEZNS1_13binary_searchIS3_S5_SD_SD_SF_NS1_16binary_search_opENS9_16wrapped_functionINS0_4lessIvEEbEEEE10hipError_tPvRmT1_T2_T3_mmT4_T5_P12ihipStream_tbEUlRKtE_EESM_SQ_SR_mSS_SV_bEUlT_E_NS1_11comp_targetILNS1_3genE3ELNS1_11target_archE908ELNS1_3gpuE7ELNS1_3repE0EEENS1_30default_config_static_selectorELNS0_4arch9wavefront6targetE0EEEvSP_,@function
_ZN7rocprim17ROCPRIM_400000_NS6detail17trampoline_kernelINS0_14default_configENS1_29binary_search_config_selectorItbEEZNS1_14transform_implILb0ES3_S5_N6thrust23THRUST_200600_302600_NS6detail15normal_iteratorINS8_10device_ptrItEEEENSA_INSB_IbEEEEZNS1_13binary_searchIS3_S5_SD_SD_SF_NS1_16binary_search_opENS9_16wrapped_functionINS0_4lessIvEEbEEEE10hipError_tPvRmT1_T2_T3_mmT4_T5_P12ihipStream_tbEUlRKtE_EESM_SQ_SR_mSS_SV_bEUlT_E_NS1_11comp_targetILNS1_3genE3ELNS1_11target_archE908ELNS1_3gpuE7ELNS1_3repE0EEENS1_30default_config_static_selectorELNS0_4arch9wavefront6targetE0EEEvSP_: ; @_ZN7rocprim17ROCPRIM_400000_NS6detail17trampoline_kernelINS0_14default_configENS1_29binary_search_config_selectorItbEEZNS1_14transform_implILb0ES3_S5_N6thrust23THRUST_200600_302600_NS6detail15normal_iteratorINS8_10device_ptrItEEEENSA_INSB_IbEEEEZNS1_13binary_searchIS3_S5_SD_SD_SF_NS1_16binary_search_opENS9_16wrapped_functionINS0_4lessIvEEbEEEE10hipError_tPvRmT1_T2_T3_mmT4_T5_P12ihipStream_tbEUlRKtE_EESM_SQ_SR_mSS_SV_bEUlT_E_NS1_11comp_targetILNS1_3genE3ELNS1_11target_archE908ELNS1_3gpuE7ELNS1_3repE0EEENS1_30default_config_static_selectorELNS0_4arch9wavefront6targetE0EEEvSP_
; %bb.0:
	.section	.rodata,"a",@progbits
	.p2align	6, 0x0
	.amdhsa_kernel _ZN7rocprim17ROCPRIM_400000_NS6detail17trampoline_kernelINS0_14default_configENS1_29binary_search_config_selectorItbEEZNS1_14transform_implILb0ES3_S5_N6thrust23THRUST_200600_302600_NS6detail15normal_iteratorINS8_10device_ptrItEEEENSA_INSB_IbEEEEZNS1_13binary_searchIS3_S5_SD_SD_SF_NS1_16binary_search_opENS9_16wrapped_functionINS0_4lessIvEEbEEEE10hipError_tPvRmT1_T2_T3_mmT4_T5_P12ihipStream_tbEUlRKtE_EESM_SQ_SR_mSS_SV_bEUlT_E_NS1_11comp_targetILNS1_3genE3ELNS1_11target_archE908ELNS1_3gpuE7ELNS1_3repE0EEENS1_30default_config_static_selectorELNS0_4arch9wavefront6targetE0EEEvSP_
		.amdhsa_group_segment_fixed_size 0
		.amdhsa_private_segment_fixed_size 0
		.amdhsa_kernarg_size 56
		.amdhsa_user_sgpr_count 15
		.amdhsa_user_sgpr_dispatch_ptr 0
		.amdhsa_user_sgpr_queue_ptr 0
		.amdhsa_user_sgpr_kernarg_segment_ptr 1
		.amdhsa_user_sgpr_dispatch_id 0
		.amdhsa_user_sgpr_private_segment_size 0
		.amdhsa_wavefront_size32 1
		.amdhsa_uses_dynamic_stack 0
		.amdhsa_enable_private_segment 0
		.amdhsa_system_sgpr_workgroup_id_x 1
		.amdhsa_system_sgpr_workgroup_id_y 0
		.amdhsa_system_sgpr_workgroup_id_z 0
		.amdhsa_system_sgpr_workgroup_info 0
		.amdhsa_system_vgpr_workitem_id 0
		.amdhsa_next_free_vgpr 1
		.amdhsa_next_free_sgpr 1
		.amdhsa_reserve_vcc 0
		.amdhsa_float_round_mode_32 0
		.amdhsa_float_round_mode_16_64 0
		.amdhsa_float_denorm_mode_32 3
		.amdhsa_float_denorm_mode_16_64 3
		.amdhsa_dx10_clamp 1
		.amdhsa_ieee_mode 1
		.amdhsa_fp16_overflow 0
		.amdhsa_workgroup_processor_mode 1
		.amdhsa_memory_ordered 1
		.amdhsa_forward_progress 0
		.amdhsa_shared_vgpr_count 0
		.amdhsa_exception_fp_ieee_invalid_op 0
		.amdhsa_exception_fp_denorm_src 0
		.amdhsa_exception_fp_ieee_div_zero 0
		.amdhsa_exception_fp_ieee_overflow 0
		.amdhsa_exception_fp_ieee_underflow 0
		.amdhsa_exception_fp_ieee_inexact 0
		.amdhsa_exception_int_div_zero 0
	.end_amdhsa_kernel
	.section	.text._ZN7rocprim17ROCPRIM_400000_NS6detail17trampoline_kernelINS0_14default_configENS1_29binary_search_config_selectorItbEEZNS1_14transform_implILb0ES3_S5_N6thrust23THRUST_200600_302600_NS6detail15normal_iteratorINS8_10device_ptrItEEEENSA_INSB_IbEEEEZNS1_13binary_searchIS3_S5_SD_SD_SF_NS1_16binary_search_opENS9_16wrapped_functionINS0_4lessIvEEbEEEE10hipError_tPvRmT1_T2_T3_mmT4_T5_P12ihipStream_tbEUlRKtE_EESM_SQ_SR_mSS_SV_bEUlT_E_NS1_11comp_targetILNS1_3genE3ELNS1_11target_archE908ELNS1_3gpuE7ELNS1_3repE0EEENS1_30default_config_static_selectorELNS0_4arch9wavefront6targetE0EEEvSP_,"axG",@progbits,_ZN7rocprim17ROCPRIM_400000_NS6detail17trampoline_kernelINS0_14default_configENS1_29binary_search_config_selectorItbEEZNS1_14transform_implILb0ES3_S5_N6thrust23THRUST_200600_302600_NS6detail15normal_iteratorINS8_10device_ptrItEEEENSA_INSB_IbEEEEZNS1_13binary_searchIS3_S5_SD_SD_SF_NS1_16binary_search_opENS9_16wrapped_functionINS0_4lessIvEEbEEEE10hipError_tPvRmT1_T2_T3_mmT4_T5_P12ihipStream_tbEUlRKtE_EESM_SQ_SR_mSS_SV_bEUlT_E_NS1_11comp_targetILNS1_3genE3ELNS1_11target_archE908ELNS1_3gpuE7ELNS1_3repE0EEENS1_30default_config_static_selectorELNS0_4arch9wavefront6targetE0EEEvSP_,comdat
.Lfunc_end477:
	.size	_ZN7rocprim17ROCPRIM_400000_NS6detail17trampoline_kernelINS0_14default_configENS1_29binary_search_config_selectorItbEEZNS1_14transform_implILb0ES3_S5_N6thrust23THRUST_200600_302600_NS6detail15normal_iteratorINS8_10device_ptrItEEEENSA_INSB_IbEEEEZNS1_13binary_searchIS3_S5_SD_SD_SF_NS1_16binary_search_opENS9_16wrapped_functionINS0_4lessIvEEbEEEE10hipError_tPvRmT1_T2_T3_mmT4_T5_P12ihipStream_tbEUlRKtE_EESM_SQ_SR_mSS_SV_bEUlT_E_NS1_11comp_targetILNS1_3genE3ELNS1_11target_archE908ELNS1_3gpuE7ELNS1_3repE0EEENS1_30default_config_static_selectorELNS0_4arch9wavefront6targetE0EEEvSP_, .Lfunc_end477-_ZN7rocprim17ROCPRIM_400000_NS6detail17trampoline_kernelINS0_14default_configENS1_29binary_search_config_selectorItbEEZNS1_14transform_implILb0ES3_S5_N6thrust23THRUST_200600_302600_NS6detail15normal_iteratorINS8_10device_ptrItEEEENSA_INSB_IbEEEEZNS1_13binary_searchIS3_S5_SD_SD_SF_NS1_16binary_search_opENS9_16wrapped_functionINS0_4lessIvEEbEEEE10hipError_tPvRmT1_T2_T3_mmT4_T5_P12ihipStream_tbEUlRKtE_EESM_SQ_SR_mSS_SV_bEUlT_E_NS1_11comp_targetILNS1_3genE3ELNS1_11target_archE908ELNS1_3gpuE7ELNS1_3repE0EEENS1_30default_config_static_selectorELNS0_4arch9wavefront6targetE0EEEvSP_
                                        ; -- End function
	.section	.AMDGPU.csdata,"",@progbits
; Kernel info:
; codeLenInByte = 0
; NumSgprs: 0
; NumVgprs: 0
; ScratchSize: 0
; MemoryBound: 0
; FloatMode: 240
; IeeeMode: 1
; LDSByteSize: 0 bytes/workgroup (compile time only)
; SGPRBlocks: 0
; VGPRBlocks: 0
; NumSGPRsForWavesPerEU: 1
; NumVGPRsForWavesPerEU: 1
; Occupancy: 16
; WaveLimiterHint : 0
; COMPUTE_PGM_RSRC2:SCRATCH_EN: 0
; COMPUTE_PGM_RSRC2:USER_SGPR: 15
; COMPUTE_PGM_RSRC2:TRAP_HANDLER: 0
; COMPUTE_PGM_RSRC2:TGID_X_EN: 1
; COMPUTE_PGM_RSRC2:TGID_Y_EN: 0
; COMPUTE_PGM_RSRC2:TGID_Z_EN: 0
; COMPUTE_PGM_RSRC2:TIDIG_COMP_CNT: 0
	.section	.text._ZN7rocprim17ROCPRIM_400000_NS6detail17trampoline_kernelINS0_14default_configENS1_29binary_search_config_selectorItbEEZNS1_14transform_implILb0ES3_S5_N6thrust23THRUST_200600_302600_NS6detail15normal_iteratorINS8_10device_ptrItEEEENSA_INSB_IbEEEEZNS1_13binary_searchIS3_S5_SD_SD_SF_NS1_16binary_search_opENS9_16wrapped_functionINS0_4lessIvEEbEEEE10hipError_tPvRmT1_T2_T3_mmT4_T5_P12ihipStream_tbEUlRKtE_EESM_SQ_SR_mSS_SV_bEUlT_E_NS1_11comp_targetILNS1_3genE2ELNS1_11target_archE906ELNS1_3gpuE6ELNS1_3repE0EEENS1_30default_config_static_selectorELNS0_4arch9wavefront6targetE0EEEvSP_,"axG",@progbits,_ZN7rocprim17ROCPRIM_400000_NS6detail17trampoline_kernelINS0_14default_configENS1_29binary_search_config_selectorItbEEZNS1_14transform_implILb0ES3_S5_N6thrust23THRUST_200600_302600_NS6detail15normal_iteratorINS8_10device_ptrItEEEENSA_INSB_IbEEEEZNS1_13binary_searchIS3_S5_SD_SD_SF_NS1_16binary_search_opENS9_16wrapped_functionINS0_4lessIvEEbEEEE10hipError_tPvRmT1_T2_T3_mmT4_T5_P12ihipStream_tbEUlRKtE_EESM_SQ_SR_mSS_SV_bEUlT_E_NS1_11comp_targetILNS1_3genE2ELNS1_11target_archE906ELNS1_3gpuE6ELNS1_3repE0EEENS1_30default_config_static_selectorELNS0_4arch9wavefront6targetE0EEEvSP_,comdat
	.protected	_ZN7rocprim17ROCPRIM_400000_NS6detail17trampoline_kernelINS0_14default_configENS1_29binary_search_config_selectorItbEEZNS1_14transform_implILb0ES3_S5_N6thrust23THRUST_200600_302600_NS6detail15normal_iteratorINS8_10device_ptrItEEEENSA_INSB_IbEEEEZNS1_13binary_searchIS3_S5_SD_SD_SF_NS1_16binary_search_opENS9_16wrapped_functionINS0_4lessIvEEbEEEE10hipError_tPvRmT1_T2_T3_mmT4_T5_P12ihipStream_tbEUlRKtE_EESM_SQ_SR_mSS_SV_bEUlT_E_NS1_11comp_targetILNS1_3genE2ELNS1_11target_archE906ELNS1_3gpuE6ELNS1_3repE0EEENS1_30default_config_static_selectorELNS0_4arch9wavefront6targetE0EEEvSP_ ; -- Begin function _ZN7rocprim17ROCPRIM_400000_NS6detail17trampoline_kernelINS0_14default_configENS1_29binary_search_config_selectorItbEEZNS1_14transform_implILb0ES3_S5_N6thrust23THRUST_200600_302600_NS6detail15normal_iteratorINS8_10device_ptrItEEEENSA_INSB_IbEEEEZNS1_13binary_searchIS3_S5_SD_SD_SF_NS1_16binary_search_opENS9_16wrapped_functionINS0_4lessIvEEbEEEE10hipError_tPvRmT1_T2_T3_mmT4_T5_P12ihipStream_tbEUlRKtE_EESM_SQ_SR_mSS_SV_bEUlT_E_NS1_11comp_targetILNS1_3genE2ELNS1_11target_archE906ELNS1_3gpuE6ELNS1_3repE0EEENS1_30default_config_static_selectorELNS0_4arch9wavefront6targetE0EEEvSP_
	.globl	_ZN7rocprim17ROCPRIM_400000_NS6detail17trampoline_kernelINS0_14default_configENS1_29binary_search_config_selectorItbEEZNS1_14transform_implILb0ES3_S5_N6thrust23THRUST_200600_302600_NS6detail15normal_iteratorINS8_10device_ptrItEEEENSA_INSB_IbEEEEZNS1_13binary_searchIS3_S5_SD_SD_SF_NS1_16binary_search_opENS9_16wrapped_functionINS0_4lessIvEEbEEEE10hipError_tPvRmT1_T2_T3_mmT4_T5_P12ihipStream_tbEUlRKtE_EESM_SQ_SR_mSS_SV_bEUlT_E_NS1_11comp_targetILNS1_3genE2ELNS1_11target_archE906ELNS1_3gpuE6ELNS1_3repE0EEENS1_30default_config_static_selectorELNS0_4arch9wavefront6targetE0EEEvSP_
	.p2align	8
	.type	_ZN7rocprim17ROCPRIM_400000_NS6detail17trampoline_kernelINS0_14default_configENS1_29binary_search_config_selectorItbEEZNS1_14transform_implILb0ES3_S5_N6thrust23THRUST_200600_302600_NS6detail15normal_iteratorINS8_10device_ptrItEEEENSA_INSB_IbEEEEZNS1_13binary_searchIS3_S5_SD_SD_SF_NS1_16binary_search_opENS9_16wrapped_functionINS0_4lessIvEEbEEEE10hipError_tPvRmT1_T2_T3_mmT4_T5_P12ihipStream_tbEUlRKtE_EESM_SQ_SR_mSS_SV_bEUlT_E_NS1_11comp_targetILNS1_3genE2ELNS1_11target_archE906ELNS1_3gpuE6ELNS1_3repE0EEENS1_30default_config_static_selectorELNS0_4arch9wavefront6targetE0EEEvSP_,@function
_ZN7rocprim17ROCPRIM_400000_NS6detail17trampoline_kernelINS0_14default_configENS1_29binary_search_config_selectorItbEEZNS1_14transform_implILb0ES3_S5_N6thrust23THRUST_200600_302600_NS6detail15normal_iteratorINS8_10device_ptrItEEEENSA_INSB_IbEEEEZNS1_13binary_searchIS3_S5_SD_SD_SF_NS1_16binary_search_opENS9_16wrapped_functionINS0_4lessIvEEbEEEE10hipError_tPvRmT1_T2_T3_mmT4_T5_P12ihipStream_tbEUlRKtE_EESM_SQ_SR_mSS_SV_bEUlT_E_NS1_11comp_targetILNS1_3genE2ELNS1_11target_archE906ELNS1_3gpuE6ELNS1_3repE0EEENS1_30default_config_static_selectorELNS0_4arch9wavefront6targetE0EEEvSP_: ; @_ZN7rocprim17ROCPRIM_400000_NS6detail17trampoline_kernelINS0_14default_configENS1_29binary_search_config_selectorItbEEZNS1_14transform_implILb0ES3_S5_N6thrust23THRUST_200600_302600_NS6detail15normal_iteratorINS8_10device_ptrItEEEENSA_INSB_IbEEEEZNS1_13binary_searchIS3_S5_SD_SD_SF_NS1_16binary_search_opENS9_16wrapped_functionINS0_4lessIvEEbEEEE10hipError_tPvRmT1_T2_T3_mmT4_T5_P12ihipStream_tbEUlRKtE_EESM_SQ_SR_mSS_SV_bEUlT_E_NS1_11comp_targetILNS1_3genE2ELNS1_11target_archE906ELNS1_3gpuE6ELNS1_3repE0EEENS1_30default_config_static_selectorELNS0_4arch9wavefront6targetE0EEEvSP_
; %bb.0:
	.section	.rodata,"a",@progbits
	.p2align	6, 0x0
	.amdhsa_kernel _ZN7rocprim17ROCPRIM_400000_NS6detail17trampoline_kernelINS0_14default_configENS1_29binary_search_config_selectorItbEEZNS1_14transform_implILb0ES3_S5_N6thrust23THRUST_200600_302600_NS6detail15normal_iteratorINS8_10device_ptrItEEEENSA_INSB_IbEEEEZNS1_13binary_searchIS3_S5_SD_SD_SF_NS1_16binary_search_opENS9_16wrapped_functionINS0_4lessIvEEbEEEE10hipError_tPvRmT1_T2_T3_mmT4_T5_P12ihipStream_tbEUlRKtE_EESM_SQ_SR_mSS_SV_bEUlT_E_NS1_11comp_targetILNS1_3genE2ELNS1_11target_archE906ELNS1_3gpuE6ELNS1_3repE0EEENS1_30default_config_static_selectorELNS0_4arch9wavefront6targetE0EEEvSP_
		.amdhsa_group_segment_fixed_size 0
		.amdhsa_private_segment_fixed_size 0
		.amdhsa_kernarg_size 56
		.amdhsa_user_sgpr_count 15
		.amdhsa_user_sgpr_dispatch_ptr 0
		.amdhsa_user_sgpr_queue_ptr 0
		.amdhsa_user_sgpr_kernarg_segment_ptr 1
		.amdhsa_user_sgpr_dispatch_id 0
		.amdhsa_user_sgpr_private_segment_size 0
		.amdhsa_wavefront_size32 1
		.amdhsa_uses_dynamic_stack 0
		.amdhsa_enable_private_segment 0
		.amdhsa_system_sgpr_workgroup_id_x 1
		.amdhsa_system_sgpr_workgroup_id_y 0
		.amdhsa_system_sgpr_workgroup_id_z 0
		.amdhsa_system_sgpr_workgroup_info 0
		.amdhsa_system_vgpr_workitem_id 0
		.amdhsa_next_free_vgpr 1
		.amdhsa_next_free_sgpr 1
		.amdhsa_reserve_vcc 0
		.amdhsa_float_round_mode_32 0
		.amdhsa_float_round_mode_16_64 0
		.amdhsa_float_denorm_mode_32 3
		.amdhsa_float_denorm_mode_16_64 3
		.amdhsa_dx10_clamp 1
		.amdhsa_ieee_mode 1
		.amdhsa_fp16_overflow 0
		.amdhsa_workgroup_processor_mode 1
		.amdhsa_memory_ordered 1
		.amdhsa_forward_progress 0
		.amdhsa_shared_vgpr_count 0
		.amdhsa_exception_fp_ieee_invalid_op 0
		.amdhsa_exception_fp_denorm_src 0
		.amdhsa_exception_fp_ieee_div_zero 0
		.amdhsa_exception_fp_ieee_overflow 0
		.amdhsa_exception_fp_ieee_underflow 0
		.amdhsa_exception_fp_ieee_inexact 0
		.amdhsa_exception_int_div_zero 0
	.end_amdhsa_kernel
	.section	.text._ZN7rocprim17ROCPRIM_400000_NS6detail17trampoline_kernelINS0_14default_configENS1_29binary_search_config_selectorItbEEZNS1_14transform_implILb0ES3_S5_N6thrust23THRUST_200600_302600_NS6detail15normal_iteratorINS8_10device_ptrItEEEENSA_INSB_IbEEEEZNS1_13binary_searchIS3_S5_SD_SD_SF_NS1_16binary_search_opENS9_16wrapped_functionINS0_4lessIvEEbEEEE10hipError_tPvRmT1_T2_T3_mmT4_T5_P12ihipStream_tbEUlRKtE_EESM_SQ_SR_mSS_SV_bEUlT_E_NS1_11comp_targetILNS1_3genE2ELNS1_11target_archE906ELNS1_3gpuE6ELNS1_3repE0EEENS1_30default_config_static_selectorELNS0_4arch9wavefront6targetE0EEEvSP_,"axG",@progbits,_ZN7rocprim17ROCPRIM_400000_NS6detail17trampoline_kernelINS0_14default_configENS1_29binary_search_config_selectorItbEEZNS1_14transform_implILb0ES3_S5_N6thrust23THRUST_200600_302600_NS6detail15normal_iteratorINS8_10device_ptrItEEEENSA_INSB_IbEEEEZNS1_13binary_searchIS3_S5_SD_SD_SF_NS1_16binary_search_opENS9_16wrapped_functionINS0_4lessIvEEbEEEE10hipError_tPvRmT1_T2_T3_mmT4_T5_P12ihipStream_tbEUlRKtE_EESM_SQ_SR_mSS_SV_bEUlT_E_NS1_11comp_targetILNS1_3genE2ELNS1_11target_archE906ELNS1_3gpuE6ELNS1_3repE0EEENS1_30default_config_static_selectorELNS0_4arch9wavefront6targetE0EEEvSP_,comdat
.Lfunc_end478:
	.size	_ZN7rocprim17ROCPRIM_400000_NS6detail17trampoline_kernelINS0_14default_configENS1_29binary_search_config_selectorItbEEZNS1_14transform_implILb0ES3_S5_N6thrust23THRUST_200600_302600_NS6detail15normal_iteratorINS8_10device_ptrItEEEENSA_INSB_IbEEEEZNS1_13binary_searchIS3_S5_SD_SD_SF_NS1_16binary_search_opENS9_16wrapped_functionINS0_4lessIvEEbEEEE10hipError_tPvRmT1_T2_T3_mmT4_T5_P12ihipStream_tbEUlRKtE_EESM_SQ_SR_mSS_SV_bEUlT_E_NS1_11comp_targetILNS1_3genE2ELNS1_11target_archE906ELNS1_3gpuE6ELNS1_3repE0EEENS1_30default_config_static_selectorELNS0_4arch9wavefront6targetE0EEEvSP_, .Lfunc_end478-_ZN7rocprim17ROCPRIM_400000_NS6detail17trampoline_kernelINS0_14default_configENS1_29binary_search_config_selectorItbEEZNS1_14transform_implILb0ES3_S5_N6thrust23THRUST_200600_302600_NS6detail15normal_iteratorINS8_10device_ptrItEEEENSA_INSB_IbEEEEZNS1_13binary_searchIS3_S5_SD_SD_SF_NS1_16binary_search_opENS9_16wrapped_functionINS0_4lessIvEEbEEEE10hipError_tPvRmT1_T2_T3_mmT4_T5_P12ihipStream_tbEUlRKtE_EESM_SQ_SR_mSS_SV_bEUlT_E_NS1_11comp_targetILNS1_3genE2ELNS1_11target_archE906ELNS1_3gpuE6ELNS1_3repE0EEENS1_30default_config_static_selectorELNS0_4arch9wavefront6targetE0EEEvSP_
                                        ; -- End function
	.section	.AMDGPU.csdata,"",@progbits
; Kernel info:
; codeLenInByte = 0
; NumSgprs: 0
; NumVgprs: 0
; ScratchSize: 0
; MemoryBound: 0
; FloatMode: 240
; IeeeMode: 1
; LDSByteSize: 0 bytes/workgroup (compile time only)
; SGPRBlocks: 0
; VGPRBlocks: 0
; NumSGPRsForWavesPerEU: 1
; NumVGPRsForWavesPerEU: 1
; Occupancy: 16
; WaveLimiterHint : 0
; COMPUTE_PGM_RSRC2:SCRATCH_EN: 0
; COMPUTE_PGM_RSRC2:USER_SGPR: 15
; COMPUTE_PGM_RSRC2:TRAP_HANDLER: 0
; COMPUTE_PGM_RSRC2:TGID_X_EN: 1
; COMPUTE_PGM_RSRC2:TGID_Y_EN: 0
; COMPUTE_PGM_RSRC2:TGID_Z_EN: 0
; COMPUTE_PGM_RSRC2:TIDIG_COMP_CNT: 0
	.section	.text._ZN7rocprim17ROCPRIM_400000_NS6detail17trampoline_kernelINS0_14default_configENS1_29binary_search_config_selectorItbEEZNS1_14transform_implILb0ES3_S5_N6thrust23THRUST_200600_302600_NS6detail15normal_iteratorINS8_10device_ptrItEEEENSA_INSB_IbEEEEZNS1_13binary_searchIS3_S5_SD_SD_SF_NS1_16binary_search_opENS9_16wrapped_functionINS0_4lessIvEEbEEEE10hipError_tPvRmT1_T2_T3_mmT4_T5_P12ihipStream_tbEUlRKtE_EESM_SQ_SR_mSS_SV_bEUlT_E_NS1_11comp_targetILNS1_3genE10ELNS1_11target_archE1201ELNS1_3gpuE5ELNS1_3repE0EEENS1_30default_config_static_selectorELNS0_4arch9wavefront6targetE0EEEvSP_,"axG",@progbits,_ZN7rocprim17ROCPRIM_400000_NS6detail17trampoline_kernelINS0_14default_configENS1_29binary_search_config_selectorItbEEZNS1_14transform_implILb0ES3_S5_N6thrust23THRUST_200600_302600_NS6detail15normal_iteratorINS8_10device_ptrItEEEENSA_INSB_IbEEEEZNS1_13binary_searchIS3_S5_SD_SD_SF_NS1_16binary_search_opENS9_16wrapped_functionINS0_4lessIvEEbEEEE10hipError_tPvRmT1_T2_T3_mmT4_T5_P12ihipStream_tbEUlRKtE_EESM_SQ_SR_mSS_SV_bEUlT_E_NS1_11comp_targetILNS1_3genE10ELNS1_11target_archE1201ELNS1_3gpuE5ELNS1_3repE0EEENS1_30default_config_static_selectorELNS0_4arch9wavefront6targetE0EEEvSP_,comdat
	.protected	_ZN7rocprim17ROCPRIM_400000_NS6detail17trampoline_kernelINS0_14default_configENS1_29binary_search_config_selectorItbEEZNS1_14transform_implILb0ES3_S5_N6thrust23THRUST_200600_302600_NS6detail15normal_iteratorINS8_10device_ptrItEEEENSA_INSB_IbEEEEZNS1_13binary_searchIS3_S5_SD_SD_SF_NS1_16binary_search_opENS9_16wrapped_functionINS0_4lessIvEEbEEEE10hipError_tPvRmT1_T2_T3_mmT4_T5_P12ihipStream_tbEUlRKtE_EESM_SQ_SR_mSS_SV_bEUlT_E_NS1_11comp_targetILNS1_3genE10ELNS1_11target_archE1201ELNS1_3gpuE5ELNS1_3repE0EEENS1_30default_config_static_selectorELNS0_4arch9wavefront6targetE0EEEvSP_ ; -- Begin function _ZN7rocprim17ROCPRIM_400000_NS6detail17trampoline_kernelINS0_14default_configENS1_29binary_search_config_selectorItbEEZNS1_14transform_implILb0ES3_S5_N6thrust23THRUST_200600_302600_NS6detail15normal_iteratorINS8_10device_ptrItEEEENSA_INSB_IbEEEEZNS1_13binary_searchIS3_S5_SD_SD_SF_NS1_16binary_search_opENS9_16wrapped_functionINS0_4lessIvEEbEEEE10hipError_tPvRmT1_T2_T3_mmT4_T5_P12ihipStream_tbEUlRKtE_EESM_SQ_SR_mSS_SV_bEUlT_E_NS1_11comp_targetILNS1_3genE10ELNS1_11target_archE1201ELNS1_3gpuE5ELNS1_3repE0EEENS1_30default_config_static_selectorELNS0_4arch9wavefront6targetE0EEEvSP_
	.globl	_ZN7rocprim17ROCPRIM_400000_NS6detail17trampoline_kernelINS0_14default_configENS1_29binary_search_config_selectorItbEEZNS1_14transform_implILb0ES3_S5_N6thrust23THRUST_200600_302600_NS6detail15normal_iteratorINS8_10device_ptrItEEEENSA_INSB_IbEEEEZNS1_13binary_searchIS3_S5_SD_SD_SF_NS1_16binary_search_opENS9_16wrapped_functionINS0_4lessIvEEbEEEE10hipError_tPvRmT1_T2_T3_mmT4_T5_P12ihipStream_tbEUlRKtE_EESM_SQ_SR_mSS_SV_bEUlT_E_NS1_11comp_targetILNS1_3genE10ELNS1_11target_archE1201ELNS1_3gpuE5ELNS1_3repE0EEENS1_30default_config_static_selectorELNS0_4arch9wavefront6targetE0EEEvSP_
	.p2align	8
	.type	_ZN7rocprim17ROCPRIM_400000_NS6detail17trampoline_kernelINS0_14default_configENS1_29binary_search_config_selectorItbEEZNS1_14transform_implILb0ES3_S5_N6thrust23THRUST_200600_302600_NS6detail15normal_iteratorINS8_10device_ptrItEEEENSA_INSB_IbEEEEZNS1_13binary_searchIS3_S5_SD_SD_SF_NS1_16binary_search_opENS9_16wrapped_functionINS0_4lessIvEEbEEEE10hipError_tPvRmT1_T2_T3_mmT4_T5_P12ihipStream_tbEUlRKtE_EESM_SQ_SR_mSS_SV_bEUlT_E_NS1_11comp_targetILNS1_3genE10ELNS1_11target_archE1201ELNS1_3gpuE5ELNS1_3repE0EEENS1_30default_config_static_selectorELNS0_4arch9wavefront6targetE0EEEvSP_,@function
_ZN7rocprim17ROCPRIM_400000_NS6detail17trampoline_kernelINS0_14default_configENS1_29binary_search_config_selectorItbEEZNS1_14transform_implILb0ES3_S5_N6thrust23THRUST_200600_302600_NS6detail15normal_iteratorINS8_10device_ptrItEEEENSA_INSB_IbEEEEZNS1_13binary_searchIS3_S5_SD_SD_SF_NS1_16binary_search_opENS9_16wrapped_functionINS0_4lessIvEEbEEEE10hipError_tPvRmT1_T2_T3_mmT4_T5_P12ihipStream_tbEUlRKtE_EESM_SQ_SR_mSS_SV_bEUlT_E_NS1_11comp_targetILNS1_3genE10ELNS1_11target_archE1201ELNS1_3gpuE5ELNS1_3repE0EEENS1_30default_config_static_selectorELNS0_4arch9wavefront6targetE0EEEvSP_: ; @_ZN7rocprim17ROCPRIM_400000_NS6detail17trampoline_kernelINS0_14default_configENS1_29binary_search_config_selectorItbEEZNS1_14transform_implILb0ES3_S5_N6thrust23THRUST_200600_302600_NS6detail15normal_iteratorINS8_10device_ptrItEEEENSA_INSB_IbEEEEZNS1_13binary_searchIS3_S5_SD_SD_SF_NS1_16binary_search_opENS9_16wrapped_functionINS0_4lessIvEEbEEEE10hipError_tPvRmT1_T2_T3_mmT4_T5_P12ihipStream_tbEUlRKtE_EESM_SQ_SR_mSS_SV_bEUlT_E_NS1_11comp_targetILNS1_3genE10ELNS1_11target_archE1201ELNS1_3gpuE5ELNS1_3repE0EEENS1_30default_config_static_selectorELNS0_4arch9wavefront6targetE0EEEvSP_
; %bb.0:
	.section	.rodata,"a",@progbits
	.p2align	6, 0x0
	.amdhsa_kernel _ZN7rocprim17ROCPRIM_400000_NS6detail17trampoline_kernelINS0_14default_configENS1_29binary_search_config_selectorItbEEZNS1_14transform_implILb0ES3_S5_N6thrust23THRUST_200600_302600_NS6detail15normal_iteratorINS8_10device_ptrItEEEENSA_INSB_IbEEEEZNS1_13binary_searchIS3_S5_SD_SD_SF_NS1_16binary_search_opENS9_16wrapped_functionINS0_4lessIvEEbEEEE10hipError_tPvRmT1_T2_T3_mmT4_T5_P12ihipStream_tbEUlRKtE_EESM_SQ_SR_mSS_SV_bEUlT_E_NS1_11comp_targetILNS1_3genE10ELNS1_11target_archE1201ELNS1_3gpuE5ELNS1_3repE0EEENS1_30default_config_static_selectorELNS0_4arch9wavefront6targetE0EEEvSP_
		.amdhsa_group_segment_fixed_size 0
		.amdhsa_private_segment_fixed_size 0
		.amdhsa_kernarg_size 56
		.amdhsa_user_sgpr_count 15
		.amdhsa_user_sgpr_dispatch_ptr 0
		.amdhsa_user_sgpr_queue_ptr 0
		.amdhsa_user_sgpr_kernarg_segment_ptr 1
		.amdhsa_user_sgpr_dispatch_id 0
		.amdhsa_user_sgpr_private_segment_size 0
		.amdhsa_wavefront_size32 1
		.amdhsa_uses_dynamic_stack 0
		.amdhsa_enable_private_segment 0
		.amdhsa_system_sgpr_workgroup_id_x 1
		.amdhsa_system_sgpr_workgroup_id_y 0
		.amdhsa_system_sgpr_workgroup_id_z 0
		.amdhsa_system_sgpr_workgroup_info 0
		.amdhsa_system_vgpr_workitem_id 0
		.amdhsa_next_free_vgpr 1
		.amdhsa_next_free_sgpr 1
		.amdhsa_reserve_vcc 0
		.amdhsa_float_round_mode_32 0
		.amdhsa_float_round_mode_16_64 0
		.amdhsa_float_denorm_mode_32 3
		.amdhsa_float_denorm_mode_16_64 3
		.amdhsa_dx10_clamp 1
		.amdhsa_ieee_mode 1
		.amdhsa_fp16_overflow 0
		.amdhsa_workgroup_processor_mode 1
		.amdhsa_memory_ordered 1
		.amdhsa_forward_progress 0
		.amdhsa_shared_vgpr_count 0
		.amdhsa_exception_fp_ieee_invalid_op 0
		.amdhsa_exception_fp_denorm_src 0
		.amdhsa_exception_fp_ieee_div_zero 0
		.amdhsa_exception_fp_ieee_overflow 0
		.amdhsa_exception_fp_ieee_underflow 0
		.amdhsa_exception_fp_ieee_inexact 0
		.amdhsa_exception_int_div_zero 0
	.end_amdhsa_kernel
	.section	.text._ZN7rocprim17ROCPRIM_400000_NS6detail17trampoline_kernelINS0_14default_configENS1_29binary_search_config_selectorItbEEZNS1_14transform_implILb0ES3_S5_N6thrust23THRUST_200600_302600_NS6detail15normal_iteratorINS8_10device_ptrItEEEENSA_INSB_IbEEEEZNS1_13binary_searchIS3_S5_SD_SD_SF_NS1_16binary_search_opENS9_16wrapped_functionINS0_4lessIvEEbEEEE10hipError_tPvRmT1_T2_T3_mmT4_T5_P12ihipStream_tbEUlRKtE_EESM_SQ_SR_mSS_SV_bEUlT_E_NS1_11comp_targetILNS1_3genE10ELNS1_11target_archE1201ELNS1_3gpuE5ELNS1_3repE0EEENS1_30default_config_static_selectorELNS0_4arch9wavefront6targetE0EEEvSP_,"axG",@progbits,_ZN7rocprim17ROCPRIM_400000_NS6detail17trampoline_kernelINS0_14default_configENS1_29binary_search_config_selectorItbEEZNS1_14transform_implILb0ES3_S5_N6thrust23THRUST_200600_302600_NS6detail15normal_iteratorINS8_10device_ptrItEEEENSA_INSB_IbEEEEZNS1_13binary_searchIS3_S5_SD_SD_SF_NS1_16binary_search_opENS9_16wrapped_functionINS0_4lessIvEEbEEEE10hipError_tPvRmT1_T2_T3_mmT4_T5_P12ihipStream_tbEUlRKtE_EESM_SQ_SR_mSS_SV_bEUlT_E_NS1_11comp_targetILNS1_3genE10ELNS1_11target_archE1201ELNS1_3gpuE5ELNS1_3repE0EEENS1_30default_config_static_selectorELNS0_4arch9wavefront6targetE0EEEvSP_,comdat
.Lfunc_end479:
	.size	_ZN7rocprim17ROCPRIM_400000_NS6detail17trampoline_kernelINS0_14default_configENS1_29binary_search_config_selectorItbEEZNS1_14transform_implILb0ES3_S5_N6thrust23THRUST_200600_302600_NS6detail15normal_iteratorINS8_10device_ptrItEEEENSA_INSB_IbEEEEZNS1_13binary_searchIS3_S5_SD_SD_SF_NS1_16binary_search_opENS9_16wrapped_functionINS0_4lessIvEEbEEEE10hipError_tPvRmT1_T2_T3_mmT4_T5_P12ihipStream_tbEUlRKtE_EESM_SQ_SR_mSS_SV_bEUlT_E_NS1_11comp_targetILNS1_3genE10ELNS1_11target_archE1201ELNS1_3gpuE5ELNS1_3repE0EEENS1_30default_config_static_selectorELNS0_4arch9wavefront6targetE0EEEvSP_, .Lfunc_end479-_ZN7rocprim17ROCPRIM_400000_NS6detail17trampoline_kernelINS0_14default_configENS1_29binary_search_config_selectorItbEEZNS1_14transform_implILb0ES3_S5_N6thrust23THRUST_200600_302600_NS6detail15normal_iteratorINS8_10device_ptrItEEEENSA_INSB_IbEEEEZNS1_13binary_searchIS3_S5_SD_SD_SF_NS1_16binary_search_opENS9_16wrapped_functionINS0_4lessIvEEbEEEE10hipError_tPvRmT1_T2_T3_mmT4_T5_P12ihipStream_tbEUlRKtE_EESM_SQ_SR_mSS_SV_bEUlT_E_NS1_11comp_targetILNS1_3genE10ELNS1_11target_archE1201ELNS1_3gpuE5ELNS1_3repE0EEENS1_30default_config_static_selectorELNS0_4arch9wavefront6targetE0EEEvSP_
                                        ; -- End function
	.section	.AMDGPU.csdata,"",@progbits
; Kernel info:
; codeLenInByte = 0
; NumSgprs: 0
; NumVgprs: 0
; ScratchSize: 0
; MemoryBound: 0
; FloatMode: 240
; IeeeMode: 1
; LDSByteSize: 0 bytes/workgroup (compile time only)
; SGPRBlocks: 0
; VGPRBlocks: 0
; NumSGPRsForWavesPerEU: 1
; NumVGPRsForWavesPerEU: 1
; Occupancy: 16
; WaveLimiterHint : 0
; COMPUTE_PGM_RSRC2:SCRATCH_EN: 0
; COMPUTE_PGM_RSRC2:USER_SGPR: 15
; COMPUTE_PGM_RSRC2:TRAP_HANDLER: 0
; COMPUTE_PGM_RSRC2:TGID_X_EN: 1
; COMPUTE_PGM_RSRC2:TGID_Y_EN: 0
; COMPUTE_PGM_RSRC2:TGID_Z_EN: 0
; COMPUTE_PGM_RSRC2:TIDIG_COMP_CNT: 0
	.section	.text._ZN7rocprim17ROCPRIM_400000_NS6detail17trampoline_kernelINS0_14default_configENS1_29binary_search_config_selectorItbEEZNS1_14transform_implILb0ES3_S5_N6thrust23THRUST_200600_302600_NS6detail15normal_iteratorINS8_10device_ptrItEEEENSA_INSB_IbEEEEZNS1_13binary_searchIS3_S5_SD_SD_SF_NS1_16binary_search_opENS9_16wrapped_functionINS0_4lessIvEEbEEEE10hipError_tPvRmT1_T2_T3_mmT4_T5_P12ihipStream_tbEUlRKtE_EESM_SQ_SR_mSS_SV_bEUlT_E_NS1_11comp_targetILNS1_3genE10ELNS1_11target_archE1200ELNS1_3gpuE4ELNS1_3repE0EEENS1_30default_config_static_selectorELNS0_4arch9wavefront6targetE0EEEvSP_,"axG",@progbits,_ZN7rocprim17ROCPRIM_400000_NS6detail17trampoline_kernelINS0_14default_configENS1_29binary_search_config_selectorItbEEZNS1_14transform_implILb0ES3_S5_N6thrust23THRUST_200600_302600_NS6detail15normal_iteratorINS8_10device_ptrItEEEENSA_INSB_IbEEEEZNS1_13binary_searchIS3_S5_SD_SD_SF_NS1_16binary_search_opENS9_16wrapped_functionINS0_4lessIvEEbEEEE10hipError_tPvRmT1_T2_T3_mmT4_T5_P12ihipStream_tbEUlRKtE_EESM_SQ_SR_mSS_SV_bEUlT_E_NS1_11comp_targetILNS1_3genE10ELNS1_11target_archE1200ELNS1_3gpuE4ELNS1_3repE0EEENS1_30default_config_static_selectorELNS0_4arch9wavefront6targetE0EEEvSP_,comdat
	.protected	_ZN7rocprim17ROCPRIM_400000_NS6detail17trampoline_kernelINS0_14default_configENS1_29binary_search_config_selectorItbEEZNS1_14transform_implILb0ES3_S5_N6thrust23THRUST_200600_302600_NS6detail15normal_iteratorINS8_10device_ptrItEEEENSA_INSB_IbEEEEZNS1_13binary_searchIS3_S5_SD_SD_SF_NS1_16binary_search_opENS9_16wrapped_functionINS0_4lessIvEEbEEEE10hipError_tPvRmT1_T2_T3_mmT4_T5_P12ihipStream_tbEUlRKtE_EESM_SQ_SR_mSS_SV_bEUlT_E_NS1_11comp_targetILNS1_3genE10ELNS1_11target_archE1200ELNS1_3gpuE4ELNS1_3repE0EEENS1_30default_config_static_selectorELNS0_4arch9wavefront6targetE0EEEvSP_ ; -- Begin function _ZN7rocprim17ROCPRIM_400000_NS6detail17trampoline_kernelINS0_14default_configENS1_29binary_search_config_selectorItbEEZNS1_14transform_implILb0ES3_S5_N6thrust23THRUST_200600_302600_NS6detail15normal_iteratorINS8_10device_ptrItEEEENSA_INSB_IbEEEEZNS1_13binary_searchIS3_S5_SD_SD_SF_NS1_16binary_search_opENS9_16wrapped_functionINS0_4lessIvEEbEEEE10hipError_tPvRmT1_T2_T3_mmT4_T5_P12ihipStream_tbEUlRKtE_EESM_SQ_SR_mSS_SV_bEUlT_E_NS1_11comp_targetILNS1_3genE10ELNS1_11target_archE1200ELNS1_3gpuE4ELNS1_3repE0EEENS1_30default_config_static_selectorELNS0_4arch9wavefront6targetE0EEEvSP_
	.globl	_ZN7rocprim17ROCPRIM_400000_NS6detail17trampoline_kernelINS0_14default_configENS1_29binary_search_config_selectorItbEEZNS1_14transform_implILb0ES3_S5_N6thrust23THRUST_200600_302600_NS6detail15normal_iteratorINS8_10device_ptrItEEEENSA_INSB_IbEEEEZNS1_13binary_searchIS3_S5_SD_SD_SF_NS1_16binary_search_opENS9_16wrapped_functionINS0_4lessIvEEbEEEE10hipError_tPvRmT1_T2_T3_mmT4_T5_P12ihipStream_tbEUlRKtE_EESM_SQ_SR_mSS_SV_bEUlT_E_NS1_11comp_targetILNS1_3genE10ELNS1_11target_archE1200ELNS1_3gpuE4ELNS1_3repE0EEENS1_30default_config_static_selectorELNS0_4arch9wavefront6targetE0EEEvSP_
	.p2align	8
	.type	_ZN7rocprim17ROCPRIM_400000_NS6detail17trampoline_kernelINS0_14default_configENS1_29binary_search_config_selectorItbEEZNS1_14transform_implILb0ES3_S5_N6thrust23THRUST_200600_302600_NS6detail15normal_iteratorINS8_10device_ptrItEEEENSA_INSB_IbEEEEZNS1_13binary_searchIS3_S5_SD_SD_SF_NS1_16binary_search_opENS9_16wrapped_functionINS0_4lessIvEEbEEEE10hipError_tPvRmT1_T2_T3_mmT4_T5_P12ihipStream_tbEUlRKtE_EESM_SQ_SR_mSS_SV_bEUlT_E_NS1_11comp_targetILNS1_3genE10ELNS1_11target_archE1200ELNS1_3gpuE4ELNS1_3repE0EEENS1_30default_config_static_selectorELNS0_4arch9wavefront6targetE0EEEvSP_,@function
_ZN7rocprim17ROCPRIM_400000_NS6detail17trampoline_kernelINS0_14default_configENS1_29binary_search_config_selectorItbEEZNS1_14transform_implILb0ES3_S5_N6thrust23THRUST_200600_302600_NS6detail15normal_iteratorINS8_10device_ptrItEEEENSA_INSB_IbEEEEZNS1_13binary_searchIS3_S5_SD_SD_SF_NS1_16binary_search_opENS9_16wrapped_functionINS0_4lessIvEEbEEEE10hipError_tPvRmT1_T2_T3_mmT4_T5_P12ihipStream_tbEUlRKtE_EESM_SQ_SR_mSS_SV_bEUlT_E_NS1_11comp_targetILNS1_3genE10ELNS1_11target_archE1200ELNS1_3gpuE4ELNS1_3repE0EEENS1_30default_config_static_selectorELNS0_4arch9wavefront6targetE0EEEvSP_: ; @_ZN7rocprim17ROCPRIM_400000_NS6detail17trampoline_kernelINS0_14default_configENS1_29binary_search_config_selectorItbEEZNS1_14transform_implILb0ES3_S5_N6thrust23THRUST_200600_302600_NS6detail15normal_iteratorINS8_10device_ptrItEEEENSA_INSB_IbEEEEZNS1_13binary_searchIS3_S5_SD_SD_SF_NS1_16binary_search_opENS9_16wrapped_functionINS0_4lessIvEEbEEEE10hipError_tPvRmT1_T2_T3_mmT4_T5_P12ihipStream_tbEUlRKtE_EESM_SQ_SR_mSS_SV_bEUlT_E_NS1_11comp_targetILNS1_3genE10ELNS1_11target_archE1200ELNS1_3gpuE4ELNS1_3repE0EEENS1_30default_config_static_selectorELNS0_4arch9wavefront6targetE0EEEvSP_
; %bb.0:
	.section	.rodata,"a",@progbits
	.p2align	6, 0x0
	.amdhsa_kernel _ZN7rocprim17ROCPRIM_400000_NS6detail17trampoline_kernelINS0_14default_configENS1_29binary_search_config_selectorItbEEZNS1_14transform_implILb0ES3_S5_N6thrust23THRUST_200600_302600_NS6detail15normal_iteratorINS8_10device_ptrItEEEENSA_INSB_IbEEEEZNS1_13binary_searchIS3_S5_SD_SD_SF_NS1_16binary_search_opENS9_16wrapped_functionINS0_4lessIvEEbEEEE10hipError_tPvRmT1_T2_T3_mmT4_T5_P12ihipStream_tbEUlRKtE_EESM_SQ_SR_mSS_SV_bEUlT_E_NS1_11comp_targetILNS1_3genE10ELNS1_11target_archE1200ELNS1_3gpuE4ELNS1_3repE0EEENS1_30default_config_static_selectorELNS0_4arch9wavefront6targetE0EEEvSP_
		.amdhsa_group_segment_fixed_size 0
		.amdhsa_private_segment_fixed_size 0
		.amdhsa_kernarg_size 56
		.amdhsa_user_sgpr_count 15
		.amdhsa_user_sgpr_dispatch_ptr 0
		.amdhsa_user_sgpr_queue_ptr 0
		.amdhsa_user_sgpr_kernarg_segment_ptr 1
		.amdhsa_user_sgpr_dispatch_id 0
		.amdhsa_user_sgpr_private_segment_size 0
		.amdhsa_wavefront_size32 1
		.amdhsa_uses_dynamic_stack 0
		.amdhsa_enable_private_segment 0
		.amdhsa_system_sgpr_workgroup_id_x 1
		.amdhsa_system_sgpr_workgroup_id_y 0
		.amdhsa_system_sgpr_workgroup_id_z 0
		.amdhsa_system_sgpr_workgroup_info 0
		.amdhsa_system_vgpr_workitem_id 0
		.amdhsa_next_free_vgpr 1
		.amdhsa_next_free_sgpr 1
		.amdhsa_reserve_vcc 0
		.amdhsa_float_round_mode_32 0
		.amdhsa_float_round_mode_16_64 0
		.amdhsa_float_denorm_mode_32 3
		.amdhsa_float_denorm_mode_16_64 3
		.amdhsa_dx10_clamp 1
		.amdhsa_ieee_mode 1
		.amdhsa_fp16_overflow 0
		.amdhsa_workgroup_processor_mode 1
		.amdhsa_memory_ordered 1
		.amdhsa_forward_progress 0
		.amdhsa_shared_vgpr_count 0
		.amdhsa_exception_fp_ieee_invalid_op 0
		.amdhsa_exception_fp_denorm_src 0
		.amdhsa_exception_fp_ieee_div_zero 0
		.amdhsa_exception_fp_ieee_overflow 0
		.amdhsa_exception_fp_ieee_underflow 0
		.amdhsa_exception_fp_ieee_inexact 0
		.amdhsa_exception_int_div_zero 0
	.end_amdhsa_kernel
	.section	.text._ZN7rocprim17ROCPRIM_400000_NS6detail17trampoline_kernelINS0_14default_configENS1_29binary_search_config_selectorItbEEZNS1_14transform_implILb0ES3_S5_N6thrust23THRUST_200600_302600_NS6detail15normal_iteratorINS8_10device_ptrItEEEENSA_INSB_IbEEEEZNS1_13binary_searchIS3_S5_SD_SD_SF_NS1_16binary_search_opENS9_16wrapped_functionINS0_4lessIvEEbEEEE10hipError_tPvRmT1_T2_T3_mmT4_T5_P12ihipStream_tbEUlRKtE_EESM_SQ_SR_mSS_SV_bEUlT_E_NS1_11comp_targetILNS1_3genE10ELNS1_11target_archE1200ELNS1_3gpuE4ELNS1_3repE0EEENS1_30default_config_static_selectorELNS0_4arch9wavefront6targetE0EEEvSP_,"axG",@progbits,_ZN7rocprim17ROCPRIM_400000_NS6detail17trampoline_kernelINS0_14default_configENS1_29binary_search_config_selectorItbEEZNS1_14transform_implILb0ES3_S5_N6thrust23THRUST_200600_302600_NS6detail15normal_iteratorINS8_10device_ptrItEEEENSA_INSB_IbEEEEZNS1_13binary_searchIS3_S5_SD_SD_SF_NS1_16binary_search_opENS9_16wrapped_functionINS0_4lessIvEEbEEEE10hipError_tPvRmT1_T2_T3_mmT4_T5_P12ihipStream_tbEUlRKtE_EESM_SQ_SR_mSS_SV_bEUlT_E_NS1_11comp_targetILNS1_3genE10ELNS1_11target_archE1200ELNS1_3gpuE4ELNS1_3repE0EEENS1_30default_config_static_selectorELNS0_4arch9wavefront6targetE0EEEvSP_,comdat
.Lfunc_end480:
	.size	_ZN7rocprim17ROCPRIM_400000_NS6detail17trampoline_kernelINS0_14default_configENS1_29binary_search_config_selectorItbEEZNS1_14transform_implILb0ES3_S5_N6thrust23THRUST_200600_302600_NS6detail15normal_iteratorINS8_10device_ptrItEEEENSA_INSB_IbEEEEZNS1_13binary_searchIS3_S5_SD_SD_SF_NS1_16binary_search_opENS9_16wrapped_functionINS0_4lessIvEEbEEEE10hipError_tPvRmT1_T2_T3_mmT4_T5_P12ihipStream_tbEUlRKtE_EESM_SQ_SR_mSS_SV_bEUlT_E_NS1_11comp_targetILNS1_3genE10ELNS1_11target_archE1200ELNS1_3gpuE4ELNS1_3repE0EEENS1_30default_config_static_selectorELNS0_4arch9wavefront6targetE0EEEvSP_, .Lfunc_end480-_ZN7rocprim17ROCPRIM_400000_NS6detail17trampoline_kernelINS0_14default_configENS1_29binary_search_config_selectorItbEEZNS1_14transform_implILb0ES3_S5_N6thrust23THRUST_200600_302600_NS6detail15normal_iteratorINS8_10device_ptrItEEEENSA_INSB_IbEEEEZNS1_13binary_searchIS3_S5_SD_SD_SF_NS1_16binary_search_opENS9_16wrapped_functionINS0_4lessIvEEbEEEE10hipError_tPvRmT1_T2_T3_mmT4_T5_P12ihipStream_tbEUlRKtE_EESM_SQ_SR_mSS_SV_bEUlT_E_NS1_11comp_targetILNS1_3genE10ELNS1_11target_archE1200ELNS1_3gpuE4ELNS1_3repE0EEENS1_30default_config_static_selectorELNS0_4arch9wavefront6targetE0EEEvSP_
                                        ; -- End function
	.section	.AMDGPU.csdata,"",@progbits
; Kernel info:
; codeLenInByte = 0
; NumSgprs: 0
; NumVgprs: 0
; ScratchSize: 0
; MemoryBound: 0
; FloatMode: 240
; IeeeMode: 1
; LDSByteSize: 0 bytes/workgroup (compile time only)
; SGPRBlocks: 0
; VGPRBlocks: 0
; NumSGPRsForWavesPerEU: 1
; NumVGPRsForWavesPerEU: 1
; Occupancy: 16
; WaveLimiterHint : 0
; COMPUTE_PGM_RSRC2:SCRATCH_EN: 0
; COMPUTE_PGM_RSRC2:USER_SGPR: 15
; COMPUTE_PGM_RSRC2:TRAP_HANDLER: 0
; COMPUTE_PGM_RSRC2:TGID_X_EN: 1
; COMPUTE_PGM_RSRC2:TGID_Y_EN: 0
; COMPUTE_PGM_RSRC2:TGID_Z_EN: 0
; COMPUTE_PGM_RSRC2:TIDIG_COMP_CNT: 0
	.section	.text._ZN7rocprim17ROCPRIM_400000_NS6detail17trampoline_kernelINS0_14default_configENS1_29binary_search_config_selectorItbEEZNS1_14transform_implILb0ES3_S5_N6thrust23THRUST_200600_302600_NS6detail15normal_iteratorINS8_10device_ptrItEEEENSA_INSB_IbEEEEZNS1_13binary_searchIS3_S5_SD_SD_SF_NS1_16binary_search_opENS9_16wrapped_functionINS0_4lessIvEEbEEEE10hipError_tPvRmT1_T2_T3_mmT4_T5_P12ihipStream_tbEUlRKtE_EESM_SQ_SR_mSS_SV_bEUlT_E_NS1_11comp_targetILNS1_3genE9ELNS1_11target_archE1100ELNS1_3gpuE3ELNS1_3repE0EEENS1_30default_config_static_selectorELNS0_4arch9wavefront6targetE0EEEvSP_,"axG",@progbits,_ZN7rocprim17ROCPRIM_400000_NS6detail17trampoline_kernelINS0_14default_configENS1_29binary_search_config_selectorItbEEZNS1_14transform_implILb0ES3_S5_N6thrust23THRUST_200600_302600_NS6detail15normal_iteratorINS8_10device_ptrItEEEENSA_INSB_IbEEEEZNS1_13binary_searchIS3_S5_SD_SD_SF_NS1_16binary_search_opENS9_16wrapped_functionINS0_4lessIvEEbEEEE10hipError_tPvRmT1_T2_T3_mmT4_T5_P12ihipStream_tbEUlRKtE_EESM_SQ_SR_mSS_SV_bEUlT_E_NS1_11comp_targetILNS1_3genE9ELNS1_11target_archE1100ELNS1_3gpuE3ELNS1_3repE0EEENS1_30default_config_static_selectorELNS0_4arch9wavefront6targetE0EEEvSP_,comdat
	.protected	_ZN7rocprim17ROCPRIM_400000_NS6detail17trampoline_kernelINS0_14default_configENS1_29binary_search_config_selectorItbEEZNS1_14transform_implILb0ES3_S5_N6thrust23THRUST_200600_302600_NS6detail15normal_iteratorINS8_10device_ptrItEEEENSA_INSB_IbEEEEZNS1_13binary_searchIS3_S5_SD_SD_SF_NS1_16binary_search_opENS9_16wrapped_functionINS0_4lessIvEEbEEEE10hipError_tPvRmT1_T2_T3_mmT4_T5_P12ihipStream_tbEUlRKtE_EESM_SQ_SR_mSS_SV_bEUlT_E_NS1_11comp_targetILNS1_3genE9ELNS1_11target_archE1100ELNS1_3gpuE3ELNS1_3repE0EEENS1_30default_config_static_selectorELNS0_4arch9wavefront6targetE0EEEvSP_ ; -- Begin function _ZN7rocprim17ROCPRIM_400000_NS6detail17trampoline_kernelINS0_14default_configENS1_29binary_search_config_selectorItbEEZNS1_14transform_implILb0ES3_S5_N6thrust23THRUST_200600_302600_NS6detail15normal_iteratorINS8_10device_ptrItEEEENSA_INSB_IbEEEEZNS1_13binary_searchIS3_S5_SD_SD_SF_NS1_16binary_search_opENS9_16wrapped_functionINS0_4lessIvEEbEEEE10hipError_tPvRmT1_T2_T3_mmT4_T5_P12ihipStream_tbEUlRKtE_EESM_SQ_SR_mSS_SV_bEUlT_E_NS1_11comp_targetILNS1_3genE9ELNS1_11target_archE1100ELNS1_3gpuE3ELNS1_3repE0EEENS1_30default_config_static_selectorELNS0_4arch9wavefront6targetE0EEEvSP_
	.globl	_ZN7rocprim17ROCPRIM_400000_NS6detail17trampoline_kernelINS0_14default_configENS1_29binary_search_config_selectorItbEEZNS1_14transform_implILb0ES3_S5_N6thrust23THRUST_200600_302600_NS6detail15normal_iteratorINS8_10device_ptrItEEEENSA_INSB_IbEEEEZNS1_13binary_searchIS3_S5_SD_SD_SF_NS1_16binary_search_opENS9_16wrapped_functionINS0_4lessIvEEbEEEE10hipError_tPvRmT1_T2_T3_mmT4_T5_P12ihipStream_tbEUlRKtE_EESM_SQ_SR_mSS_SV_bEUlT_E_NS1_11comp_targetILNS1_3genE9ELNS1_11target_archE1100ELNS1_3gpuE3ELNS1_3repE0EEENS1_30default_config_static_selectorELNS0_4arch9wavefront6targetE0EEEvSP_
	.p2align	8
	.type	_ZN7rocprim17ROCPRIM_400000_NS6detail17trampoline_kernelINS0_14default_configENS1_29binary_search_config_selectorItbEEZNS1_14transform_implILb0ES3_S5_N6thrust23THRUST_200600_302600_NS6detail15normal_iteratorINS8_10device_ptrItEEEENSA_INSB_IbEEEEZNS1_13binary_searchIS3_S5_SD_SD_SF_NS1_16binary_search_opENS9_16wrapped_functionINS0_4lessIvEEbEEEE10hipError_tPvRmT1_T2_T3_mmT4_T5_P12ihipStream_tbEUlRKtE_EESM_SQ_SR_mSS_SV_bEUlT_E_NS1_11comp_targetILNS1_3genE9ELNS1_11target_archE1100ELNS1_3gpuE3ELNS1_3repE0EEENS1_30default_config_static_selectorELNS0_4arch9wavefront6targetE0EEEvSP_,@function
_ZN7rocprim17ROCPRIM_400000_NS6detail17trampoline_kernelINS0_14default_configENS1_29binary_search_config_selectorItbEEZNS1_14transform_implILb0ES3_S5_N6thrust23THRUST_200600_302600_NS6detail15normal_iteratorINS8_10device_ptrItEEEENSA_INSB_IbEEEEZNS1_13binary_searchIS3_S5_SD_SD_SF_NS1_16binary_search_opENS9_16wrapped_functionINS0_4lessIvEEbEEEE10hipError_tPvRmT1_T2_T3_mmT4_T5_P12ihipStream_tbEUlRKtE_EESM_SQ_SR_mSS_SV_bEUlT_E_NS1_11comp_targetILNS1_3genE9ELNS1_11target_archE1100ELNS1_3gpuE3ELNS1_3repE0EEENS1_30default_config_static_selectorELNS0_4arch9wavefront6targetE0EEEvSP_: ; @_ZN7rocprim17ROCPRIM_400000_NS6detail17trampoline_kernelINS0_14default_configENS1_29binary_search_config_selectorItbEEZNS1_14transform_implILb0ES3_S5_N6thrust23THRUST_200600_302600_NS6detail15normal_iteratorINS8_10device_ptrItEEEENSA_INSB_IbEEEEZNS1_13binary_searchIS3_S5_SD_SD_SF_NS1_16binary_search_opENS9_16wrapped_functionINS0_4lessIvEEbEEEE10hipError_tPvRmT1_T2_T3_mmT4_T5_P12ihipStream_tbEUlRKtE_EESM_SQ_SR_mSS_SV_bEUlT_E_NS1_11comp_targetILNS1_3genE9ELNS1_11target_archE1100ELNS1_3gpuE3ELNS1_3repE0EEENS1_30default_config_static_selectorELNS0_4arch9wavefront6targetE0EEEvSP_
; %bb.0:
	s_clause 0x2
	s_load_b256 s[4:11], s[0:1], 0x0
	s_load_b32 s2, s[0:1], 0x38
	s_load_b128 s[16:19], s[0:1], 0x20
	s_waitcnt lgkmcnt(0)
	s_lshl_b64 s[0:1], s[6:7], 1
	s_delay_alu instid0(SALU_CYCLE_1)
	s_add_u32 s3, s4, s0
	s_addc_u32 s4, s5, s1
	s_add_u32 s9, s10, s6
	s_addc_u32 s12, s11, s7
	s_lshl_b32 s10, s15, 9
	s_mov_b32 s11, 0
	s_add_i32 s2, s2, -1
	s_lshl_b64 s[0:1], s[10:11], 1
	s_mov_b32 s7, -1
	s_add_u32 s13, s3, s0
	s_addc_u32 s14, s4, s1
	s_cmp_lg_u32 s15, s2
	s_cbranch_scc0 .LBB481_50
; %bb.1:
	v_lshlrev_b32_e32 v1, 1, v0
	s_cmp_lg_u64 s[18:19], 0
	s_cselect_b32 s1, -1, 0
	s_cmp_eq_u64 s[18:19], 0
	s_delay_alu instid0(VALU_DEP_1) | instskip(NEXT) | instid1(VALU_DEP_1)
	v_add_co_u32 v1, s0, s13, v1
	v_add_co_ci_u32_e64 v2, null, s14, 0, s0
	s_mov_b32 s0, 0
	s_clause 0x7
	flat_load_u16 v7, v[1:2]
	flat_load_u16 v12, v[1:2] offset:128
	flat_load_u16 v11, v[1:2] offset:256
	;; [unrolled: 1-line block ×7, first 2 shown]
	v_mov_b32_e32 v1, 0
	v_mov_b32_e32 v2, 0
	s_cbranch_scc1 .LBB481_5
; %bb.2:
	v_mov_b32_e32 v1, 0
	v_dual_mov_b32 v2, 0 :: v_dual_mov_b32 v3, s18
	v_mov_b32_e32 v4, s19
	.p2align	6
.LBB481_3:                              ; =>This Inner Loop Header: Depth=1
	s_delay_alu instid0(VALU_DEP_2) | instskip(NEXT) | instid1(VALU_DEP_2)
	v_sub_co_u32 v13, vcc_lo, v3, v1
	v_sub_co_ci_u32_e32 v14, vcc_lo, v4, v2, vcc_lo
	s_delay_alu instid0(VALU_DEP_1) | instskip(SKIP_1) | instid1(VALU_DEP_2)
	v_lshrrev_b64 v[15:16], 1, v[13:14]
	v_lshrrev_b64 v[13:14], 6, v[13:14]
	v_add_co_u32 v15, vcc_lo, v15, v1
	s_delay_alu instid0(VALU_DEP_3) | instskip(NEXT) | instid1(VALU_DEP_2)
	v_add_co_ci_u32_e32 v16, vcc_lo, v16, v2, vcc_lo
	v_add_co_u32 v13, vcc_lo, v15, v13
	s_delay_alu instid0(VALU_DEP_2) | instskip(NEXT) | instid1(VALU_DEP_1)
	v_add_co_ci_u32_e32 v14, vcc_lo, v16, v14, vcc_lo
	v_lshlrev_b64 v[15:16], 1, v[13:14]
	s_delay_alu instid0(VALU_DEP_1) | instskip(NEXT) | instid1(VALU_DEP_2)
	v_add_co_u32 v15, vcc_lo, s16, v15
	v_add_co_ci_u32_e32 v16, vcc_lo, s17, v16, vcc_lo
	global_load_u16 v15, v[15:16], off
	v_add_co_u32 v16, vcc_lo, v13, 1
	v_add_co_ci_u32_e32 v17, vcc_lo, 0, v14, vcc_lo
	s_waitcnt vmcnt(0) lgkmcnt(7)
	v_cmp_lt_u16_e32 vcc_lo, v15, v7
	v_dual_cndmask_b32 v4, v14, v4 :: v_dual_cndmask_b32 v3, v13, v3
	s_delay_alu instid0(VALU_DEP_3) | instskip(NEXT) | instid1(VALU_DEP_1)
	v_dual_cndmask_b32 v2, v2, v17 :: v_dual_cndmask_b32 v1, v1, v16
	v_cmp_ge_u64_e32 vcc_lo, v[1:2], v[3:4]
	s_or_b32 s0, vcc_lo, s0
	s_delay_alu instid0(SALU_CYCLE_1)
	s_and_not1_b32 exec_lo, exec_lo, s0
	s_cbranch_execnz .LBB481_3
; %bb.4:
	s_or_b32 exec_lo, exec_lo, s0
.LBB481_5:
	s_mov_b32 s0, 0
	s_mov_b32 s2, exec_lo
	s_delay_alu instid0(VALU_DEP_1)
	v_cmpx_ne_u64_e64 s[18:19], v[1:2]
	s_cbranch_execz .LBB481_7
; %bb.6:
	v_lshlrev_b64 v[1:2], 1, v[1:2]
	s_delay_alu instid0(VALU_DEP_1) | instskip(NEXT) | instid1(VALU_DEP_2)
	v_add_co_u32 v1, vcc_lo, s16, v1
	v_add_co_ci_u32_e32 v2, vcc_lo, s17, v2, vcc_lo
	global_load_u16 v1, v[1:2], off
	s_waitcnt vmcnt(0) lgkmcnt(7)
	v_cmp_le_u16_e32 vcc_lo, v1, v7
	s_and_b32 s0, vcc_lo, exec_lo
.LBB481_7:
	s_or_b32 exec_lo, exec_lo, s2
	v_mov_b32_e32 v1, 0
	s_waitcnt vmcnt(7) lgkmcnt(7)
	v_cndmask_b32_e64 v7, 0, 1, s1
	v_mov_b32_e32 v2, 0
	s_and_not1_b32 vcc_lo, exec_lo, s1
	s_cbranch_vccnz .LBB481_11
; %bb.8:
	v_dual_mov_b32 v3, s18 :: v_dual_mov_b32 v4, s19
	s_mov_b32 s1, 0
	.p2align	6
.LBB481_9:                              ; =>This Inner Loop Header: Depth=1
	s_delay_alu instid0(VALU_DEP_1) | instskip(NEXT) | instid1(VALU_DEP_2)
	v_sub_co_u32 v13, vcc_lo, v3, v1
	v_sub_co_ci_u32_e32 v14, vcc_lo, v4, v2, vcc_lo
	s_delay_alu instid0(VALU_DEP_1) | instskip(SKIP_1) | instid1(VALU_DEP_2)
	v_lshrrev_b64 v[15:16], 1, v[13:14]
	v_lshrrev_b64 v[13:14], 6, v[13:14]
	v_add_co_u32 v15, vcc_lo, v15, v1
	s_delay_alu instid0(VALU_DEP_3) | instskip(NEXT) | instid1(VALU_DEP_2)
	v_add_co_ci_u32_e32 v16, vcc_lo, v16, v2, vcc_lo
	v_add_co_u32 v13, vcc_lo, v15, v13
	s_delay_alu instid0(VALU_DEP_2) | instskip(NEXT) | instid1(VALU_DEP_1)
	v_add_co_ci_u32_e32 v14, vcc_lo, v16, v14, vcc_lo
	v_lshlrev_b64 v[15:16], 1, v[13:14]
	s_delay_alu instid0(VALU_DEP_1) | instskip(NEXT) | instid1(VALU_DEP_2)
	v_add_co_u32 v15, vcc_lo, s16, v15
	v_add_co_ci_u32_e32 v16, vcc_lo, s17, v16, vcc_lo
	global_load_u16 v15, v[15:16], off
	v_add_co_u32 v16, vcc_lo, v13, 1
	v_add_co_ci_u32_e32 v17, vcc_lo, 0, v14, vcc_lo
	s_waitcnt vmcnt(0) lgkmcnt(6)
	v_cmp_lt_u16_e32 vcc_lo, v15, v12
	v_dual_cndmask_b32 v4, v14, v4 :: v_dual_cndmask_b32 v3, v13, v3
	s_delay_alu instid0(VALU_DEP_3) | instskip(NEXT) | instid1(VALU_DEP_1)
	v_dual_cndmask_b32 v2, v2, v17 :: v_dual_cndmask_b32 v1, v1, v16
	v_cmp_ge_u64_e32 vcc_lo, v[1:2], v[3:4]
	s_or_b32 s1, vcc_lo, s1
	s_delay_alu instid0(SALU_CYCLE_1)
	s_and_not1_b32 exec_lo, exec_lo, s1
	s_cbranch_execnz .LBB481_9
; %bb.10:
	s_or_b32 exec_lo, exec_lo, s1
.LBB481_11:
	s_mov_b32 s1, 0
	s_mov_b32 s2, exec_lo
	v_cmpx_ne_u64_e64 s[18:19], v[1:2]
	s_cbranch_execz .LBB481_13
; %bb.12:
	v_lshlrev_b64 v[1:2], 1, v[1:2]
	s_delay_alu instid0(VALU_DEP_1) | instskip(NEXT) | instid1(VALU_DEP_2)
	v_add_co_u32 v1, vcc_lo, s16, v1
	v_add_co_ci_u32_e32 v2, vcc_lo, s17, v2, vcc_lo
	global_load_u16 v1, v[1:2], off
	s_waitcnt vmcnt(0) lgkmcnt(6)
	v_cmp_le_u16_e32 vcc_lo, v1, v12
	s_and_b32 s1, vcc_lo, exec_lo
.LBB481_13:
	s_or_b32 exec_lo, exec_lo, s2
	v_cmp_ne_u32_e32 vcc_lo, 1, v7
	v_mov_b32_e32 v1, 0
	v_mov_b32_e32 v2, 0
	s_cbranch_vccnz .LBB481_17
; %bb.14:
	v_dual_mov_b32 v3, s18 :: v_dual_mov_b32 v4, s19
	s_mov_b32 s2, 0
	.p2align	6
.LBB481_15:                             ; =>This Inner Loop Header: Depth=1
	s_waitcnt vmcnt(6) lgkmcnt(6)
	s_delay_alu instid0(VALU_DEP_1) | instskip(NEXT) | instid1(VALU_DEP_2)
	v_sub_co_u32 v12, vcc_lo, v3, v1
	v_sub_co_ci_u32_e32 v13, vcc_lo, v4, v2, vcc_lo
	s_delay_alu instid0(VALU_DEP_1) | instskip(SKIP_1) | instid1(VALU_DEP_2)
	v_lshrrev_b64 v[14:15], 1, v[12:13]
	v_lshrrev_b64 v[12:13], 6, v[12:13]
	v_add_co_u32 v14, vcc_lo, v14, v1
	s_delay_alu instid0(VALU_DEP_3) | instskip(NEXT) | instid1(VALU_DEP_2)
	v_add_co_ci_u32_e32 v15, vcc_lo, v15, v2, vcc_lo
	v_add_co_u32 v12, vcc_lo, v14, v12
	s_delay_alu instid0(VALU_DEP_2) | instskip(NEXT) | instid1(VALU_DEP_1)
	v_add_co_ci_u32_e32 v13, vcc_lo, v15, v13, vcc_lo
	v_lshlrev_b64 v[14:15], 1, v[12:13]
	s_delay_alu instid0(VALU_DEP_1) | instskip(NEXT) | instid1(VALU_DEP_2)
	v_add_co_u32 v14, vcc_lo, s16, v14
	v_add_co_ci_u32_e32 v15, vcc_lo, s17, v15, vcc_lo
	global_load_u16 v14, v[14:15], off
	v_add_co_u32 v15, vcc_lo, v12, 1
	v_add_co_ci_u32_e32 v16, vcc_lo, 0, v13, vcc_lo
	s_waitcnt vmcnt(0) lgkmcnt(5)
	v_cmp_lt_u16_e32 vcc_lo, v14, v11
	v_dual_cndmask_b32 v4, v13, v4 :: v_dual_cndmask_b32 v3, v12, v3
	s_delay_alu instid0(VALU_DEP_3) | instskip(NEXT) | instid1(VALU_DEP_1)
	v_dual_cndmask_b32 v2, v2, v16 :: v_dual_cndmask_b32 v1, v1, v15
	v_cmp_ge_u64_e32 vcc_lo, v[1:2], v[3:4]
	s_or_b32 s2, vcc_lo, s2
	s_delay_alu instid0(SALU_CYCLE_1)
	s_and_not1_b32 exec_lo, exec_lo, s2
	s_cbranch_execnz .LBB481_15
; %bb.16:
	s_or_b32 exec_lo, exec_lo, s2
.LBB481_17:
	s_mov_b32 s2, 0
	s_mov_b32 s3, exec_lo
	s_delay_alu instid0(VALU_DEP_1)
	v_cmpx_ne_u64_e64 s[18:19], v[1:2]
	s_cbranch_execz .LBB481_19
; %bb.18:
	v_lshlrev_b64 v[1:2], 1, v[1:2]
	s_delay_alu instid0(VALU_DEP_1) | instskip(NEXT) | instid1(VALU_DEP_2)
	v_add_co_u32 v1, vcc_lo, s16, v1
	v_add_co_ci_u32_e32 v2, vcc_lo, s17, v2, vcc_lo
	global_load_u16 v1, v[1:2], off
	s_waitcnt vmcnt(0) lgkmcnt(5)
	v_cmp_le_u16_e32 vcc_lo, v1, v11
	s_and_b32 s2, vcc_lo, exec_lo
.LBB481_19:
	s_or_b32 exec_lo, exec_lo, s3
	v_cmp_ne_u32_e32 vcc_lo, 1, v7
	v_mov_b32_e32 v1, 0
	v_mov_b32_e32 v2, 0
	s_cbranch_vccnz .LBB481_23
; %bb.20:
	v_dual_mov_b32 v3, s18 :: v_dual_mov_b32 v4, s19
	s_mov_b32 s3, 0
	.p2align	6
.LBB481_21:                             ; =>This Inner Loop Header: Depth=1
	s_waitcnt vmcnt(5) lgkmcnt(5)
	s_delay_alu instid0(VALU_DEP_1) | instskip(NEXT) | instid1(VALU_DEP_2)
	v_sub_co_u32 v11, vcc_lo, v3, v1
	v_sub_co_ci_u32_e32 v12, vcc_lo, v4, v2, vcc_lo
	s_delay_alu instid0(VALU_DEP_1) | instskip(SKIP_1) | instid1(VALU_DEP_2)
	v_lshrrev_b64 v[13:14], 1, v[11:12]
	v_lshrrev_b64 v[11:12], 6, v[11:12]
	v_add_co_u32 v13, vcc_lo, v13, v1
	s_delay_alu instid0(VALU_DEP_3) | instskip(NEXT) | instid1(VALU_DEP_2)
	v_add_co_ci_u32_e32 v14, vcc_lo, v14, v2, vcc_lo
	v_add_co_u32 v11, vcc_lo, v13, v11
	s_delay_alu instid0(VALU_DEP_2) | instskip(NEXT) | instid1(VALU_DEP_1)
	v_add_co_ci_u32_e32 v12, vcc_lo, v14, v12, vcc_lo
	v_lshlrev_b64 v[13:14], 1, v[11:12]
	s_delay_alu instid0(VALU_DEP_1) | instskip(NEXT) | instid1(VALU_DEP_2)
	v_add_co_u32 v13, vcc_lo, s16, v13
	v_add_co_ci_u32_e32 v14, vcc_lo, s17, v14, vcc_lo
	global_load_u16 v13, v[13:14], off
	v_add_co_u32 v14, vcc_lo, v11, 1
	v_add_co_ci_u32_e32 v15, vcc_lo, 0, v12, vcc_lo
	s_waitcnt vmcnt(0) lgkmcnt(4)
	v_cmp_lt_u16_e32 vcc_lo, v13, v10
	v_dual_cndmask_b32 v4, v12, v4 :: v_dual_cndmask_b32 v3, v11, v3
	s_delay_alu instid0(VALU_DEP_3) | instskip(NEXT) | instid1(VALU_DEP_1)
	v_dual_cndmask_b32 v2, v2, v15 :: v_dual_cndmask_b32 v1, v1, v14
	v_cmp_ge_u64_e32 vcc_lo, v[1:2], v[3:4]
	s_or_b32 s3, vcc_lo, s3
	s_delay_alu instid0(SALU_CYCLE_1)
	s_and_not1_b32 exec_lo, exec_lo, s3
	s_cbranch_execnz .LBB481_21
; %bb.22:
	s_or_b32 exec_lo, exec_lo, s3
.LBB481_23:
	s_mov_b32 s3, 0
	s_mov_b32 s4, exec_lo
	s_delay_alu instid0(VALU_DEP_1)
	v_cmpx_ne_u64_e64 s[18:19], v[1:2]
	s_cbranch_execz .LBB481_25
; %bb.24:
	v_lshlrev_b64 v[1:2], 1, v[1:2]
	s_delay_alu instid0(VALU_DEP_1) | instskip(NEXT) | instid1(VALU_DEP_2)
	v_add_co_u32 v1, vcc_lo, s16, v1
	v_add_co_ci_u32_e32 v2, vcc_lo, s17, v2, vcc_lo
	global_load_u16 v1, v[1:2], off
	s_waitcnt vmcnt(0) lgkmcnt(4)
	v_cmp_le_u16_e32 vcc_lo, v1, v10
	s_and_b32 s3, vcc_lo, exec_lo
.LBB481_25:
	s_or_b32 exec_lo, exec_lo, s4
	v_cmp_ne_u32_e32 vcc_lo, 1, v7
	v_mov_b32_e32 v1, 0
	v_mov_b32_e32 v2, 0
	s_cbranch_vccnz .LBB481_29
; %bb.26:
	v_dual_mov_b32 v3, s18 :: v_dual_mov_b32 v4, s19
	s_mov_b32 s4, 0
	.p2align	6
.LBB481_27:                             ; =>This Inner Loop Header: Depth=1
	s_waitcnt vmcnt(4) lgkmcnt(4)
	s_delay_alu instid0(VALU_DEP_1) | instskip(NEXT) | instid1(VALU_DEP_2)
	v_sub_co_u32 v10, vcc_lo, v3, v1
	v_sub_co_ci_u32_e32 v11, vcc_lo, v4, v2, vcc_lo
	s_delay_alu instid0(VALU_DEP_1) | instskip(SKIP_1) | instid1(VALU_DEP_2)
	v_lshrrev_b64 v[12:13], 1, v[10:11]
	v_lshrrev_b64 v[10:11], 6, v[10:11]
	v_add_co_u32 v12, vcc_lo, v12, v1
	s_delay_alu instid0(VALU_DEP_3) | instskip(NEXT) | instid1(VALU_DEP_2)
	v_add_co_ci_u32_e32 v13, vcc_lo, v13, v2, vcc_lo
	v_add_co_u32 v10, vcc_lo, v12, v10
	s_delay_alu instid0(VALU_DEP_2) | instskip(NEXT) | instid1(VALU_DEP_1)
	v_add_co_ci_u32_e32 v11, vcc_lo, v13, v11, vcc_lo
	v_lshlrev_b64 v[12:13], 1, v[10:11]
	s_delay_alu instid0(VALU_DEP_1) | instskip(NEXT) | instid1(VALU_DEP_2)
	v_add_co_u32 v12, vcc_lo, s16, v12
	v_add_co_ci_u32_e32 v13, vcc_lo, s17, v13, vcc_lo
	global_load_u16 v12, v[12:13], off
	v_add_co_u32 v13, vcc_lo, v10, 1
	v_add_co_ci_u32_e32 v14, vcc_lo, 0, v11, vcc_lo
	s_waitcnt vmcnt(0) lgkmcnt(3)
	v_cmp_lt_u16_e32 vcc_lo, v12, v9
	v_dual_cndmask_b32 v4, v11, v4 :: v_dual_cndmask_b32 v3, v10, v3
	s_delay_alu instid0(VALU_DEP_3) | instskip(NEXT) | instid1(VALU_DEP_1)
	v_dual_cndmask_b32 v2, v2, v14 :: v_dual_cndmask_b32 v1, v1, v13
	v_cmp_ge_u64_e32 vcc_lo, v[1:2], v[3:4]
	s_or_b32 s4, vcc_lo, s4
	s_delay_alu instid0(SALU_CYCLE_1)
	s_and_not1_b32 exec_lo, exec_lo, s4
	s_cbranch_execnz .LBB481_27
; %bb.28:
	s_or_b32 exec_lo, exec_lo, s4
.LBB481_29:
	s_mov_b32 s4, 0
	s_mov_b32 s5, exec_lo
	s_delay_alu instid0(VALU_DEP_1)
	v_cmpx_ne_u64_e64 s[18:19], v[1:2]
	s_cbranch_execz .LBB481_31
; %bb.30:
	v_lshlrev_b64 v[1:2], 1, v[1:2]
	s_delay_alu instid0(VALU_DEP_1) | instskip(NEXT) | instid1(VALU_DEP_2)
	v_add_co_u32 v1, vcc_lo, s16, v1
	v_add_co_ci_u32_e32 v2, vcc_lo, s17, v2, vcc_lo
	global_load_u16 v1, v[1:2], off
	s_waitcnt vmcnt(0) lgkmcnt(3)
	v_cmp_le_u16_e32 vcc_lo, v1, v9
	s_and_b32 s4, vcc_lo, exec_lo
.LBB481_31:
	s_or_b32 exec_lo, exec_lo, s5
	v_cmp_ne_u32_e32 vcc_lo, 1, v7
	v_mov_b32_e32 v1, 0
	v_mov_b32_e32 v2, 0
	s_cbranch_vccnz .LBB481_35
; %bb.32:
	v_dual_mov_b32 v3, s18 :: v_dual_mov_b32 v4, s19
	s_mov_b32 s5, 0
	.p2align	6
.LBB481_33:                             ; =>This Inner Loop Header: Depth=1
	s_waitcnt vmcnt(3) lgkmcnt(3)
	s_delay_alu instid0(VALU_DEP_1) | instskip(NEXT) | instid1(VALU_DEP_2)
	v_sub_co_u32 v9, vcc_lo, v3, v1
	v_sub_co_ci_u32_e32 v10, vcc_lo, v4, v2, vcc_lo
	s_delay_alu instid0(VALU_DEP_1) | instskip(SKIP_1) | instid1(VALU_DEP_2)
	v_lshrrev_b64 v[11:12], 1, v[9:10]
	v_lshrrev_b64 v[9:10], 6, v[9:10]
	v_add_co_u32 v11, vcc_lo, v11, v1
	s_delay_alu instid0(VALU_DEP_3) | instskip(NEXT) | instid1(VALU_DEP_2)
	v_add_co_ci_u32_e32 v12, vcc_lo, v12, v2, vcc_lo
	v_add_co_u32 v9, vcc_lo, v11, v9
	s_delay_alu instid0(VALU_DEP_2) | instskip(NEXT) | instid1(VALU_DEP_1)
	v_add_co_ci_u32_e32 v10, vcc_lo, v12, v10, vcc_lo
	v_lshlrev_b64 v[11:12], 1, v[9:10]
	s_delay_alu instid0(VALU_DEP_1) | instskip(NEXT) | instid1(VALU_DEP_2)
	v_add_co_u32 v11, vcc_lo, s16, v11
	v_add_co_ci_u32_e32 v12, vcc_lo, s17, v12, vcc_lo
	global_load_u16 v11, v[11:12], off
	v_add_co_u32 v12, vcc_lo, v9, 1
	v_add_co_ci_u32_e32 v13, vcc_lo, 0, v10, vcc_lo
	s_waitcnt vmcnt(0) lgkmcnt(2)
	v_cmp_lt_u16_e32 vcc_lo, v11, v8
	v_dual_cndmask_b32 v4, v10, v4 :: v_dual_cndmask_b32 v3, v9, v3
	s_delay_alu instid0(VALU_DEP_3) | instskip(NEXT) | instid1(VALU_DEP_1)
	v_dual_cndmask_b32 v2, v2, v13 :: v_dual_cndmask_b32 v1, v1, v12
	v_cmp_ge_u64_e32 vcc_lo, v[1:2], v[3:4]
	s_or_b32 s5, vcc_lo, s5
	s_delay_alu instid0(SALU_CYCLE_1)
	s_and_not1_b32 exec_lo, exec_lo, s5
	s_cbranch_execnz .LBB481_33
; %bb.34:
	s_or_b32 exec_lo, exec_lo, s5
.LBB481_35:
	s_mov_b32 s5, 0
	s_mov_b32 s6, exec_lo
	s_delay_alu instid0(VALU_DEP_1)
	v_cmpx_ne_u64_e64 s[18:19], v[1:2]
	s_cbranch_execz .LBB481_37
; %bb.36:
	v_lshlrev_b64 v[1:2], 1, v[1:2]
	s_delay_alu instid0(VALU_DEP_1) | instskip(NEXT) | instid1(VALU_DEP_2)
	v_add_co_u32 v1, vcc_lo, s16, v1
	v_add_co_ci_u32_e32 v2, vcc_lo, s17, v2, vcc_lo
	global_load_u16 v1, v[1:2], off
	s_waitcnt vmcnt(0) lgkmcnt(2)
	v_cmp_le_u16_e32 vcc_lo, v1, v8
	s_and_b32 s5, vcc_lo, exec_lo
.LBB481_37:
	s_or_b32 exec_lo, exec_lo, s6
	v_cmp_ne_u32_e32 vcc_lo, 1, v7
	v_mov_b32_e32 v1, 0
	v_mov_b32_e32 v2, 0
	s_cbranch_vccnz .LBB481_41
; %bb.38:
	v_dual_mov_b32 v3, s18 :: v_dual_mov_b32 v4, s19
	s_mov_b32 s6, 0
	.p2align	6
.LBB481_39:                             ; =>This Inner Loop Header: Depth=1
	s_waitcnt vmcnt(2) lgkmcnt(2)
	s_delay_alu instid0(VALU_DEP_1) | instskip(NEXT) | instid1(VALU_DEP_2)
	v_sub_co_u32 v8, vcc_lo, v3, v1
	v_sub_co_ci_u32_e32 v9, vcc_lo, v4, v2, vcc_lo
	s_delay_alu instid0(VALU_DEP_1) | instskip(SKIP_1) | instid1(VALU_DEP_2)
	v_lshrrev_b64 v[10:11], 1, v[8:9]
	v_lshrrev_b64 v[8:9], 6, v[8:9]
	v_add_co_u32 v10, vcc_lo, v10, v1
	s_delay_alu instid0(VALU_DEP_3) | instskip(NEXT) | instid1(VALU_DEP_2)
	v_add_co_ci_u32_e32 v11, vcc_lo, v11, v2, vcc_lo
	v_add_co_u32 v8, vcc_lo, v10, v8
	s_delay_alu instid0(VALU_DEP_2) | instskip(NEXT) | instid1(VALU_DEP_1)
	v_add_co_ci_u32_e32 v9, vcc_lo, v11, v9, vcc_lo
	v_lshlrev_b64 v[10:11], 1, v[8:9]
	s_delay_alu instid0(VALU_DEP_1) | instskip(NEXT) | instid1(VALU_DEP_2)
	v_add_co_u32 v10, vcc_lo, s16, v10
	v_add_co_ci_u32_e32 v11, vcc_lo, s17, v11, vcc_lo
	global_load_u16 v10, v[10:11], off
	v_add_co_u32 v11, vcc_lo, v8, 1
	v_add_co_ci_u32_e32 v12, vcc_lo, 0, v9, vcc_lo
	s_waitcnt vmcnt(0) lgkmcnt(1)
	v_cmp_lt_u16_e32 vcc_lo, v10, v6
	v_dual_cndmask_b32 v4, v9, v4 :: v_dual_cndmask_b32 v3, v8, v3
	s_delay_alu instid0(VALU_DEP_3) | instskip(NEXT) | instid1(VALU_DEP_1)
	v_dual_cndmask_b32 v2, v2, v12 :: v_dual_cndmask_b32 v1, v1, v11
	v_cmp_ge_u64_e32 vcc_lo, v[1:2], v[3:4]
	s_or_b32 s6, vcc_lo, s6
	s_delay_alu instid0(SALU_CYCLE_1)
	s_and_not1_b32 exec_lo, exec_lo, s6
	s_cbranch_execnz .LBB481_39
; %bb.40:
	s_or_b32 exec_lo, exec_lo, s6
.LBB481_41:
	s_mov_b32 s6, 0
	s_mov_b32 s7, exec_lo
	s_delay_alu instid0(VALU_DEP_1)
	v_cmpx_ne_u64_e64 s[18:19], v[1:2]
	s_cbranch_execz .LBB481_43
; %bb.42:
	v_lshlrev_b64 v[1:2], 1, v[1:2]
	s_delay_alu instid0(VALU_DEP_1) | instskip(NEXT) | instid1(VALU_DEP_2)
	v_add_co_u32 v1, vcc_lo, s16, v1
	v_add_co_ci_u32_e32 v2, vcc_lo, s17, v2, vcc_lo
	global_load_u16 v1, v[1:2], off
	s_waitcnt vmcnt(0) lgkmcnt(1)
	v_cmp_le_u16_e32 vcc_lo, v1, v6
	s_and_b32 s6, vcc_lo, exec_lo
.LBB481_43:
	s_or_b32 exec_lo, exec_lo, s7
	v_cmp_ne_u32_e32 vcc_lo, 1, v7
	v_mov_b32_e32 v1, 0
	v_mov_b32_e32 v2, 0
	s_cbranch_vccnz .LBB481_47
; %bb.44:
	v_dual_mov_b32 v3, s18 :: v_dual_mov_b32 v4, s19
	s_mov_b32 s7, 0
	.p2align	6
.LBB481_45:                             ; =>This Inner Loop Header: Depth=1
	s_waitcnt vmcnt(1) lgkmcnt(1)
	s_delay_alu instid0(VALU_DEP_1) | instskip(NEXT) | instid1(VALU_DEP_2)
	v_sub_co_u32 v6, vcc_lo, v3, v1
	v_sub_co_ci_u32_e32 v7, vcc_lo, v4, v2, vcc_lo
	s_delay_alu instid0(VALU_DEP_1) | instskip(SKIP_1) | instid1(VALU_DEP_2)
	v_lshrrev_b64 v[8:9], 1, v[6:7]
	v_lshrrev_b64 v[6:7], 6, v[6:7]
	v_add_co_u32 v8, vcc_lo, v8, v1
	s_delay_alu instid0(VALU_DEP_3) | instskip(NEXT) | instid1(VALU_DEP_2)
	v_add_co_ci_u32_e32 v9, vcc_lo, v9, v2, vcc_lo
	v_add_co_u32 v6, vcc_lo, v8, v6
	s_delay_alu instid0(VALU_DEP_2) | instskip(NEXT) | instid1(VALU_DEP_1)
	v_add_co_ci_u32_e32 v7, vcc_lo, v9, v7, vcc_lo
	v_lshlrev_b64 v[8:9], 1, v[6:7]
	s_delay_alu instid0(VALU_DEP_1) | instskip(NEXT) | instid1(VALU_DEP_2)
	v_add_co_u32 v8, vcc_lo, s16, v8
	v_add_co_ci_u32_e32 v9, vcc_lo, s17, v9, vcc_lo
	global_load_u16 v8, v[8:9], off
	v_add_co_u32 v9, vcc_lo, v6, 1
	v_add_co_ci_u32_e32 v10, vcc_lo, 0, v7, vcc_lo
	s_waitcnt vmcnt(0) lgkmcnt(0)
	v_cmp_lt_u16_e32 vcc_lo, v8, v5
	v_dual_cndmask_b32 v4, v7, v4 :: v_dual_cndmask_b32 v3, v6, v3
	s_delay_alu instid0(VALU_DEP_3) | instskip(NEXT) | instid1(VALU_DEP_1)
	v_dual_cndmask_b32 v2, v2, v10 :: v_dual_cndmask_b32 v1, v1, v9
	v_cmp_ge_u64_e32 vcc_lo, v[1:2], v[3:4]
	s_or_b32 s7, vcc_lo, s7
	s_delay_alu instid0(SALU_CYCLE_1)
	s_and_not1_b32 exec_lo, exec_lo, s7
	s_cbranch_execnz .LBB481_45
; %bb.46:
	s_or_b32 exec_lo, exec_lo, s7
.LBB481_47:
	s_mov_b32 s7, 0
	s_mov_b32 s11, 0
	s_mov_b32 s15, exec_lo
	v_cmpx_ne_u64_e64 s[18:19], v[1:2]
	s_cbranch_execz .LBB481_49
; %bb.48:
	v_lshlrev_b64 v[1:2], 1, v[1:2]
	s_delay_alu instid0(VALU_DEP_1) | instskip(NEXT) | instid1(VALU_DEP_2)
	v_add_co_u32 v1, vcc_lo, s16, v1
	v_add_co_ci_u32_e32 v2, vcc_lo, s17, v2, vcc_lo
	global_load_u16 v1, v[1:2], off
	s_waitcnt vmcnt(0) lgkmcnt(0)
	v_cmp_le_u16_e32 vcc_lo, v1, v5
	s_and_b32 s11, vcc_lo, exec_lo
.LBB481_49:
	s_or_b32 exec_lo, exec_lo, s15
	s_waitcnt vmcnt(2) lgkmcnt(2)
	v_cndmask_b32_e64 v8, 0, 1, s0
	s_add_u32 s0, s9, s10
	v_cndmask_b32_e64 v7, 0, 1, s3
	s_addc_u32 s3, s12, 0
	v_add_co_u32 v1, s0, s0, v0
	s_delay_alu instid0(VALU_DEP_1)
	v_add_co_ci_u32_e64 v2, null, s3, 0, s0
	v_cndmask_b32_e64 v9, 0, 1, s1
	v_cndmask_b32_e64 v10, 0, 1, s2
	s_waitcnt vmcnt(1) lgkmcnt(1)
	v_cndmask_b32_e64 v6, 0, 1, s4
	v_cndmask_b32_e64 v4, 0, 1, s6
	s_waitcnt vmcnt(0) lgkmcnt(0)
	v_cndmask_b32_e64 v5, 0, 1, s5
	v_cndmask_b32_e64 v3, 0, 1, s11
	s_mov_b32 s11, -1
	s_clause 0x6
	flat_store_b8 v[1:2], v8
	flat_store_b8 v[1:2], v9 offset:64
	flat_store_b8 v[1:2], v10 offset:128
	;; [unrolled: 1-line block ×6, first 2 shown]
	s_and_b32 vcc_lo, exec_lo, s7
	s_cbranch_vccnz .LBB481_51
	s_branch .LBB481_141
.LBB481_50:
                                        ; implicit-def: $vgpr3
                                        ; implicit-def: $vgpr1_vgpr2
	s_and_b32 vcc_lo, exec_lo, s7
	s_cbranch_vccz .LBB481_141
.LBB481_51:
	s_sub_i32 s7, s8, s10
                                        ; implicit-def: $vgpr1_vgpr2_vgpr3_vgpr4
	s_delay_alu instid0(SALU_CYCLE_1) | instskip(NEXT) | instid1(VALU_DEP_1)
	v_cmp_gt_u32_e64 s0, s7, v0
	s_and_saveexec_b32 s1, s0
	s_cbranch_execz .LBB481_53
; %bb.52:
	v_lshlrev_b32_e32 v1, 1, v0
	s_delay_alu instid0(VALU_DEP_1) | instskip(NEXT) | instid1(VALU_DEP_1)
	v_add_co_u32 v1, s2, s13, v1
	v_add_co_ci_u32_e64 v2, null, s14, 0, s2
	flat_load_d16_b16 v1, v[1:2]
.LBB481_53:
	s_or_b32 exec_lo, exec_lo, s1
	v_or_b32_e32 v5, 64, v0
	s_delay_alu instid0(VALU_DEP_1) | instskip(NEXT) | instid1(VALU_DEP_1)
	v_cmp_gt_u32_e64 s1, s7, v5
	s_and_saveexec_b32 s2, s1
	s_cbranch_execz .LBB481_55
; %bb.54:
	v_lshlrev_b32_e32 v5, 1, v0
	s_delay_alu instid0(VALU_DEP_1) | instskip(NEXT) | instid1(VALU_DEP_1)
	v_add_co_u32 v5, s3, s13, v5
	v_add_co_ci_u32_e64 v6, null, s14, 0, s3
	s_waitcnt vmcnt(0) lgkmcnt(0)
	flat_load_d16_hi_b16 v1, v[5:6] offset:128
.LBB481_55:
	s_or_b32 exec_lo, exec_lo, s2
	v_or_b32_e32 v5, 0x80, v0
	s_delay_alu instid0(VALU_DEP_1) | instskip(NEXT) | instid1(VALU_DEP_1)
	v_cmp_gt_u32_e64 s2, s7, v5
	s_and_saveexec_b32 s3, s2
	s_cbranch_execz .LBB481_57
; %bb.56:
	v_lshlrev_b32_e32 v5, 1, v0
	s_delay_alu instid0(VALU_DEP_1) | instskip(NEXT) | instid1(VALU_DEP_1)
	v_add_co_u32 v5, s4, s13, v5
	v_add_co_ci_u32_e64 v6, null, s14, 0, s4
	flat_load_d16_b16 v2, v[5:6] offset:256
.LBB481_57:
	s_or_b32 exec_lo, exec_lo, s3
	v_or_b32_e32 v5, 0xc0, v0
	s_delay_alu instid0(VALU_DEP_1) | instskip(NEXT) | instid1(VALU_DEP_1)
	v_cmp_gt_u32_e64 s3, s7, v5
	s_and_saveexec_b32 s4, s3
	s_cbranch_execz .LBB481_59
; %bb.58:
	v_lshlrev_b32_e32 v5, 1, v0
	s_delay_alu instid0(VALU_DEP_1) | instskip(NEXT) | instid1(VALU_DEP_1)
	v_add_co_u32 v5, s5, s13, v5
	v_add_co_ci_u32_e64 v6, null, s14, 0, s5
	s_waitcnt vmcnt(0) lgkmcnt(0)
	flat_load_d16_hi_b16 v2, v[5:6] offset:384
.LBB481_59:
	s_or_b32 exec_lo, exec_lo, s4
	v_or_b32_e32 v5, 0x100, v0
	s_delay_alu instid0(VALU_DEP_1) | instskip(NEXT) | instid1(VALU_DEP_1)
	v_cmp_gt_u32_e64 s4, s7, v5
	s_and_saveexec_b32 s5, s4
	s_cbranch_execz .LBB481_61
; %bb.60:
	v_lshlrev_b32_e32 v5, 1, v0
	s_delay_alu instid0(VALU_DEP_1) | instskip(NEXT) | instid1(VALU_DEP_1)
	v_add_co_u32 v5, s6, s13, v5
	v_add_co_ci_u32_e64 v6, null, s14, 0, s6
	flat_load_d16_b16 v3, v[5:6] offset:512
.LBB481_61:
	;; [unrolled: 27-line block ×3, first 2 shown]
	s_or_b32 exec_lo, exec_lo, s8
	v_or_b32_e32 v5, 0x1c0, v0
	s_delay_alu instid0(VALU_DEP_1) | instskip(NEXT) | instid1(VALU_DEP_1)
	v_cmp_gt_u32_e64 s7, s7, v5
	s_and_saveexec_b32 s8, s7
	s_cbranch_execz .LBB481_67
; %bb.66:
	v_lshlrev_b32_e32 v5, 1, v0
	s_delay_alu instid0(VALU_DEP_1) | instskip(NEXT) | instid1(VALU_DEP_1)
	v_add_co_u32 v5, s13, s13, v5
	v_add_co_ci_u32_e64 v6, null, s14, 0, s13
	s_waitcnt vmcnt(0) lgkmcnt(0)
	flat_load_d16_hi_b16 v4, v[5:6] offset:896
.LBB481_67:
	s_or_b32 exec_lo, exec_lo, s8
	s_cmp_lg_u64 s[18:19], 0
                                        ; implicit-def: $vgpr9
	s_cselect_b32 s8, -1, 0
	s_and_saveexec_b32 s13, s0
	s_cbranch_execnz .LBB481_75
; %bb.68:
	s_or_b32 exec_lo, exec_lo, s13
                                        ; implicit-def: $vgpr10
	s_and_saveexec_b32 s13, s1
	s_cbranch_execnz .LBB481_82
.LBB481_69:
	s_or_b32 exec_lo, exec_lo, s13
                                        ; implicit-def: $vgpr7
	s_and_saveexec_b32 s13, s2
	s_cbranch_execnz .LBB481_89
.LBB481_70:
	s_or_b32 exec_lo, exec_lo, s13
                                        ; implicit-def: $vgpr8
	s_and_saveexec_b32 s13, s3
	s_cbranch_execnz .LBB481_96
.LBB481_71:
	s_or_b32 exec_lo, exec_lo, s13
                                        ; implicit-def: $vgpr11
	s_and_saveexec_b32 s13, s4
	s_cbranch_execnz .LBB481_103
.LBB481_72:
	s_or_b32 exec_lo, exec_lo, s13
                                        ; implicit-def: $vgpr12
	s_and_saveexec_b32 s13, s5
	s_cbranch_execnz .LBB481_110
.LBB481_73:
	s_or_b32 exec_lo, exec_lo, s13
                                        ; implicit-def: $vgpr5
	s_and_saveexec_b32 s13, s6
	s_cbranch_execnz .LBB481_117
.LBB481_74:
	s_or_b32 exec_lo, exec_lo, s13
                                        ; implicit-def: $vgpr3
	s_and_saveexec_b32 s13, s7
	s_cbranch_execnz .LBB481_124
	s_branch .LBB481_131
.LBB481_75:
	v_mov_b32_e32 v5, 0
	v_mov_b32_e32 v6, 0
	s_and_not1_b32 vcc_lo, exec_lo, s8
	s_cbranch_vccnz .LBB481_79
; %bb.76:
	v_dual_mov_b32 v7, s18 :: v_dual_mov_b32 v8, s19
	s_mov_b32 s14, 0
	.p2align	6
.LBB481_77:                             ; =>This Inner Loop Header: Depth=1
	s_delay_alu instid0(VALU_DEP_1) | instskip(NEXT) | instid1(VALU_DEP_2)
	v_sub_co_u32 v9, vcc_lo, v7, v5
	v_sub_co_ci_u32_e32 v10, vcc_lo, v8, v6, vcc_lo
	s_delay_alu instid0(VALU_DEP_1) | instskip(SKIP_1) | instid1(VALU_DEP_2)
	v_lshrrev_b64 v[11:12], 1, v[9:10]
	v_lshrrev_b64 v[9:10], 6, v[9:10]
	v_add_co_u32 v11, vcc_lo, v11, v5
	s_delay_alu instid0(VALU_DEP_3) | instskip(NEXT) | instid1(VALU_DEP_2)
	v_add_co_ci_u32_e32 v12, vcc_lo, v12, v6, vcc_lo
	v_add_co_u32 v9, vcc_lo, v11, v9
	s_delay_alu instid0(VALU_DEP_2) | instskip(NEXT) | instid1(VALU_DEP_1)
	v_add_co_ci_u32_e32 v10, vcc_lo, v12, v10, vcc_lo
	v_lshlrev_b64 v[11:12], 1, v[9:10]
	s_delay_alu instid0(VALU_DEP_1) | instskip(NEXT) | instid1(VALU_DEP_2)
	v_add_co_u32 v11, vcc_lo, s16, v11
	v_add_co_ci_u32_e32 v12, vcc_lo, s17, v12, vcc_lo
	global_load_u16 v11, v[11:12], off
	v_add_co_u32 v12, vcc_lo, v9, 1
	v_add_co_ci_u32_e32 v13, vcc_lo, 0, v10, vcc_lo
	s_waitcnt vmcnt(0) lgkmcnt(0)
	v_cmp_lt_u16_e32 vcc_lo, v11, v1
	v_dual_cndmask_b32 v8, v10, v8 :: v_dual_cndmask_b32 v7, v9, v7
	s_delay_alu instid0(VALU_DEP_3) | instskip(NEXT) | instid1(VALU_DEP_1)
	v_dual_cndmask_b32 v6, v6, v13 :: v_dual_cndmask_b32 v5, v5, v12
	v_cmp_ge_u64_e32 vcc_lo, v[5:6], v[7:8]
	s_or_b32 s14, vcc_lo, s14
	s_delay_alu instid0(SALU_CYCLE_1)
	s_and_not1_b32 exec_lo, exec_lo, s14
	s_cbranch_execnz .LBB481_77
; %bb.78:
	s_or_b32 exec_lo, exec_lo, s14
.LBB481_79:
	s_mov_b32 s15, 0
	s_mov_b32 s14, exec_lo
	v_cmpx_ne_u64_e64 s[18:19], v[5:6]
	s_cbranch_execz .LBB481_81
; %bb.80:
	v_lshlrev_b64 v[5:6], 1, v[5:6]
	s_delay_alu instid0(VALU_DEP_1) | instskip(NEXT) | instid1(VALU_DEP_2)
	v_add_co_u32 v5, vcc_lo, s16, v5
	v_add_co_ci_u32_e32 v6, vcc_lo, s17, v6, vcc_lo
	global_load_u16 v5, v[5:6], off
	s_waitcnt vmcnt(0) lgkmcnt(0)
	v_cmp_le_u16_e32 vcc_lo, v5, v1
	s_and_b32 s15, vcc_lo, exec_lo
.LBB481_81:
	s_or_b32 exec_lo, exec_lo, s14
	v_cndmask_b32_e64 v9, 0, 1, s15
	s_or_b32 exec_lo, exec_lo, s13
                                        ; implicit-def: $vgpr10
	s_and_saveexec_b32 s13, s1
	s_cbranch_execz .LBB481_69
.LBB481_82:
	v_mov_b32_e32 v5, 0
	s_waitcnt vmcnt(0) lgkmcnt(0)
	v_lshrrev_b32_e32 v1, 16, v1
	v_mov_b32_e32 v6, 0
	s_and_not1_b32 vcc_lo, exec_lo, s8
	s_cbranch_vccnz .LBB481_86
; %bb.83:
	v_dual_mov_b32 v7, s18 :: v_dual_mov_b32 v8, s19
	s_mov_b32 s14, 0
	.p2align	6
.LBB481_84:                             ; =>This Inner Loop Header: Depth=1
	s_delay_alu instid0(VALU_DEP_1) | instskip(NEXT) | instid1(VALU_DEP_2)
	v_sub_co_u32 v10, vcc_lo, v7, v5
	v_sub_co_ci_u32_e32 v11, vcc_lo, v8, v6, vcc_lo
	s_delay_alu instid0(VALU_DEP_1) | instskip(SKIP_1) | instid1(VALU_DEP_2)
	v_lshrrev_b64 v[12:13], 1, v[10:11]
	v_lshrrev_b64 v[10:11], 6, v[10:11]
	v_add_co_u32 v12, vcc_lo, v12, v5
	s_delay_alu instid0(VALU_DEP_3) | instskip(NEXT) | instid1(VALU_DEP_2)
	v_add_co_ci_u32_e32 v13, vcc_lo, v13, v6, vcc_lo
	v_add_co_u32 v10, vcc_lo, v12, v10
	s_delay_alu instid0(VALU_DEP_2) | instskip(NEXT) | instid1(VALU_DEP_1)
	v_add_co_ci_u32_e32 v11, vcc_lo, v13, v11, vcc_lo
	v_lshlrev_b64 v[12:13], 1, v[10:11]
	s_delay_alu instid0(VALU_DEP_1) | instskip(NEXT) | instid1(VALU_DEP_2)
	v_add_co_u32 v12, vcc_lo, s16, v12
	v_add_co_ci_u32_e32 v13, vcc_lo, s17, v13, vcc_lo
	global_load_u16 v12, v[12:13], off
	v_add_co_u32 v13, vcc_lo, v10, 1
	v_add_co_ci_u32_e32 v14, vcc_lo, 0, v11, vcc_lo
	s_waitcnt vmcnt(0)
	v_cmp_lt_u16_e32 vcc_lo, v12, v1
	v_dual_cndmask_b32 v8, v11, v8 :: v_dual_cndmask_b32 v7, v10, v7
	s_delay_alu instid0(VALU_DEP_3) | instskip(NEXT) | instid1(VALU_DEP_1)
	v_dual_cndmask_b32 v6, v6, v14 :: v_dual_cndmask_b32 v5, v5, v13
	v_cmp_ge_u64_e32 vcc_lo, v[5:6], v[7:8]
	s_or_b32 s14, vcc_lo, s14
	s_delay_alu instid0(SALU_CYCLE_1)
	s_and_not1_b32 exec_lo, exec_lo, s14
	s_cbranch_execnz .LBB481_84
; %bb.85:
	s_or_b32 exec_lo, exec_lo, s14
.LBB481_86:
	s_mov_b32 s15, 0
	s_mov_b32 s14, exec_lo
	v_cmpx_ne_u64_e64 s[18:19], v[5:6]
	s_cbranch_execz .LBB481_88
; %bb.87:
	v_lshlrev_b64 v[5:6], 1, v[5:6]
	s_delay_alu instid0(VALU_DEP_1) | instskip(NEXT) | instid1(VALU_DEP_2)
	v_add_co_u32 v5, vcc_lo, s16, v5
	v_add_co_ci_u32_e32 v6, vcc_lo, s17, v6, vcc_lo
	global_load_u16 v5, v[5:6], off
	s_waitcnt vmcnt(0)
	v_cmp_le_u16_e32 vcc_lo, v5, v1
	s_and_b32 s15, vcc_lo, exec_lo
.LBB481_88:
	s_or_b32 exec_lo, exec_lo, s14
	v_cndmask_b32_e64 v10, 0, 1, s15
	s_or_b32 exec_lo, exec_lo, s13
                                        ; implicit-def: $vgpr7
	s_and_saveexec_b32 s13, s2
	s_cbranch_execz .LBB481_70
.LBB481_89:
	v_mov_b32_e32 v5, 0
	v_mov_b32_e32 v6, 0
	s_and_not1_b32 vcc_lo, exec_lo, s8
	s_cbranch_vccnz .LBB481_93
; %bb.90:
	v_dual_mov_b32 v7, s18 :: v_dual_mov_b32 v8, s19
	s_mov_b32 s14, 0
	.p2align	6
.LBB481_91:                             ; =>This Inner Loop Header: Depth=1
	s_delay_alu instid0(VALU_DEP_1) | instskip(NEXT) | instid1(VALU_DEP_2)
	v_sub_co_u32 v11, vcc_lo, v7, v5
	v_sub_co_ci_u32_e32 v12, vcc_lo, v8, v6, vcc_lo
	s_delay_alu instid0(VALU_DEP_1) | instskip(SKIP_2) | instid1(VALU_DEP_2)
	v_lshrrev_b64 v[13:14], 1, v[11:12]
	v_lshrrev_b64 v[11:12], 6, v[11:12]
	s_waitcnt vmcnt(0) lgkmcnt(0)
	v_add_co_u32 v1, vcc_lo, v13, v5
	s_delay_alu instid0(VALU_DEP_3) | instskip(NEXT) | instid1(VALU_DEP_2)
	v_add_co_ci_u32_e32 v13, vcc_lo, v14, v6, vcc_lo
	v_add_co_u32 v11, vcc_lo, v1, v11
	s_delay_alu instid0(VALU_DEP_2) | instskip(NEXT) | instid1(VALU_DEP_1)
	v_add_co_ci_u32_e32 v12, vcc_lo, v13, v12, vcc_lo
	v_lshlrev_b64 v[13:14], 1, v[11:12]
	s_delay_alu instid0(VALU_DEP_1) | instskip(NEXT) | instid1(VALU_DEP_2)
	v_add_co_u32 v13, vcc_lo, s16, v13
	v_add_co_ci_u32_e32 v14, vcc_lo, s17, v14, vcc_lo
	global_load_u16 v1, v[13:14], off
	v_add_co_u32 v13, vcc_lo, v11, 1
	v_add_co_ci_u32_e32 v14, vcc_lo, 0, v12, vcc_lo
	s_waitcnt vmcnt(0)
	v_cmp_lt_u16_e32 vcc_lo, v1, v2
	v_dual_cndmask_b32 v8, v12, v8 :: v_dual_cndmask_b32 v7, v11, v7
	s_delay_alu instid0(VALU_DEP_3) | instskip(NEXT) | instid1(VALU_DEP_1)
	v_dual_cndmask_b32 v6, v6, v14 :: v_dual_cndmask_b32 v5, v5, v13
	v_cmp_ge_u64_e32 vcc_lo, v[5:6], v[7:8]
	s_or_b32 s14, vcc_lo, s14
	s_delay_alu instid0(SALU_CYCLE_1)
	s_and_not1_b32 exec_lo, exec_lo, s14
	s_cbranch_execnz .LBB481_91
; %bb.92:
	s_or_b32 exec_lo, exec_lo, s14
.LBB481_93:
	s_mov_b32 s15, 0
	s_mov_b32 s14, exec_lo
	v_cmpx_ne_u64_e64 s[18:19], v[5:6]
	s_cbranch_execz .LBB481_95
; %bb.94:
	v_lshlrev_b64 v[5:6], 1, v[5:6]
	s_delay_alu instid0(VALU_DEP_1) | instskip(NEXT) | instid1(VALU_DEP_2)
	v_add_co_u32 v5, vcc_lo, s16, v5
	v_add_co_ci_u32_e32 v6, vcc_lo, s17, v6, vcc_lo
	s_waitcnt lgkmcnt(0)
	global_load_u16 v1, v[5:6], off
	s_waitcnt vmcnt(0)
	v_cmp_le_u16_e32 vcc_lo, v1, v2
	s_and_b32 s15, vcc_lo, exec_lo
.LBB481_95:
	s_or_b32 exec_lo, exec_lo, s14
	v_cndmask_b32_e64 v7, 0, 1, s15
	s_or_b32 exec_lo, exec_lo, s13
                                        ; implicit-def: $vgpr8
	s_and_saveexec_b32 s13, s3
	s_cbranch_execz .LBB481_71
.LBB481_96:
	s_waitcnt vmcnt(0) lgkmcnt(0)
	v_lshrrev_b32_e32 v8, 16, v2
	v_mov_b32_e32 v1, 0
	v_mov_b32_e32 v2, 0
	s_and_not1_b32 vcc_lo, exec_lo, s8
	s_cbranch_vccnz .LBB481_100
; %bb.97:
	v_dual_mov_b32 v5, s18 :: v_dual_mov_b32 v6, s19
	s_mov_b32 s14, 0
	.p2align	6
.LBB481_98:                             ; =>This Inner Loop Header: Depth=1
	s_delay_alu instid0(VALU_DEP_1) | instskip(NEXT) | instid1(VALU_DEP_2)
	v_sub_co_u32 v11, vcc_lo, v5, v1
	v_sub_co_ci_u32_e32 v12, vcc_lo, v6, v2, vcc_lo
	s_delay_alu instid0(VALU_DEP_1) | instskip(SKIP_1) | instid1(VALU_DEP_2)
	v_lshrrev_b64 v[13:14], 1, v[11:12]
	v_lshrrev_b64 v[11:12], 6, v[11:12]
	v_add_co_u32 v13, vcc_lo, v13, v1
	s_delay_alu instid0(VALU_DEP_3) | instskip(NEXT) | instid1(VALU_DEP_2)
	v_add_co_ci_u32_e32 v14, vcc_lo, v14, v2, vcc_lo
	v_add_co_u32 v11, vcc_lo, v13, v11
	s_delay_alu instid0(VALU_DEP_2) | instskip(NEXT) | instid1(VALU_DEP_1)
	v_add_co_ci_u32_e32 v12, vcc_lo, v14, v12, vcc_lo
	v_lshlrev_b64 v[13:14], 1, v[11:12]
	s_delay_alu instid0(VALU_DEP_1) | instskip(NEXT) | instid1(VALU_DEP_2)
	v_add_co_u32 v13, vcc_lo, s16, v13
	v_add_co_ci_u32_e32 v14, vcc_lo, s17, v14, vcc_lo
	global_load_u16 v13, v[13:14], off
	v_add_co_u32 v14, vcc_lo, v11, 1
	v_add_co_ci_u32_e32 v15, vcc_lo, 0, v12, vcc_lo
	s_waitcnt vmcnt(0)
	v_cmp_lt_u16_e32 vcc_lo, v13, v8
	v_dual_cndmask_b32 v6, v12, v6 :: v_dual_cndmask_b32 v5, v11, v5
	s_delay_alu instid0(VALU_DEP_3) | instskip(NEXT) | instid1(VALU_DEP_1)
	v_dual_cndmask_b32 v2, v2, v15 :: v_dual_cndmask_b32 v1, v1, v14
	v_cmp_ge_u64_e32 vcc_lo, v[1:2], v[5:6]
	s_or_b32 s14, vcc_lo, s14
	s_delay_alu instid0(SALU_CYCLE_1)
	s_and_not1_b32 exec_lo, exec_lo, s14
	s_cbranch_execnz .LBB481_98
; %bb.99:
	s_or_b32 exec_lo, exec_lo, s14
.LBB481_100:
	s_mov_b32 s15, 0
	s_mov_b32 s14, exec_lo
	v_cmpx_ne_u64_e64 s[18:19], v[1:2]
	s_cbranch_execz .LBB481_102
; %bb.101:
	v_lshlrev_b64 v[1:2], 1, v[1:2]
	s_delay_alu instid0(VALU_DEP_1) | instskip(NEXT) | instid1(VALU_DEP_2)
	v_add_co_u32 v1, vcc_lo, s16, v1
	v_add_co_ci_u32_e32 v2, vcc_lo, s17, v2, vcc_lo
	global_load_u16 v1, v[1:2], off
	s_waitcnt vmcnt(0)
	v_cmp_le_u16_e32 vcc_lo, v1, v8
	s_and_b32 s15, vcc_lo, exec_lo
.LBB481_102:
	s_or_b32 exec_lo, exec_lo, s14
	v_cndmask_b32_e64 v8, 0, 1, s15
	s_or_b32 exec_lo, exec_lo, s13
                                        ; implicit-def: $vgpr11
	s_and_saveexec_b32 s13, s4
	s_cbranch_execz .LBB481_72
.LBB481_103:
	s_waitcnt vmcnt(0) lgkmcnt(0)
	v_mov_b32_e32 v1, 0
	v_mov_b32_e32 v2, 0
	s_and_not1_b32 vcc_lo, exec_lo, s8
	s_cbranch_vccnz .LBB481_107
; %bb.104:
	v_dual_mov_b32 v5, s18 :: v_dual_mov_b32 v6, s19
	s_mov_b32 s14, 0
	.p2align	6
.LBB481_105:                            ; =>This Inner Loop Header: Depth=1
	s_delay_alu instid0(VALU_DEP_1) | instskip(NEXT) | instid1(VALU_DEP_2)
	v_sub_co_u32 v11, vcc_lo, v5, v1
	v_sub_co_ci_u32_e32 v12, vcc_lo, v6, v2, vcc_lo
	s_delay_alu instid0(VALU_DEP_1) | instskip(SKIP_1) | instid1(VALU_DEP_2)
	v_lshrrev_b64 v[13:14], 1, v[11:12]
	v_lshrrev_b64 v[11:12], 6, v[11:12]
	v_add_co_u32 v13, vcc_lo, v13, v1
	s_delay_alu instid0(VALU_DEP_3) | instskip(NEXT) | instid1(VALU_DEP_2)
	v_add_co_ci_u32_e32 v14, vcc_lo, v14, v2, vcc_lo
	v_add_co_u32 v11, vcc_lo, v13, v11
	s_delay_alu instid0(VALU_DEP_2) | instskip(NEXT) | instid1(VALU_DEP_1)
	v_add_co_ci_u32_e32 v12, vcc_lo, v14, v12, vcc_lo
	v_lshlrev_b64 v[13:14], 1, v[11:12]
	s_delay_alu instid0(VALU_DEP_1) | instskip(NEXT) | instid1(VALU_DEP_2)
	v_add_co_u32 v13, vcc_lo, s16, v13
	v_add_co_ci_u32_e32 v14, vcc_lo, s17, v14, vcc_lo
	global_load_u16 v13, v[13:14], off
	v_add_co_u32 v14, vcc_lo, v11, 1
	v_add_co_ci_u32_e32 v15, vcc_lo, 0, v12, vcc_lo
	s_waitcnt vmcnt(0)
	v_cmp_lt_u16_e32 vcc_lo, v13, v3
	v_dual_cndmask_b32 v6, v12, v6 :: v_dual_cndmask_b32 v5, v11, v5
	s_delay_alu instid0(VALU_DEP_3) | instskip(NEXT) | instid1(VALU_DEP_1)
	v_dual_cndmask_b32 v2, v2, v15 :: v_dual_cndmask_b32 v1, v1, v14
	v_cmp_ge_u64_e32 vcc_lo, v[1:2], v[5:6]
	s_or_b32 s14, vcc_lo, s14
	s_delay_alu instid0(SALU_CYCLE_1)
	s_and_not1_b32 exec_lo, exec_lo, s14
	s_cbranch_execnz .LBB481_105
; %bb.106:
	s_or_b32 exec_lo, exec_lo, s14
.LBB481_107:
	s_mov_b32 s15, 0
	s_mov_b32 s14, exec_lo
	v_cmpx_ne_u64_e64 s[18:19], v[1:2]
	s_cbranch_execz .LBB481_109
; %bb.108:
	v_lshlrev_b64 v[1:2], 1, v[1:2]
	s_delay_alu instid0(VALU_DEP_1) | instskip(NEXT) | instid1(VALU_DEP_2)
	v_add_co_u32 v1, vcc_lo, s16, v1
	v_add_co_ci_u32_e32 v2, vcc_lo, s17, v2, vcc_lo
	global_load_u16 v1, v[1:2], off
	s_waitcnt vmcnt(0)
	v_cmp_le_u16_e32 vcc_lo, v1, v3
	s_and_b32 s15, vcc_lo, exec_lo
.LBB481_109:
	s_or_b32 exec_lo, exec_lo, s14
	v_cndmask_b32_e64 v11, 0, 1, s15
	s_or_b32 exec_lo, exec_lo, s13
                                        ; implicit-def: $vgpr12
	s_and_saveexec_b32 s13, s5
	s_cbranch_execz .LBB481_73
.LBB481_110:
	s_waitcnt vmcnt(0) lgkmcnt(0)
	v_mov_b32_e32 v1, 0
	v_lshrrev_b32_e32 v3, 16, v3
	v_mov_b32_e32 v2, 0
	s_and_not1_b32 vcc_lo, exec_lo, s8
	s_cbranch_vccnz .LBB481_114
; %bb.111:
	v_dual_mov_b32 v5, s18 :: v_dual_mov_b32 v6, s19
	s_mov_b32 s14, 0
	.p2align	6
.LBB481_112:                            ; =>This Inner Loop Header: Depth=1
	s_delay_alu instid0(VALU_DEP_1) | instskip(NEXT) | instid1(VALU_DEP_2)
	v_sub_co_u32 v12, vcc_lo, v5, v1
	v_sub_co_ci_u32_e32 v13, vcc_lo, v6, v2, vcc_lo
	s_delay_alu instid0(VALU_DEP_1) | instskip(SKIP_1) | instid1(VALU_DEP_2)
	v_lshrrev_b64 v[14:15], 1, v[12:13]
	v_lshrrev_b64 v[12:13], 6, v[12:13]
	v_add_co_u32 v14, vcc_lo, v14, v1
	s_delay_alu instid0(VALU_DEP_3) | instskip(NEXT) | instid1(VALU_DEP_2)
	v_add_co_ci_u32_e32 v15, vcc_lo, v15, v2, vcc_lo
	v_add_co_u32 v12, vcc_lo, v14, v12
	s_delay_alu instid0(VALU_DEP_2) | instskip(NEXT) | instid1(VALU_DEP_1)
	v_add_co_ci_u32_e32 v13, vcc_lo, v15, v13, vcc_lo
	v_lshlrev_b64 v[14:15], 1, v[12:13]
	s_delay_alu instid0(VALU_DEP_1) | instskip(NEXT) | instid1(VALU_DEP_2)
	v_add_co_u32 v14, vcc_lo, s16, v14
	v_add_co_ci_u32_e32 v15, vcc_lo, s17, v15, vcc_lo
	global_load_u16 v14, v[14:15], off
	v_add_co_u32 v15, vcc_lo, v12, 1
	v_add_co_ci_u32_e32 v16, vcc_lo, 0, v13, vcc_lo
	s_waitcnt vmcnt(0)
	v_cmp_lt_u16_e32 vcc_lo, v14, v3
	v_dual_cndmask_b32 v6, v13, v6 :: v_dual_cndmask_b32 v5, v12, v5
	s_delay_alu instid0(VALU_DEP_3) | instskip(NEXT) | instid1(VALU_DEP_1)
	v_dual_cndmask_b32 v2, v2, v16 :: v_dual_cndmask_b32 v1, v1, v15
	v_cmp_ge_u64_e32 vcc_lo, v[1:2], v[5:6]
	s_or_b32 s14, vcc_lo, s14
	s_delay_alu instid0(SALU_CYCLE_1)
	s_and_not1_b32 exec_lo, exec_lo, s14
	s_cbranch_execnz .LBB481_112
; %bb.113:
	s_or_b32 exec_lo, exec_lo, s14
.LBB481_114:
	s_mov_b32 s15, 0
	s_mov_b32 s14, exec_lo
	v_cmpx_ne_u64_e64 s[18:19], v[1:2]
	s_cbranch_execz .LBB481_116
; %bb.115:
	v_lshlrev_b64 v[1:2], 1, v[1:2]
	s_delay_alu instid0(VALU_DEP_1) | instskip(NEXT) | instid1(VALU_DEP_2)
	v_add_co_u32 v1, vcc_lo, s16, v1
	v_add_co_ci_u32_e32 v2, vcc_lo, s17, v2, vcc_lo
	global_load_u16 v1, v[1:2], off
	s_waitcnt vmcnt(0)
	v_cmp_le_u16_e32 vcc_lo, v1, v3
	s_and_b32 s15, vcc_lo, exec_lo
.LBB481_116:
	s_or_b32 exec_lo, exec_lo, s14
	v_cndmask_b32_e64 v12, 0, 1, s15
	s_or_b32 exec_lo, exec_lo, s13
                                        ; implicit-def: $vgpr5
	s_and_saveexec_b32 s13, s6
	s_cbranch_execz .LBB481_74
.LBB481_117:
	s_waitcnt vmcnt(0) lgkmcnt(0)
	v_mov_b32_e32 v1, 0
	v_mov_b32_e32 v2, 0
	s_and_not1_b32 vcc_lo, exec_lo, s8
	s_cbranch_vccnz .LBB481_121
; %bb.118:
	v_dual_mov_b32 v5, s18 :: v_dual_mov_b32 v6, s19
	s_mov_b32 s14, 0
	.p2align	6
.LBB481_119:                            ; =>This Inner Loop Header: Depth=1
	s_delay_alu instid0(VALU_DEP_1) | instskip(NEXT) | instid1(VALU_DEP_2)
	v_sub_co_u32 v13, vcc_lo, v5, v1
	v_sub_co_ci_u32_e32 v14, vcc_lo, v6, v2, vcc_lo
	s_delay_alu instid0(VALU_DEP_1) | instskip(SKIP_1) | instid1(VALU_DEP_2)
	v_lshrrev_b64 v[15:16], 1, v[13:14]
	v_lshrrev_b64 v[13:14], 6, v[13:14]
	v_add_co_u32 v3, vcc_lo, v15, v1
	s_delay_alu instid0(VALU_DEP_3) | instskip(NEXT) | instid1(VALU_DEP_2)
	v_add_co_ci_u32_e32 v15, vcc_lo, v16, v2, vcc_lo
	v_add_co_u32 v13, vcc_lo, v3, v13
	s_delay_alu instid0(VALU_DEP_2) | instskip(NEXT) | instid1(VALU_DEP_1)
	v_add_co_ci_u32_e32 v14, vcc_lo, v15, v14, vcc_lo
	v_lshlrev_b64 v[15:16], 1, v[13:14]
	s_delay_alu instid0(VALU_DEP_1) | instskip(NEXT) | instid1(VALU_DEP_2)
	v_add_co_u32 v15, vcc_lo, s16, v15
	v_add_co_ci_u32_e32 v16, vcc_lo, s17, v16, vcc_lo
	global_load_u16 v3, v[15:16], off
	v_add_co_u32 v15, vcc_lo, v13, 1
	v_add_co_ci_u32_e32 v16, vcc_lo, 0, v14, vcc_lo
	s_waitcnt vmcnt(0)
	v_cmp_lt_u16_e32 vcc_lo, v3, v4
	v_dual_cndmask_b32 v6, v14, v6 :: v_dual_cndmask_b32 v5, v13, v5
	s_delay_alu instid0(VALU_DEP_3) | instskip(NEXT) | instid1(VALU_DEP_1)
	v_dual_cndmask_b32 v2, v2, v16 :: v_dual_cndmask_b32 v1, v1, v15
	v_cmp_ge_u64_e32 vcc_lo, v[1:2], v[5:6]
	s_or_b32 s14, vcc_lo, s14
	s_delay_alu instid0(SALU_CYCLE_1)
	s_and_not1_b32 exec_lo, exec_lo, s14
	s_cbranch_execnz .LBB481_119
; %bb.120:
	s_or_b32 exec_lo, exec_lo, s14
.LBB481_121:
	s_mov_b32 s15, 0
	s_mov_b32 s14, exec_lo
	v_cmpx_ne_u64_e64 s[18:19], v[1:2]
	s_cbranch_execz .LBB481_123
; %bb.122:
	v_lshlrev_b64 v[1:2], 1, v[1:2]
	s_delay_alu instid0(VALU_DEP_1) | instskip(NEXT) | instid1(VALU_DEP_2)
	v_add_co_u32 v1, vcc_lo, s16, v1
	v_add_co_ci_u32_e32 v2, vcc_lo, s17, v2, vcc_lo
	global_load_u16 v1, v[1:2], off
	s_waitcnt vmcnt(0)
	v_cmp_le_u16_e32 vcc_lo, v1, v4
	s_and_b32 s15, vcc_lo, exec_lo
.LBB481_123:
	s_or_b32 exec_lo, exec_lo, s14
	v_cndmask_b32_e64 v5, 0, 1, s15
	s_or_b32 exec_lo, exec_lo, s13
                                        ; implicit-def: $vgpr3
	s_and_saveexec_b32 s13, s7
	s_cbranch_execz .LBB481_131
.LBB481_124:
	s_waitcnt vmcnt(0) lgkmcnt(0)
	v_mov_b32_e32 v1, 0
	v_lshrrev_b32_e32 v6, 16, v4
	v_mov_b32_e32 v2, 0
	s_and_not1_b32 vcc_lo, exec_lo, s8
	s_cbranch_vccnz .LBB481_128
; %bb.125:
	v_dual_mov_b32 v3, s18 :: v_dual_mov_b32 v4, s19
	s_mov_b32 s8, 0
	.p2align	6
.LBB481_126:                            ; =>This Inner Loop Header: Depth=1
	s_delay_alu instid0(VALU_DEP_1) | instskip(NEXT) | instid1(VALU_DEP_2)
	v_sub_co_u32 v13, vcc_lo, v3, v1
	v_sub_co_ci_u32_e32 v14, vcc_lo, v4, v2, vcc_lo
	s_delay_alu instid0(VALU_DEP_1) | instskip(SKIP_1) | instid1(VALU_DEP_2)
	v_lshrrev_b64 v[15:16], 1, v[13:14]
	v_lshrrev_b64 v[13:14], 6, v[13:14]
	v_add_co_u32 v15, vcc_lo, v15, v1
	s_delay_alu instid0(VALU_DEP_3) | instskip(NEXT) | instid1(VALU_DEP_2)
	v_add_co_ci_u32_e32 v16, vcc_lo, v16, v2, vcc_lo
	v_add_co_u32 v13, vcc_lo, v15, v13
	s_delay_alu instid0(VALU_DEP_2) | instskip(NEXT) | instid1(VALU_DEP_1)
	v_add_co_ci_u32_e32 v14, vcc_lo, v16, v14, vcc_lo
	v_lshlrev_b64 v[15:16], 1, v[13:14]
	s_delay_alu instid0(VALU_DEP_1) | instskip(NEXT) | instid1(VALU_DEP_2)
	v_add_co_u32 v15, vcc_lo, s16, v15
	v_add_co_ci_u32_e32 v16, vcc_lo, s17, v16, vcc_lo
	global_load_u16 v15, v[15:16], off
	v_add_co_u32 v16, vcc_lo, v13, 1
	v_add_co_ci_u32_e32 v17, vcc_lo, 0, v14, vcc_lo
	s_waitcnt vmcnt(0)
	v_cmp_lt_u16_e32 vcc_lo, v15, v6
	v_dual_cndmask_b32 v4, v14, v4 :: v_dual_cndmask_b32 v3, v13, v3
	s_delay_alu instid0(VALU_DEP_3) | instskip(NEXT) | instid1(VALU_DEP_1)
	v_dual_cndmask_b32 v2, v2, v17 :: v_dual_cndmask_b32 v1, v1, v16
	v_cmp_ge_u64_e32 vcc_lo, v[1:2], v[3:4]
	s_or_b32 s8, vcc_lo, s8
	s_delay_alu instid0(SALU_CYCLE_1)
	s_and_not1_b32 exec_lo, exec_lo, s8
	s_cbranch_execnz .LBB481_126
; %bb.127:
	s_or_b32 exec_lo, exec_lo, s8
.LBB481_128:
	s_mov_b32 s14, 0
	s_mov_b32 s8, exec_lo
	v_cmpx_ne_u64_e64 s[18:19], v[1:2]
	s_cbranch_execz .LBB481_130
; %bb.129:
	v_lshlrev_b64 v[1:2], 1, v[1:2]
	s_delay_alu instid0(VALU_DEP_1) | instskip(NEXT) | instid1(VALU_DEP_2)
	v_add_co_u32 v1, vcc_lo, s16, v1
	v_add_co_ci_u32_e32 v2, vcc_lo, s17, v2, vcc_lo
	global_load_u16 v1, v[1:2], off
	s_waitcnt vmcnt(0)
	v_cmp_le_u16_e32 vcc_lo, v1, v6
	s_and_b32 s14, vcc_lo, exec_lo
.LBB481_130:
	s_or_b32 exec_lo, exec_lo, s8
	v_cndmask_b32_e64 v3, 0, 1, s14
.LBB481_131:
	s_or_b32 exec_lo, exec_lo, s13
	s_add_u32 s8, s9, s10
	s_addc_u32 s9, s12, 0
	s_waitcnt vmcnt(0) lgkmcnt(0)
	v_add_co_u32 v1, s8, s8, v0
	s_delay_alu instid0(VALU_DEP_1) | instskip(SKIP_1) | instid1(SALU_CYCLE_1)
	v_add_co_ci_u32_e64 v2, null, s9, 0, s8
	s_and_saveexec_b32 s8, s0
	s_xor_b32 s0, exec_lo, s8
	s_cbranch_execnz .LBB481_144
; %bb.132:
	s_or_b32 exec_lo, exec_lo, s0
	s_and_saveexec_b32 s0, s1
	s_cbranch_execnz .LBB481_145
.LBB481_133:
	s_or_b32 exec_lo, exec_lo, s0
	s_and_saveexec_b32 s0, s2
	s_cbranch_execnz .LBB481_146
.LBB481_134:
	s_or_b32 exec_lo, exec_lo, s0
	s_and_saveexec_b32 s0, s3
	s_cbranch_execnz .LBB481_147
.LBB481_135:
	s_or_b32 exec_lo, exec_lo, s0
	s_and_saveexec_b32 s0, s4
	s_cbranch_execnz .LBB481_148
.LBB481_136:
	s_or_b32 exec_lo, exec_lo, s0
	s_and_saveexec_b32 s0, s5
	s_cbranch_execnz .LBB481_149
.LBB481_137:
	s_or_b32 exec_lo, exec_lo, s0
	s_and_saveexec_b32 s0, s6
	s_cbranch_execnz .LBB481_150
.LBB481_138:
	s_or_b32 exec_lo, exec_lo, s0
	s_and_saveexec_b32 s0, s7
.LBB481_139:
	s_or_b32 s11, s11, exec_lo
.LBB481_140:
	s_or_b32 exec_lo, exec_lo, s0
.LBB481_141:
	s_and_saveexec_b32 s0, s11
	s_cbranch_execnz .LBB481_143
; %bb.142:
	s_endpgm
.LBB481_143:
	flat_store_b8 v[1:2], v3 offset:448
	s_endpgm
.LBB481_144:
	flat_store_b8 v[1:2], v9
	s_or_b32 exec_lo, exec_lo, s0
	s_and_saveexec_b32 s0, s1
	s_cbranch_execz .LBB481_133
.LBB481_145:
	flat_store_b8 v[1:2], v10 offset:64
	s_or_b32 exec_lo, exec_lo, s0
	s_and_saveexec_b32 s0, s2
	s_cbranch_execz .LBB481_134
.LBB481_146:
	flat_store_b8 v[1:2], v7 offset:128
	s_or_b32 exec_lo, exec_lo, s0
	s_and_saveexec_b32 s0, s3
	s_cbranch_execz .LBB481_135
.LBB481_147:
	flat_store_b8 v[1:2], v8 offset:192
	s_or_b32 exec_lo, exec_lo, s0
	s_and_saveexec_b32 s0, s4
	s_cbranch_execz .LBB481_136
.LBB481_148:
	flat_store_b8 v[1:2], v11 offset:256
	s_or_b32 exec_lo, exec_lo, s0
	s_and_saveexec_b32 s0, s5
	s_cbranch_execz .LBB481_137
.LBB481_149:
	flat_store_b8 v[1:2], v12 offset:320
	s_or_b32 exec_lo, exec_lo, s0
	s_and_saveexec_b32 s0, s6
	s_cbranch_execz .LBB481_138
.LBB481_150:
	flat_store_b8 v[1:2], v5 offset:384
	s_or_b32 exec_lo, exec_lo, s0
	s_and_saveexec_b32 s0, s7
	s_cbranch_execnz .LBB481_139
	s_branch .LBB481_140
	.section	.rodata,"a",@progbits
	.p2align	6, 0x0
	.amdhsa_kernel _ZN7rocprim17ROCPRIM_400000_NS6detail17trampoline_kernelINS0_14default_configENS1_29binary_search_config_selectorItbEEZNS1_14transform_implILb0ES3_S5_N6thrust23THRUST_200600_302600_NS6detail15normal_iteratorINS8_10device_ptrItEEEENSA_INSB_IbEEEEZNS1_13binary_searchIS3_S5_SD_SD_SF_NS1_16binary_search_opENS9_16wrapped_functionINS0_4lessIvEEbEEEE10hipError_tPvRmT1_T2_T3_mmT4_T5_P12ihipStream_tbEUlRKtE_EESM_SQ_SR_mSS_SV_bEUlT_E_NS1_11comp_targetILNS1_3genE9ELNS1_11target_archE1100ELNS1_3gpuE3ELNS1_3repE0EEENS1_30default_config_static_selectorELNS0_4arch9wavefront6targetE0EEEvSP_
		.amdhsa_group_segment_fixed_size 0
		.amdhsa_private_segment_fixed_size 0
		.amdhsa_kernarg_size 312
		.amdhsa_user_sgpr_count 15
		.amdhsa_user_sgpr_dispatch_ptr 0
		.amdhsa_user_sgpr_queue_ptr 0
		.amdhsa_user_sgpr_kernarg_segment_ptr 1
		.amdhsa_user_sgpr_dispatch_id 0
		.amdhsa_user_sgpr_private_segment_size 0
		.amdhsa_wavefront_size32 1
		.amdhsa_uses_dynamic_stack 0
		.amdhsa_enable_private_segment 0
		.amdhsa_system_sgpr_workgroup_id_x 1
		.amdhsa_system_sgpr_workgroup_id_y 0
		.amdhsa_system_sgpr_workgroup_id_z 0
		.amdhsa_system_sgpr_workgroup_info 0
		.amdhsa_system_vgpr_workitem_id 0
		.amdhsa_next_free_vgpr 18
		.amdhsa_next_free_sgpr 20
		.amdhsa_reserve_vcc 1
		.amdhsa_float_round_mode_32 0
		.amdhsa_float_round_mode_16_64 0
		.amdhsa_float_denorm_mode_32 3
		.amdhsa_float_denorm_mode_16_64 3
		.amdhsa_dx10_clamp 1
		.amdhsa_ieee_mode 1
		.amdhsa_fp16_overflow 0
		.amdhsa_workgroup_processor_mode 1
		.amdhsa_memory_ordered 1
		.amdhsa_forward_progress 0
		.amdhsa_shared_vgpr_count 0
		.amdhsa_exception_fp_ieee_invalid_op 0
		.amdhsa_exception_fp_denorm_src 0
		.amdhsa_exception_fp_ieee_div_zero 0
		.amdhsa_exception_fp_ieee_overflow 0
		.amdhsa_exception_fp_ieee_underflow 0
		.amdhsa_exception_fp_ieee_inexact 0
		.amdhsa_exception_int_div_zero 0
	.end_amdhsa_kernel
	.section	.text._ZN7rocprim17ROCPRIM_400000_NS6detail17trampoline_kernelINS0_14default_configENS1_29binary_search_config_selectorItbEEZNS1_14transform_implILb0ES3_S5_N6thrust23THRUST_200600_302600_NS6detail15normal_iteratorINS8_10device_ptrItEEEENSA_INSB_IbEEEEZNS1_13binary_searchIS3_S5_SD_SD_SF_NS1_16binary_search_opENS9_16wrapped_functionINS0_4lessIvEEbEEEE10hipError_tPvRmT1_T2_T3_mmT4_T5_P12ihipStream_tbEUlRKtE_EESM_SQ_SR_mSS_SV_bEUlT_E_NS1_11comp_targetILNS1_3genE9ELNS1_11target_archE1100ELNS1_3gpuE3ELNS1_3repE0EEENS1_30default_config_static_selectorELNS0_4arch9wavefront6targetE0EEEvSP_,"axG",@progbits,_ZN7rocprim17ROCPRIM_400000_NS6detail17trampoline_kernelINS0_14default_configENS1_29binary_search_config_selectorItbEEZNS1_14transform_implILb0ES3_S5_N6thrust23THRUST_200600_302600_NS6detail15normal_iteratorINS8_10device_ptrItEEEENSA_INSB_IbEEEEZNS1_13binary_searchIS3_S5_SD_SD_SF_NS1_16binary_search_opENS9_16wrapped_functionINS0_4lessIvEEbEEEE10hipError_tPvRmT1_T2_T3_mmT4_T5_P12ihipStream_tbEUlRKtE_EESM_SQ_SR_mSS_SV_bEUlT_E_NS1_11comp_targetILNS1_3genE9ELNS1_11target_archE1100ELNS1_3gpuE3ELNS1_3repE0EEENS1_30default_config_static_selectorELNS0_4arch9wavefront6targetE0EEEvSP_,comdat
.Lfunc_end481:
	.size	_ZN7rocprim17ROCPRIM_400000_NS6detail17trampoline_kernelINS0_14default_configENS1_29binary_search_config_selectorItbEEZNS1_14transform_implILb0ES3_S5_N6thrust23THRUST_200600_302600_NS6detail15normal_iteratorINS8_10device_ptrItEEEENSA_INSB_IbEEEEZNS1_13binary_searchIS3_S5_SD_SD_SF_NS1_16binary_search_opENS9_16wrapped_functionINS0_4lessIvEEbEEEE10hipError_tPvRmT1_T2_T3_mmT4_T5_P12ihipStream_tbEUlRKtE_EESM_SQ_SR_mSS_SV_bEUlT_E_NS1_11comp_targetILNS1_3genE9ELNS1_11target_archE1100ELNS1_3gpuE3ELNS1_3repE0EEENS1_30default_config_static_selectorELNS0_4arch9wavefront6targetE0EEEvSP_, .Lfunc_end481-_ZN7rocprim17ROCPRIM_400000_NS6detail17trampoline_kernelINS0_14default_configENS1_29binary_search_config_selectorItbEEZNS1_14transform_implILb0ES3_S5_N6thrust23THRUST_200600_302600_NS6detail15normal_iteratorINS8_10device_ptrItEEEENSA_INSB_IbEEEEZNS1_13binary_searchIS3_S5_SD_SD_SF_NS1_16binary_search_opENS9_16wrapped_functionINS0_4lessIvEEbEEEE10hipError_tPvRmT1_T2_T3_mmT4_T5_P12ihipStream_tbEUlRKtE_EESM_SQ_SR_mSS_SV_bEUlT_E_NS1_11comp_targetILNS1_3genE9ELNS1_11target_archE1100ELNS1_3gpuE3ELNS1_3repE0EEENS1_30default_config_static_selectorELNS0_4arch9wavefront6targetE0EEEvSP_
                                        ; -- End function
	.section	.AMDGPU.csdata,"",@progbits
; Kernel info:
; codeLenInByte = 5736
; NumSgprs: 22
; NumVgprs: 18
; ScratchSize: 0
; MemoryBound: 0
; FloatMode: 240
; IeeeMode: 1
; LDSByteSize: 0 bytes/workgroup (compile time only)
; SGPRBlocks: 2
; VGPRBlocks: 2
; NumSGPRsForWavesPerEU: 22
; NumVGPRsForWavesPerEU: 18
; Occupancy: 16
; WaveLimiterHint : 1
; COMPUTE_PGM_RSRC2:SCRATCH_EN: 0
; COMPUTE_PGM_RSRC2:USER_SGPR: 15
; COMPUTE_PGM_RSRC2:TRAP_HANDLER: 0
; COMPUTE_PGM_RSRC2:TGID_X_EN: 1
; COMPUTE_PGM_RSRC2:TGID_Y_EN: 0
; COMPUTE_PGM_RSRC2:TGID_Z_EN: 0
; COMPUTE_PGM_RSRC2:TIDIG_COMP_CNT: 0
	.section	.text._ZN7rocprim17ROCPRIM_400000_NS6detail17trampoline_kernelINS0_14default_configENS1_29binary_search_config_selectorItbEEZNS1_14transform_implILb0ES3_S5_N6thrust23THRUST_200600_302600_NS6detail15normal_iteratorINS8_10device_ptrItEEEENSA_INSB_IbEEEEZNS1_13binary_searchIS3_S5_SD_SD_SF_NS1_16binary_search_opENS9_16wrapped_functionINS0_4lessIvEEbEEEE10hipError_tPvRmT1_T2_T3_mmT4_T5_P12ihipStream_tbEUlRKtE_EESM_SQ_SR_mSS_SV_bEUlT_E_NS1_11comp_targetILNS1_3genE8ELNS1_11target_archE1030ELNS1_3gpuE2ELNS1_3repE0EEENS1_30default_config_static_selectorELNS0_4arch9wavefront6targetE0EEEvSP_,"axG",@progbits,_ZN7rocprim17ROCPRIM_400000_NS6detail17trampoline_kernelINS0_14default_configENS1_29binary_search_config_selectorItbEEZNS1_14transform_implILb0ES3_S5_N6thrust23THRUST_200600_302600_NS6detail15normal_iteratorINS8_10device_ptrItEEEENSA_INSB_IbEEEEZNS1_13binary_searchIS3_S5_SD_SD_SF_NS1_16binary_search_opENS9_16wrapped_functionINS0_4lessIvEEbEEEE10hipError_tPvRmT1_T2_T3_mmT4_T5_P12ihipStream_tbEUlRKtE_EESM_SQ_SR_mSS_SV_bEUlT_E_NS1_11comp_targetILNS1_3genE8ELNS1_11target_archE1030ELNS1_3gpuE2ELNS1_3repE0EEENS1_30default_config_static_selectorELNS0_4arch9wavefront6targetE0EEEvSP_,comdat
	.protected	_ZN7rocprim17ROCPRIM_400000_NS6detail17trampoline_kernelINS0_14default_configENS1_29binary_search_config_selectorItbEEZNS1_14transform_implILb0ES3_S5_N6thrust23THRUST_200600_302600_NS6detail15normal_iteratorINS8_10device_ptrItEEEENSA_INSB_IbEEEEZNS1_13binary_searchIS3_S5_SD_SD_SF_NS1_16binary_search_opENS9_16wrapped_functionINS0_4lessIvEEbEEEE10hipError_tPvRmT1_T2_T3_mmT4_T5_P12ihipStream_tbEUlRKtE_EESM_SQ_SR_mSS_SV_bEUlT_E_NS1_11comp_targetILNS1_3genE8ELNS1_11target_archE1030ELNS1_3gpuE2ELNS1_3repE0EEENS1_30default_config_static_selectorELNS0_4arch9wavefront6targetE0EEEvSP_ ; -- Begin function _ZN7rocprim17ROCPRIM_400000_NS6detail17trampoline_kernelINS0_14default_configENS1_29binary_search_config_selectorItbEEZNS1_14transform_implILb0ES3_S5_N6thrust23THRUST_200600_302600_NS6detail15normal_iteratorINS8_10device_ptrItEEEENSA_INSB_IbEEEEZNS1_13binary_searchIS3_S5_SD_SD_SF_NS1_16binary_search_opENS9_16wrapped_functionINS0_4lessIvEEbEEEE10hipError_tPvRmT1_T2_T3_mmT4_T5_P12ihipStream_tbEUlRKtE_EESM_SQ_SR_mSS_SV_bEUlT_E_NS1_11comp_targetILNS1_3genE8ELNS1_11target_archE1030ELNS1_3gpuE2ELNS1_3repE0EEENS1_30default_config_static_selectorELNS0_4arch9wavefront6targetE0EEEvSP_
	.globl	_ZN7rocprim17ROCPRIM_400000_NS6detail17trampoline_kernelINS0_14default_configENS1_29binary_search_config_selectorItbEEZNS1_14transform_implILb0ES3_S5_N6thrust23THRUST_200600_302600_NS6detail15normal_iteratorINS8_10device_ptrItEEEENSA_INSB_IbEEEEZNS1_13binary_searchIS3_S5_SD_SD_SF_NS1_16binary_search_opENS9_16wrapped_functionINS0_4lessIvEEbEEEE10hipError_tPvRmT1_T2_T3_mmT4_T5_P12ihipStream_tbEUlRKtE_EESM_SQ_SR_mSS_SV_bEUlT_E_NS1_11comp_targetILNS1_3genE8ELNS1_11target_archE1030ELNS1_3gpuE2ELNS1_3repE0EEENS1_30default_config_static_selectorELNS0_4arch9wavefront6targetE0EEEvSP_
	.p2align	8
	.type	_ZN7rocprim17ROCPRIM_400000_NS6detail17trampoline_kernelINS0_14default_configENS1_29binary_search_config_selectorItbEEZNS1_14transform_implILb0ES3_S5_N6thrust23THRUST_200600_302600_NS6detail15normal_iteratorINS8_10device_ptrItEEEENSA_INSB_IbEEEEZNS1_13binary_searchIS3_S5_SD_SD_SF_NS1_16binary_search_opENS9_16wrapped_functionINS0_4lessIvEEbEEEE10hipError_tPvRmT1_T2_T3_mmT4_T5_P12ihipStream_tbEUlRKtE_EESM_SQ_SR_mSS_SV_bEUlT_E_NS1_11comp_targetILNS1_3genE8ELNS1_11target_archE1030ELNS1_3gpuE2ELNS1_3repE0EEENS1_30default_config_static_selectorELNS0_4arch9wavefront6targetE0EEEvSP_,@function
_ZN7rocprim17ROCPRIM_400000_NS6detail17trampoline_kernelINS0_14default_configENS1_29binary_search_config_selectorItbEEZNS1_14transform_implILb0ES3_S5_N6thrust23THRUST_200600_302600_NS6detail15normal_iteratorINS8_10device_ptrItEEEENSA_INSB_IbEEEEZNS1_13binary_searchIS3_S5_SD_SD_SF_NS1_16binary_search_opENS9_16wrapped_functionINS0_4lessIvEEbEEEE10hipError_tPvRmT1_T2_T3_mmT4_T5_P12ihipStream_tbEUlRKtE_EESM_SQ_SR_mSS_SV_bEUlT_E_NS1_11comp_targetILNS1_3genE8ELNS1_11target_archE1030ELNS1_3gpuE2ELNS1_3repE0EEENS1_30default_config_static_selectorELNS0_4arch9wavefront6targetE0EEEvSP_: ; @_ZN7rocprim17ROCPRIM_400000_NS6detail17trampoline_kernelINS0_14default_configENS1_29binary_search_config_selectorItbEEZNS1_14transform_implILb0ES3_S5_N6thrust23THRUST_200600_302600_NS6detail15normal_iteratorINS8_10device_ptrItEEEENSA_INSB_IbEEEEZNS1_13binary_searchIS3_S5_SD_SD_SF_NS1_16binary_search_opENS9_16wrapped_functionINS0_4lessIvEEbEEEE10hipError_tPvRmT1_T2_T3_mmT4_T5_P12ihipStream_tbEUlRKtE_EESM_SQ_SR_mSS_SV_bEUlT_E_NS1_11comp_targetILNS1_3genE8ELNS1_11target_archE1030ELNS1_3gpuE2ELNS1_3repE0EEENS1_30default_config_static_selectorELNS0_4arch9wavefront6targetE0EEEvSP_
; %bb.0:
	.section	.rodata,"a",@progbits
	.p2align	6, 0x0
	.amdhsa_kernel _ZN7rocprim17ROCPRIM_400000_NS6detail17trampoline_kernelINS0_14default_configENS1_29binary_search_config_selectorItbEEZNS1_14transform_implILb0ES3_S5_N6thrust23THRUST_200600_302600_NS6detail15normal_iteratorINS8_10device_ptrItEEEENSA_INSB_IbEEEEZNS1_13binary_searchIS3_S5_SD_SD_SF_NS1_16binary_search_opENS9_16wrapped_functionINS0_4lessIvEEbEEEE10hipError_tPvRmT1_T2_T3_mmT4_T5_P12ihipStream_tbEUlRKtE_EESM_SQ_SR_mSS_SV_bEUlT_E_NS1_11comp_targetILNS1_3genE8ELNS1_11target_archE1030ELNS1_3gpuE2ELNS1_3repE0EEENS1_30default_config_static_selectorELNS0_4arch9wavefront6targetE0EEEvSP_
		.amdhsa_group_segment_fixed_size 0
		.amdhsa_private_segment_fixed_size 0
		.amdhsa_kernarg_size 56
		.amdhsa_user_sgpr_count 15
		.amdhsa_user_sgpr_dispatch_ptr 0
		.amdhsa_user_sgpr_queue_ptr 0
		.amdhsa_user_sgpr_kernarg_segment_ptr 1
		.amdhsa_user_sgpr_dispatch_id 0
		.amdhsa_user_sgpr_private_segment_size 0
		.amdhsa_wavefront_size32 1
		.amdhsa_uses_dynamic_stack 0
		.amdhsa_enable_private_segment 0
		.amdhsa_system_sgpr_workgroup_id_x 1
		.amdhsa_system_sgpr_workgroup_id_y 0
		.amdhsa_system_sgpr_workgroup_id_z 0
		.amdhsa_system_sgpr_workgroup_info 0
		.amdhsa_system_vgpr_workitem_id 0
		.amdhsa_next_free_vgpr 1
		.amdhsa_next_free_sgpr 1
		.amdhsa_reserve_vcc 0
		.amdhsa_float_round_mode_32 0
		.amdhsa_float_round_mode_16_64 0
		.amdhsa_float_denorm_mode_32 3
		.amdhsa_float_denorm_mode_16_64 3
		.amdhsa_dx10_clamp 1
		.amdhsa_ieee_mode 1
		.amdhsa_fp16_overflow 0
		.amdhsa_workgroup_processor_mode 1
		.amdhsa_memory_ordered 1
		.amdhsa_forward_progress 0
		.amdhsa_shared_vgpr_count 0
		.amdhsa_exception_fp_ieee_invalid_op 0
		.amdhsa_exception_fp_denorm_src 0
		.amdhsa_exception_fp_ieee_div_zero 0
		.amdhsa_exception_fp_ieee_overflow 0
		.amdhsa_exception_fp_ieee_underflow 0
		.amdhsa_exception_fp_ieee_inexact 0
		.amdhsa_exception_int_div_zero 0
	.end_amdhsa_kernel
	.section	.text._ZN7rocprim17ROCPRIM_400000_NS6detail17trampoline_kernelINS0_14default_configENS1_29binary_search_config_selectorItbEEZNS1_14transform_implILb0ES3_S5_N6thrust23THRUST_200600_302600_NS6detail15normal_iteratorINS8_10device_ptrItEEEENSA_INSB_IbEEEEZNS1_13binary_searchIS3_S5_SD_SD_SF_NS1_16binary_search_opENS9_16wrapped_functionINS0_4lessIvEEbEEEE10hipError_tPvRmT1_T2_T3_mmT4_T5_P12ihipStream_tbEUlRKtE_EESM_SQ_SR_mSS_SV_bEUlT_E_NS1_11comp_targetILNS1_3genE8ELNS1_11target_archE1030ELNS1_3gpuE2ELNS1_3repE0EEENS1_30default_config_static_selectorELNS0_4arch9wavefront6targetE0EEEvSP_,"axG",@progbits,_ZN7rocprim17ROCPRIM_400000_NS6detail17trampoline_kernelINS0_14default_configENS1_29binary_search_config_selectorItbEEZNS1_14transform_implILb0ES3_S5_N6thrust23THRUST_200600_302600_NS6detail15normal_iteratorINS8_10device_ptrItEEEENSA_INSB_IbEEEEZNS1_13binary_searchIS3_S5_SD_SD_SF_NS1_16binary_search_opENS9_16wrapped_functionINS0_4lessIvEEbEEEE10hipError_tPvRmT1_T2_T3_mmT4_T5_P12ihipStream_tbEUlRKtE_EESM_SQ_SR_mSS_SV_bEUlT_E_NS1_11comp_targetILNS1_3genE8ELNS1_11target_archE1030ELNS1_3gpuE2ELNS1_3repE0EEENS1_30default_config_static_selectorELNS0_4arch9wavefront6targetE0EEEvSP_,comdat
.Lfunc_end482:
	.size	_ZN7rocprim17ROCPRIM_400000_NS6detail17trampoline_kernelINS0_14default_configENS1_29binary_search_config_selectorItbEEZNS1_14transform_implILb0ES3_S5_N6thrust23THRUST_200600_302600_NS6detail15normal_iteratorINS8_10device_ptrItEEEENSA_INSB_IbEEEEZNS1_13binary_searchIS3_S5_SD_SD_SF_NS1_16binary_search_opENS9_16wrapped_functionINS0_4lessIvEEbEEEE10hipError_tPvRmT1_T2_T3_mmT4_T5_P12ihipStream_tbEUlRKtE_EESM_SQ_SR_mSS_SV_bEUlT_E_NS1_11comp_targetILNS1_3genE8ELNS1_11target_archE1030ELNS1_3gpuE2ELNS1_3repE0EEENS1_30default_config_static_selectorELNS0_4arch9wavefront6targetE0EEEvSP_, .Lfunc_end482-_ZN7rocprim17ROCPRIM_400000_NS6detail17trampoline_kernelINS0_14default_configENS1_29binary_search_config_selectorItbEEZNS1_14transform_implILb0ES3_S5_N6thrust23THRUST_200600_302600_NS6detail15normal_iteratorINS8_10device_ptrItEEEENSA_INSB_IbEEEEZNS1_13binary_searchIS3_S5_SD_SD_SF_NS1_16binary_search_opENS9_16wrapped_functionINS0_4lessIvEEbEEEE10hipError_tPvRmT1_T2_T3_mmT4_T5_P12ihipStream_tbEUlRKtE_EESM_SQ_SR_mSS_SV_bEUlT_E_NS1_11comp_targetILNS1_3genE8ELNS1_11target_archE1030ELNS1_3gpuE2ELNS1_3repE0EEENS1_30default_config_static_selectorELNS0_4arch9wavefront6targetE0EEEvSP_
                                        ; -- End function
	.section	.AMDGPU.csdata,"",@progbits
; Kernel info:
; codeLenInByte = 0
; NumSgprs: 0
; NumVgprs: 0
; ScratchSize: 0
; MemoryBound: 0
; FloatMode: 240
; IeeeMode: 1
; LDSByteSize: 0 bytes/workgroup (compile time only)
; SGPRBlocks: 0
; VGPRBlocks: 0
; NumSGPRsForWavesPerEU: 1
; NumVGPRsForWavesPerEU: 1
; Occupancy: 16
; WaveLimiterHint : 0
; COMPUTE_PGM_RSRC2:SCRATCH_EN: 0
; COMPUTE_PGM_RSRC2:USER_SGPR: 15
; COMPUTE_PGM_RSRC2:TRAP_HANDLER: 0
; COMPUTE_PGM_RSRC2:TGID_X_EN: 1
; COMPUTE_PGM_RSRC2:TGID_Y_EN: 0
; COMPUTE_PGM_RSRC2:TGID_Z_EN: 0
; COMPUTE_PGM_RSRC2:TIDIG_COMP_CNT: 0
	.section	.text._ZN7rocprim17ROCPRIM_400000_NS6detail17trampoline_kernelINS0_14default_configENS1_29binary_search_config_selectorItiEEZNS1_14transform_implILb0ES3_S5_N6thrust23THRUST_200600_302600_NS6detail15normal_iteratorINS8_10device_ptrItEEEENSA_INSB_IiEEEEZNS1_13binary_searchIS3_S5_SD_SD_SF_NS1_16binary_search_opENS9_16wrapped_functionINS0_4lessIvEEbEEEE10hipError_tPvRmT1_T2_T3_mmT4_T5_P12ihipStream_tbEUlRKtE_EESM_SQ_SR_mSS_SV_bEUlT_E_NS1_11comp_targetILNS1_3genE0ELNS1_11target_archE4294967295ELNS1_3gpuE0ELNS1_3repE0EEENS1_30default_config_static_selectorELNS0_4arch9wavefront6targetE0EEEvSP_,"axG",@progbits,_ZN7rocprim17ROCPRIM_400000_NS6detail17trampoline_kernelINS0_14default_configENS1_29binary_search_config_selectorItiEEZNS1_14transform_implILb0ES3_S5_N6thrust23THRUST_200600_302600_NS6detail15normal_iteratorINS8_10device_ptrItEEEENSA_INSB_IiEEEEZNS1_13binary_searchIS3_S5_SD_SD_SF_NS1_16binary_search_opENS9_16wrapped_functionINS0_4lessIvEEbEEEE10hipError_tPvRmT1_T2_T3_mmT4_T5_P12ihipStream_tbEUlRKtE_EESM_SQ_SR_mSS_SV_bEUlT_E_NS1_11comp_targetILNS1_3genE0ELNS1_11target_archE4294967295ELNS1_3gpuE0ELNS1_3repE0EEENS1_30default_config_static_selectorELNS0_4arch9wavefront6targetE0EEEvSP_,comdat
	.protected	_ZN7rocprim17ROCPRIM_400000_NS6detail17trampoline_kernelINS0_14default_configENS1_29binary_search_config_selectorItiEEZNS1_14transform_implILb0ES3_S5_N6thrust23THRUST_200600_302600_NS6detail15normal_iteratorINS8_10device_ptrItEEEENSA_INSB_IiEEEEZNS1_13binary_searchIS3_S5_SD_SD_SF_NS1_16binary_search_opENS9_16wrapped_functionINS0_4lessIvEEbEEEE10hipError_tPvRmT1_T2_T3_mmT4_T5_P12ihipStream_tbEUlRKtE_EESM_SQ_SR_mSS_SV_bEUlT_E_NS1_11comp_targetILNS1_3genE0ELNS1_11target_archE4294967295ELNS1_3gpuE0ELNS1_3repE0EEENS1_30default_config_static_selectorELNS0_4arch9wavefront6targetE0EEEvSP_ ; -- Begin function _ZN7rocprim17ROCPRIM_400000_NS6detail17trampoline_kernelINS0_14default_configENS1_29binary_search_config_selectorItiEEZNS1_14transform_implILb0ES3_S5_N6thrust23THRUST_200600_302600_NS6detail15normal_iteratorINS8_10device_ptrItEEEENSA_INSB_IiEEEEZNS1_13binary_searchIS3_S5_SD_SD_SF_NS1_16binary_search_opENS9_16wrapped_functionINS0_4lessIvEEbEEEE10hipError_tPvRmT1_T2_T3_mmT4_T5_P12ihipStream_tbEUlRKtE_EESM_SQ_SR_mSS_SV_bEUlT_E_NS1_11comp_targetILNS1_3genE0ELNS1_11target_archE4294967295ELNS1_3gpuE0ELNS1_3repE0EEENS1_30default_config_static_selectorELNS0_4arch9wavefront6targetE0EEEvSP_
	.globl	_ZN7rocprim17ROCPRIM_400000_NS6detail17trampoline_kernelINS0_14default_configENS1_29binary_search_config_selectorItiEEZNS1_14transform_implILb0ES3_S5_N6thrust23THRUST_200600_302600_NS6detail15normal_iteratorINS8_10device_ptrItEEEENSA_INSB_IiEEEEZNS1_13binary_searchIS3_S5_SD_SD_SF_NS1_16binary_search_opENS9_16wrapped_functionINS0_4lessIvEEbEEEE10hipError_tPvRmT1_T2_T3_mmT4_T5_P12ihipStream_tbEUlRKtE_EESM_SQ_SR_mSS_SV_bEUlT_E_NS1_11comp_targetILNS1_3genE0ELNS1_11target_archE4294967295ELNS1_3gpuE0ELNS1_3repE0EEENS1_30default_config_static_selectorELNS0_4arch9wavefront6targetE0EEEvSP_
	.p2align	8
	.type	_ZN7rocprim17ROCPRIM_400000_NS6detail17trampoline_kernelINS0_14default_configENS1_29binary_search_config_selectorItiEEZNS1_14transform_implILb0ES3_S5_N6thrust23THRUST_200600_302600_NS6detail15normal_iteratorINS8_10device_ptrItEEEENSA_INSB_IiEEEEZNS1_13binary_searchIS3_S5_SD_SD_SF_NS1_16binary_search_opENS9_16wrapped_functionINS0_4lessIvEEbEEEE10hipError_tPvRmT1_T2_T3_mmT4_T5_P12ihipStream_tbEUlRKtE_EESM_SQ_SR_mSS_SV_bEUlT_E_NS1_11comp_targetILNS1_3genE0ELNS1_11target_archE4294967295ELNS1_3gpuE0ELNS1_3repE0EEENS1_30default_config_static_selectorELNS0_4arch9wavefront6targetE0EEEvSP_,@function
_ZN7rocprim17ROCPRIM_400000_NS6detail17trampoline_kernelINS0_14default_configENS1_29binary_search_config_selectorItiEEZNS1_14transform_implILb0ES3_S5_N6thrust23THRUST_200600_302600_NS6detail15normal_iteratorINS8_10device_ptrItEEEENSA_INSB_IiEEEEZNS1_13binary_searchIS3_S5_SD_SD_SF_NS1_16binary_search_opENS9_16wrapped_functionINS0_4lessIvEEbEEEE10hipError_tPvRmT1_T2_T3_mmT4_T5_P12ihipStream_tbEUlRKtE_EESM_SQ_SR_mSS_SV_bEUlT_E_NS1_11comp_targetILNS1_3genE0ELNS1_11target_archE4294967295ELNS1_3gpuE0ELNS1_3repE0EEENS1_30default_config_static_selectorELNS0_4arch9wavefront6targetE0EEEvSP_: ; @_ZN7rocprim17ROCPRIM_400000_NS6detail17trampoline_kernelINS0_14default_configENS1_29binary_search_config_selectorItiEEZNS1_14transform_implILb0ES3_S5_N6thrust23THRUST_200600_302600_NS6detail15normal_iteratorINS8_10device_ptrItEEEENSA_INSB_IiEEEEZNS1_13binary_searchIS3_S5_SD_SD_SF_NS1_16binary_search_opENS9_16wrapped_functionINS0_4lessIvEEbEEEE10hipError_tPvRmT1_T2_T3_mmT4_T5_P12ihipStream_tbEUlRKtE_EESM_SQ_SR_mSS_SV_bEUlT_E_NS1_11comp_targetILNS1_3genE0ELNS1_11target_archE4294967295ELNS1_3gpuE0ELNS1_3repE0EEENS1_30default_config_static_selectorELNS0_4arch9wavefront6targetE0EEEvSP_
; %bb.0:
	.section	.rodata,"a",@progbits
	.p2align	6, 0x0
	.amdhsa_kernel _ZN7rocprim17ROCPRIM_400000_NS6detail17trampoline_kernelINS0_14default_configENS1_29binary_search_config_selectorItiEEZNS1_14transform_implILb0ES3_S5_N6thrust23THRUST_200600_302600_NS6detail15normal_iteratorINS8_10device_ptrItEEEENSA_INSB_IiEEEEZNS1_13binary_searchIS3_S5_SD_SD_SF_NS1_16binary_search_opENS9_16wrapped_functionINS0_4lessIvEEbEEEE10hipError_tPvRmT1_T2_T3_mmT4_T5_P12ihipStream_tbEUlRKtE_EESM_SQ_SR_mSS_SV_bEUlT_E_NS1_11comp_targetILNS1_3genE0ELNS1_11target_archE4294967295ELNS1_3gpuE0ELNS1_3repE0EEENS1_30default_config_static_selectorELNS0_4arch9wavefront6targetE0EEEvSP_
		.amdhsa_group_segment_fixed_size 0
		.amdhsa_private_segment_fixed_size 0
		.amdhsa_kernarg_size 56
		.amdhsa_user_sgpr_count 15
		.amdhsa_user_sgpr_dispatch_ptr 0
		.amdhsa_user_sgpr_queue_ptr 0
		.amdhsa_user_sgpr_kernarg_segment_ptr 1
		.amdhsa_user_sgpr_dispatch_id 0
		.amdhsa_user_sgpr_private_segment_size 0
		.amdhsa_wavefront_size32 1
		.amdhsa_uses_dynamic_stack 0
		.amdhsa_enable_private_segment 0
		.amdhsa_system_sgpr_workgroup_id_x 1
		.amdhsa_system_sgpr_workgroup_id_y 0
		.amdhsa_system_sgpr_workgroup_id_z 0
		.amdhsa_system_sgpr_workgroup_info 0
		.amdhsa_system_vgpr_workitem_id 0
		.amdhsa_next_free_vgpr 1
		.amdhsa_next_free_sgpr 1
		.amdhsa_reserve_vcc 0
		.amdhsa_float_round_mode_32 0
		.amdhsa_float_round_mode_16_64 0
		.amdhsa_float_denorm_mode_32 3
		.amdhsa_float_denorm_mode_16_64 3
		.amdhsa_dx10_clamp 1
		.amdhsa_ieee_mode 1
		.amdhsa_fp16_overflow 0
		.amdhsa_workgroup_processor_mode 1
		.amdhsa_memory_ordered 1
		.amdhsa_forward_progress 0
		.amdhsa_shared_vgpr_count 0
		.amdhsa_exception_fp_ieee_invalid_op 0
		.amdhsa_exception_fp_denorm_src 0
		.amdhsa_exception_fp_ieee_div_zero 0
		.amdhsa_exception_fp_ieee_overflow 0
		.amdhsa_exception_fp_ieee_underflow 0
		.amdhsa_exception_fp_ieee_inexact 0
		.amdhsa_exception_int_div_zero 0
	.end_amdhsa_kernel
	.section	.text._ZN7rocprim17ROCPRIM_400000_NS6detail17trampoline_kernelINS0_14default_configENS1_29binary_search_config_selectorItiEEZNS1_14transform_implILb0ES3_S5_N6thrust23THRUST_200600_302600_NS6detail15normal_iteratorINS8_10device_ptrItEEEENSA_INSB_IiEEEEZNS1_13binary_searchIS3_S5_SD_SD_SF_NS1_16binary_search_opENS9_16wrapped_functionINS0_4lessIvEEbEEEE10hipError_tPvRmT1_T2_T3_mmT4_T5_P12ihipStream_tbEUlRKtE_EESM_SQ_SR_mSS_SV_bEUlT_E_NS1_11comp_targetILNS1_3genE0ELNS1_11target_archE4294967295ELNS1_3gpuE0ELNS1_3repE0EEENS1_30default_config_static_selectorELNS0_4arch9wavefront6targetE0EEEvSP_,"axG",@progbits,_ZN7rocprim17ROCPRIM_400000_NS6detail17trampoline_kernelINS0_14default_configENS1_29binary_search_config_selectorItiEEZNS1_14transform_implILb0ES3_S5_N6thrust23THRUST_200600_302600_NS6detail15normal_iteratorINS8_10device_ptrItEEEENSA_INSB_IiEEEEZNS1_13binary_searchIS3_S5_SD_SD_SF_NS1_16binary_search_opENS9_16wrapped_functionINS0_4lessIvEEbEEEE10hipError_tPvRmT1_T2_T3_mmT4_T5_P12ihipStream_tbEUlRKtE_EESM_SQ_SR_mSS_SV_bEUlT_E_NS1_11comp_targetILNS1_3genE0ELNS1_11target_archE4294967295ELNS1_3gpuE0ELNS1_3repE0EEENS1_30default_config_static_selectorELNS0_4arch9wavefront6targetE0EEEvSP_,comdat
.Lfunc_end483:
	.size	_ZN7rocprim17ROCPRIM_400000_NS6detail17trampoline_kernelINS0_14default_configENS1_29binary_search_config_selectorItiEEZNS1_14transform_implILb0ES3_S5_N6thrust23THRUST_200600_302600_NS6detail15normal_iteratorINS8_10device_ptrItEEEENSA_INSB_IiEEEEZNS1_13binary_searchIS3_S5_SD_SD_SF_NS1_16binary_search_opENS9_16wrapped_functionINS0_4lessIvEEbEEEE10hipError_tPvRmT1_T2_T3_mmT4_T5_P12ihipStream_tbEUlRKtE_EESM_SQ_SR_mSS_SV_bEUlT_E_NS1_11comp_targetILNS1_3genE0ELNS1_11target_archE4294967295ELNS1_3gpuE0ELNS1_3repE0EEENS1_30default_config_static_selectorELNS0_4arch9wavefront6targetE0EEEvSP_, .Lfunc_end483-_ZN7rocprim17ROCPRIM_400000_NS6detail17trampoline_kernelINS0_14default_configENS1_29binary_search_config_selectorItiEEZNS1_14transform_implILb0ES3_S5_N6thrust23THRUST_200600_302600_NS6detail15normal_iteratorINS8_10device_ptrItEEEENSA_INSB_IiEEEEZNS1_13binary_searchIS3_S5_SD_SD_SF_NS1_16binary_search_opENS9_16wrapped_functionINS0_4lessIvEEbEEEE10hipError_tPvRmT1_T2_T3_mmT4_T5_P12ihipStream_tbEUlRKtE_EESM_SQ_SR_mSS_SV_bEUlT_E_NS1_11comp_targetILNS1_3genE0ELNS1_11target_archE4294967295ELNS1_3gpuE0ELNS1_3repE0EEENS1_30default_config_static_selectorELNS0_4arch9wavefront6targetE0EEEvSP_
                                        ; -- End function
	.section	.AMDGPU.csdata,"",@progbits
; Kernel info:
; codeLenInByte = 0
; NumSgprs: 0
; NumVgprs: 0
; ScratchSize: 0
; MemoryBound: 0
; FloatMode: 240
; IeeeMode: 1
; LDSByteSize: 0 bytes/workgroup (compile time only)
; SGPRBlocks: 0
; VGPRBlocks: 0
; NumSGPRsForWavesPerEU: 1
; NumVGPRsForWavesPerEU: 1
; Occupancy: 16
; WaveLimiterHint : 0
; COMPUTE_PGM_RSRC2:SCRATCH_EN: 0
; COMPUTE_PGM_RSRC2:USER_SGPR: 15
; COMPUTE_PGM_RSRC2:TRAP_HANDLER: 0
; COMPUTE_PGM_RSRC2:TGID_X_EN: 1
; COMPUTE_PGM_RSRC2:TGID_Y_EN: 0
; COMPUTE_PGM_RSRC2:TGID_Z_EN: 0
; COMPUTE_PGM_RSRC2:TIDIG_COMP_CNT: 0
	.section	.text._ZN7rocprim17ROCPRIM_400000_NS6detail17trampoline_kernelINS0_14default_configENS1_29binary_search_config_selectorItiEEZNS1_14transform_implILb0ES3_S5_N6thrust23THRUST_200600_302600_NS6detail15normal_iteratorINS8_10device_ptrItEEEENSA_INSB_IiEEEEZNS1_13binary_searchIS3_S5_SD_SD_SF_NS1_16binary_search_opENS9_16wrapped_functionINS0_4lessIvEEbEEEE10hipError_tPvRmT1_T2_T3_mmT4_T5_P12ihipStream_tbEUlRKtE_EESM_SQ_SR_mSS_SV_bEUlT_E_NS1_11comp_targetILNS1_3genE5ELNS1_11target_archE942ELNS1_3gpuE9ELNS1_3repE0EEENS1_30default_config_static_selectorELNS0_4arch9wavefront6targetE0EEEvSP_,"axG",@progbits,_ZN7rocprim17ROCPRIM_400000_NS6detail17trampoline_kernelINS0_14default_configENS1_29binary_search_config_selectorItiEEZNS1_14transform_implILb0ES3_S5_N6thrust23THRUST_200600_302600_NS6detail15normal_iteratorINS8_10device_ptrItEEEENSA_INSB_IiEEEEZNS1_13binary_searchIS3_S5_SD_SD_SF_NS1_16binary_search_opENS9_16wrapped_functionINS0_4lessIvEEbEEEE10hipError_tPvRmT1_T2_T3_mmT4_T5_P12ihipStream_tbEUlRKtE_EESM_SQ_SR_mSS_SV_bEUlT_E_NS1_11comp_targetILNS1_3genE5ELNS1_11target_archE942ELNS1_3gpuE9ELNS1_3repE0EEENS1_30default_config_static_selectorELNS0_4arch9wavefront6targetE0EEEvSP_,comdat
	.protected	_ZN7rocprim17ROCPRIM_400000_NS6detail17trampoline_kernelINS0_14default_configENS1_29binary_search_config_selectorItiEEZNS1_14transform_implILb0ES3_S5_N6thrust23THRUST_200600_302600_NS6detail15normal_iteratorINS8_10device_ptrItEEEENSA_INSB_IiEEEEZNS1_13binary_searchIS3_S5_SD_SD_SF_NS1_16binary_search_opENS9_16wrapped_functionINS0_4lessIvEEbEEEE10hipError_tPvRmT1_T2_T3_mmT4_T5_P12ihipStream_tbEUlRKtE_EESM_SQ_SR_mSS_SV_bEUlT_E_NS1_11comp_targetILNS1_3genE5ELNS1_11target_archE942ELNS1_3gpuE9ELNS1_3repE0EEENS1_30default_config_static_selectorELNS0_4arch9wavefront6targetE0EEEvSP_ ; -- Begin function _ZN7rocprim17ROCPRIM_400000_NS6detail17trampoline_kernelINS0_14default_configENS1_29binary_search_config_selectorItiEEZNS1_14transform_implILb0ES3_S5_N6thrust23THRUST_200600_302600_NS6detail15normal_iteratorINS8_10device_ptrItEEEENSA_INSB_IiEEEEZNS1_13binary_searchIS3_S5_SD_SD_SF_NS1_16binary_search_opENS9_16wrapped_functionINS0_4lessIvEEbEEEE10hipError_tPvRmT1_T2_T3_mmT4_T5_P12ihipStream_tbEUlRKtE_EESM_SQ_SR_mSS_SV_bEUlT_E_NS1_11comp_targetILNS1_3genE5ELNS1_11target_archE942ELNS1_3gpuE9ELNS1_3repE0EEENS1_30default_config_static_selectorELNS0_4arch9wavefront6targetE0EEEvSP_
	.globl	_ZN7rocprim17ROCPRIM_400000_NS6detail17trampoline_kernelINS0_14default_configENS1_29binary_search_config_selectorItiEEZNS1_14transform_implILb0ES3_S5_N6thrust23THRUST_200600_302600_NS6detail15normal_iteratorINS8_10device_ptrItEEEENSA_INSB_IiEEEEZNS1_13binary_searchIS3_S5_SD_SD_SF_NS1_16binary_search_opENS9_16wrapped_functionINS0_4lessIvEEbEEEE10hipError_tPvRmT1_T2_T3_mmT4_T5_P12ihipStream_tbEUlRKtE_EESM_SQ_SR_mSS_SV_bEUlT_E_NS1_11comp_targetILNS1_3genE5ELNS1_11target_archE942ELNS1_3gpuE9ELNS1_3repE0EEENS1_30default_config_static_selectorELNS0_4arch9wavefront6targetE0EEEvSP_
	.p2align	8
	.type	_ZN7rocprim17ROCPRIM_400000_NS6detail17trampoline_kernelINS0_14default_configENS1_29binary_search_config_selectorItiEEZNS1_14transform_implILb0ES3_S5_N6thrust23THRUST_200600_302600_NS6detail15normal_iteratorINS8_10device_ptrItEEEENSA_INSB_IiEEEEZNS1_13binary_searchIS3_S5_SD_SD_SF_NS1_16binary_search_opENS9_16wrapped_functionINS0_4lessIvEEbEEEE10hipError_tPvRmT1_T2_T3_mmT4_T5_P12ihipStream_tbEUlRKtE_EESM_SQ_SR_mSS_SV_bEUlT_E_NS1_11comp_targetILNS1_3genE5ELNS1_11target_archE942ELNS1_3gpuE9ELNS1_3repE0EEENS1_30default_config_static_selectorELNS0_4arch9wavefront6targetE0EEEvSP_,@function
_ZN7rocprim17ROCPRIM_400000_NS6detail17trampoline_kernelINS0_14default_configENS1_29binary_search_config_selectorItiEEZNS1_14transform_implILb0ES3_S5_N6thrust23THRUST_200600_302600_NS6detail15normal_iteratorINS8_10device_ptrItEEEENSA_INSB_IiEEEEZNS1_13binary_searchIS3_S5_SD_SD_SF_NS1_16binary_search_opENS9_16wrapped_functionINS0_4lessIvEEbEEEE10hipError_tPvRmT1_T2_T3_mmT4_T5_P12ihipStream_tbEUlRKtE_EESM_SQ_SR_mSS_SV_bEUlT_E_NS1_11comp_targetILNS1_3genE5ELNS1_11target_archE942ELNS1_3gpuE9ELNS1_3repE0EEENS1_30default_config_static_selectorELNS0_4arch9wavefront6targetE0EEEvSP_: ; @_ZN7rocprim17ROCPRIM_400000_NS6detail17trampoline_kernelINS0_14default_configENS1_29binary_search_config_selectorItiEEZNS1_14transform_implILb0ES3_S5_N6thrust23THRUST_200600_302600_NS6detail15normal_iteratorINS8_10device_ptrItEEEENSA_INSB_IiEEEEZNS1_13binary_searchIS3_S5_SD_SD_SF_NS1_16binary_search_opENS9_16wrapped_functionINS0_4lessIvEEbEEEE10hipError_tPvRmT1_T2_T3_mmT4_T5_P12ihipStream_tbEUlRKtE_EESM_SQ_SR_mSS_SV_bEUlT_E_NS1_11comp_targetILNS1_3genE5ELNS1_11target_archE942ELNS1_3gpuE9ELNS1_3repE0EEENS1_30default_config_static_selectorELNS0_4arch9wavefront6targetE0EEEvSP_
; %bb.0:
	.section	.rodata,"a",@progbits
	.p2align	6, 0x0
	.amdhsa_kernel _ZN7rocprim17ROCPRIM_400000_NS6detail17trampoline_kernelINS0_14default_configENS1_29binary_search_config_selectorItiEEZNS1_14transform_implILb0ES3_S5_N6thrust23THRUST_200600_302600_NS6detail15normal_iteratorINS8_10device_ptrItEEEENSA_INSB_IiEEEEZNS1_13binary_searchIS3_S5_SD_SD_SF_NS1_16binary_search_opENS9_16wrapped_functionINS0_4lessIvEEbEEEE10hipError_tPvRmT1_T2_T3_mmT4_T5_P12ihipStream_tbEUlRKtE_EESM_SQ_SR_mSS_SV_bEUlT_E_NS1_11comp_targetILNS1_3genE5ELNS1_11target_archE942ELNS1_3gpuE9ELNS1_3repE0EEENS1_30default_config_static_selectorELNS0_4arch9wavefront6targetE0EEEvSP_
		.amdhsa_group_segment_fixed_size 0
		.amdhsa_private_segment_fixed_size 0
		.amdhsa_kernarg_size 56
		.amdhsa_user_sgpr_count 15
		.amdhsa_user_sgpr_dispatch_ptr 0
		.amdhsa_user_sgpr_queue_ptr 0
		.amdhsa_user_sgpr_kernarg_segment_ptr 1
		.amdhsa_user_sgpr_dispatch_id 0
		.amdhsa_user_sgpr_private_segment_size 0
		.amdhsa_wavefront_size32 1
		.amdhsa_uses_dynamic_stack 0
		.amdhsa_enable_private_segment 0
		.amdhsa_system_sgpr_workgroup_id_x 1
		.amdhsa_system_sgpr_workgroup_id_y 0
		.amdhsa_system_sgpr_workgroup_id_z 0
		.amdhsa_system_sgpr_workgroup_info 0
		.amdhsa_system_vgpr_workitem_id 0
		.amdhsa_next_free_vgpr 1
		.amdhsa_next_free_sgpr 1
		.amdhsa_reserve_vcc 0
		.amdhsa_float_round_mode_32 0
		.amdhsa_float_round_mode_16_64 0
		.amdhsa_float_denorm_mode_32 3
		.amdhsa_float_denorm_mode_16_64 3
		.amdhsa_dx10_clamp 1
		.amdhsa_ieee_mode 1
		.amdhsa_fp16_overflow 0
		.amdhsa_workgroup_processor_mode 1
		.amdhsa_memory_ordered 1
		.amdhsa_forward_progress 0
		.amdhsa_shared_vgpr_count 0
		.amdhsa_exception_fp_ieee_invalid_op 0
		.amdhsa_exception_fp_denorm_src 0
		.amdhsa_exception_fp_ieee_div_zero 0
		.amdhsa_exception_fp_ieee_overflow 0
		.amdhsa_exception_fp_ieee_underflow 0
		.amdhsa_exception_fp_ieee_inexact 0
		.amdhsa_exception_int_div_zero 0
	.end_amdhsa_kernel
	.section	.text._ZN7rocprim17ROCPRIM_400000_NS6detail17trampoline_kernelINS0_14default_configENS1_29binary_search_config_selectorItiEEZNS1_14transform_implILb0ES3_S5_N6thrust23THRUST_200600_302600_NS6detail15normal_iteratorINS8_10device_ptrItEEEENSA_INSB_IiEEEEZNS1_13binary_searchIS3_S5_SD_SD_SF_NS1_16binary_search_opENS9_16wrapped_functionINS0_4lessIvEEbEEEE10hipError_tPvRmT1_T2_T3_mmT4_T5_P12ihipStream_tbEUlRKtE_EESM_SQ_SR_mSS_SV_bEUlT_E_NS1_11comp_targetILNS1_3genE5ELNS1_11target_archE942ELNS1_3gpuE9ELNS1_3repE0EEENS1_30default_config_static_selectorELNS0_4arch9wavefront6targetE0EEEvSP_,"axG",@progbits,_ZN7rocprim17ROCPRIM_400000_NS6detail17trampoline_kernelINS0_14default_configENS1_29binary_search_config_selectorItiEEZNS1_14transform_implILb0ES3_S5_N6thrust23THRUST_200600_302600_NS6detail15normal_iteratorINS8_10device_ptrItEEEENSA_INSB_IiEEEEZNS1_13binary_searchIS3_S5_SD_SD_SF_NS1_16binary_search_opENS9_16wrapped_functionINS0_4lessIvEEbEEEE10hipError_tPvRmT1_T2_T3_mmT4_T5_P12ihipStream_tbEUlRKtE_EESM_SQ_SR_mSS_SV_bEUlT_E_NS1_11comp_targetILNS1_3genE5ELNS1_11target_archE942ELNS1_3gpuE9ELNS1_3repE0EEENS1_30default_config_static_selectorELNS0_4arch9wavefront6targetE0EEEvSP_,comdat
.Lfunc_end484:
	.size	_ZN7rocprim17ROCPRIM_400000_NS6detail17trampoline_kernelINS0_14default_configENS1_29binary_search_config_selectorItiEEZNS1_14transform_implILb0ES3_S5_N6thrust23THRUST_200600_302600_NS6detail15normal_iteratorINS8_10device_ptrItEEEENSA_INSB_IiEEEEZNS1_13binary_searchIS3_S5_SD_SD_SF_NS1_16binary_search_opENS9_16wrapped_functionINS0_4lessIvEEbEEEE10hipError_tPvRmT1_T2_T3_mmT4_T5_P12ihipStream_tbEUlRKtE_EESM_SQ_SR_mSS_SV_bEUlT_E_NS1_11comp_targetILNS1_3genE5ELNS1_11target_archE942ELNS1_3gpuE9ELNS1_3repE0EEENS1_30default_config_static_selectorELNS0_4arch9wavefront6targetE0EEEvSP_, .Lfunc_end484-_ZN7rocprim17ROCPRIM_400000_NS6detail17trampoline_kernelINS0_14default_configENS1_29binary_search_config_selectorItiEEZNS1_14transform_implILb0ES3_S5_N6thrust23THRUST_200600_302600_NS6detail15normal_iteratorINS8_10device_ptrItEEEENSA_INSB_IiEEEEZNS1_13binary_searchIS3_S5_SD_SD_SF_NS1_16binary_search_opENS9_16wrapped_functionINS0_4lessIvEEbEEEE10hipError_tPvRmT1_T2_T3_mmT4_T5_P12ihipStream_tbEUlRKtE_EESM_SQ_SR_mSS_SV_bEUlT_E_NS1_11comp_targetILNS1_3genE5ELNS1_11target_archE942ELNS1_3gpuE9ELNS1_3repE0EEENS1_30default_config_static_selectorELNS0_4arch9wavefront6targetE0EEEvSP_
                                        ; -- End function
	.section	.AMDGPU.csdata,"",@progbits
; Kernel info:
; codeLenInByte = 0
; NumSgprs: 0
; NumVgprs: 0
; ScratchSize: 0
; MemoryBound: 0
; FloatMode: 240
; IeeeMode: 1
; LDSByteSize: 0 bytes/workgroup (compile time only)
; SGPRBlocks: 0
; VGPRBlocks: 0
; NumSGPRsForWavesPerEU: 1
; NumVGPRsForWavesPerEU: 1
; Occupancy: 16
; WaveLimiterHint : 0
; COMPUTE_PGM_RSRC2:SCRATCH_EN: 0
; COMPUTE_PGM_RSRC2:USER_SGPR: 15
; COMPUTE_PGM_RSRC2:TRAP_HANDLER: 0
; COMPUTE_PGM_RSRC2:TGID_X_EN: 1
; COMPUTE_PGM_RSRC2:TGID_Y_EN: 0
; COMPUTE_PGM_RSRC2:TGID_Z_EN: 0
; COMPUTE_PGM_RSRC2:TIDIG_COMP_CNT: 0
	.section	.text._ZN7rocprim17ROCPRIM_400000_NS6detail17trampoline_kernelINS0_14default_configENS1_29binary_search_config_selectorItiEEZNS1_14transform_implILb0ES3_S5_N6thrust23THRUST_200600_302600_NS6detail15normal_iteratorINS8_10device_ptrItEEEENSA_INSB_IiEEEEZNS1_13binary_searchIS3_S5_SD_SD_SF_NS1_16binary_search_opENS9_16wrapped_functionINS0_4lessIvEEbEEEE10hipError_tPvRmT1_T2_T3_mmT4_T5_P12ihipStream_tbEUlRKtE_EESM_SQ_SR_mSS_SV_bEUlT_E_NS1_11comp_targetILNS1_3genE4ELNS1_11target_archE910ELNS1_3gpuE8ELNS1_3repE0EEENS1_30default_config_static_selectorELNS0_4arch9wavefront6targetE0EEEvSP_,"axG",@progbits,_ZN7rocprim17ROCPRIM_400000_NS6detail17trampoline_kernelINS0_14default_configENS1_29binary_search_config_selectorItiEEZNS1_14transform_implILb0ES3_S5_N6thrust23THRUST_200600_302600_NS6detail15normal_iteratorINS8_10device_ptrItEEEENSA_INSB_IiEEEEZNS1_13binary_searchIS3_S5_SD_SD_SF_NS1_16binary_search_opENS9_16wrapped_functionINS0_4lessIvEEbEEEE10hipError_tPvRmT1_T2_T3_mmT4_T5_P12ihipStream_tbEUlRKtE_EESM_SQ_SR_mSS_SV_bEUlT_E_NS1_11comp_targetILNS1_3genE4ELNS1_11target_archE910ELNS1_3gpuE8ELNS1_3repE0EEENS1_30default_config_static_selectorELNS0_4arch9wavefront6targetE0EEEvSP_,comdat
	.protected	_ZN7rocprim17ROCPRIM_400000_NS6detail17trampoline_kernelINS0_14default_configENS1_29binary_search_config_selectorItiEEZNS1_14transform_implILb0ES3_S5_N6thrust23THRUST_200600_302600_NS6detail15normal_iteratorINS8_10device_ptrItEEEENSA_INSB_IiEEEEZNS1_13binary_searchIS3_S5_SD_SD_SF_NS1_16binary_search_opENS9_16wrapped_functionINS0_4lessIvEEbEEEE10hipError_tPvRmT1_T2_T3_mmT4_T5_P12ihipStream_tbEUlRKtE_EESM_SQ_SR_mSS_SV_bEUlT_E_NS1_11comp_targetILNS1_3genE4ELNS1_11target_archE910ELNS1_3gpuE8ELNS1_3repE0EEENS1_30default_config_static_selectorELNS0_4arch9wavefront6targetE0EEEvSP_ ; -- Begin function _ZN7rocprim17ROCPRIM_400000_NS6detail17trampoline_kernelINS0_14default_configENS1_29binary_search_config_selectorItiEEZNS1_14transform_implILb0ES3_S5_N6thrust23THRUST_200600_302600_NS6detail15normal_iteratorINS8_10device_ptrItEEEENSA_INSB_IiEEEEZNS1_13binary_searchIS3_S5_SD_SD_SF_NS1_16binary_search_opENS9_16wrapped_functionINS0_4lessIvEEbEEEE10hipError_tPvRmT1_T2_T3_mmT4_T5_P12ihipStream_tbEUlRKtE_EESM_SQ_SR_mSS_SV_bEUlT_E_NS1_11comp_targetILNS1_3genE4ELNS1_11target_archE910ELNS1_3gpuE8ELNS1_3repE0EEENS1_30default_config_static_selectorELNS0_4arch9wavefront6targetE0EEEvSP_
	.globl	_ZN7rocprim17ROCPRIM_400000_NS6detail17trampoline_kernelINS0_14default_configENS1_29binary_search_config_selectorItiEEZNS1_14transform_implILb0ES3_S5_N6thrust23THRUST_200600_302600_NS6detail15normal_iteratorINS8_10device_ptrItEEEENSA_INSB_IiEEEEZNS1_13binary_searchIS3_S5_SD_SD_SF_NS1_16binary_search_opENS9_16wrapped_functionINS0_4lessIvEEbEEEE10hipError_tPvRmT1_T2_T3_mmT4_T5_P12ihipStream_tbEUlRKtE_EESM_SQ_SR_mSS_SV_bEUlT_E_NS1_11comp_targetILNS1_3genE4ELNS1_11target_archE910ELNS1_3gpuE8ELNS1_3repE0EEENS1_30default_config_static_selectorELNS0_4arch9wavefront6targetE0EEEvSP_
	.p2align	8
	.type	_ZN7rocprim17ROCPRIM_400000_NS6detail17trampoline_kernelINS0_14default_configENS1_29binary_search_config_selectorItiEEZNS1_14transform_implILb0ES3_S5_N6thrust23THRUST_200600_302600_NS6detail15normal_iteratorINS8_10device_ptrItEEEENSA_INSB_IiEEEEZNS1_13binary_searchIS3_S5_SD_SD_SF_NS1_16binary_search_opENS9_16wrapped_functionINS0_4lessIvEEbEEEE10hipError_tPvRmT1_T2_T3_mmT4_T5_P12ihipStream_tbEUlRKtE_EESM_SQ_SR_mSS_SV_bEUlT_E_NS1_11comp_targetILNS1_3genE4ELNS1_11target_archE910ELNS1_3gpuE8ELNS1_3repE0EEENS1_30default_config_static_selectorELNS0_4arch9wavefront6targetE0EEEvSP_,@function
_ZN7rocprim17ROCPRIM_400000_NS6detail17trampoline_kernelINS0_14default_configENS1_29binary_search_config_selectorItiEEZNS1_14transform_implILb0ES3_S5_N6thrust23THRUST_200600_302600_NS6detail15normal_iteratorINS8_10device_ptrItEEEENSA_INSB_IiEEEEZNS1_13binary_searchIS3_S5_SD_SD_SF_NS1_16binary_search_opENS9_16wrapped_functionINS0_4lessIvEEbEEEE10hipError_tPvRmT1_T2_T3_mmT4_T5_P12ihipStream_tbEUlRKtE_EESM_SQ_SR_mSS_SV_bEUlT_E_NS1_11comp_targetILNS1_3genE4ELNS1_11target_archE910ELNS1_3gpuE8ELNS1_3repE0EEENS1_30default_config_static_selectorELNS0_4arch9wavefront6targetE0EEEvSP_: ; @_ZN7rocprim17ROCPRIM_400000_NS6detail17trampoline_kernelINS0_14default_configENS1_29binary_search_config_selectorItiEEZNS1_14transform_implILb0ES3_S5_N6thrust23THRUST_200600_302600_NS6detail15normal_iteratorINS8_10device_ptrItEEEENSA_INSB_IiEEEEZNS1_13binary_searchIS3_S5_SD_SD_SF_NS1_16binary_search_opENS9_16wrapped_functionINS0_4lessIvEEbEEEE10hipError_tPvRmT1_T2_T3_mmT4_T5_P12ihipStream_tbEUlRKtE_EESM_SQ_SR_mSS_SV_bEUlT_E_NS1_11comp_targetILNS1_3genE4ELNS1_11target_archE910ELNS1_3gpuE8ELNS1_3repE0EEENS1_30default_config_static_selectorELNS0_4arch9wavefront6targetE0EEEvSP_
; %bb.0:
	.section	.rodata,"a",@progbits
	.p2align	6, 0x0
	.amdhsa_kernel _ZN7rocprim17ROCPRIM_400000_NS6detail17trampoline_kernelINS0_14default_configENS1_29binary_search_config_selectorItiEEZNS1_14transform_implILb0ES3_S5_N6thrust23THRUST_200600_302600_NS6detail15normal_iteratorINS8_10device_ptrItEEEENSA_INSB_IiEEEEZNS1_13binary_searchIS3_S5_SD_SD_SF_NS1_16binary_search_opENS9_16wrapped_functionINS0_4lessIvEEbEEEE10hipError_tPvRmT1_T2_T3_mmT4_T5_P12ihipStream_tbEUlRKtE_EESM_SQ_SR_mSS_SV_bEUlT_E_NS1_11comp_targetILNS1_3genE4ELNS1_11target_archE910ELNS1_3gpuE8ELNS1_3repE0EEENS1_30default_config_static_selectorELNS0_4arch9wavefront6targetE0EEEvSP_
		.amdhsa_group_segment_fixed_size 0
		.amdhsa_private_segment_fixed_size 0
		.amdhsa_kernarg_size 56
		.amdhsa_user_sgpr_count 15
		.amdhsa_user_sgpr_dispatch_ptr 0
		.amdhsa_user_sgpr_queue_ptr 0
		.amdhsa_user_sgpr_kernarg_segment_ptr 1
		.amdhsa_user_sgpr_dispatch_id 0
		.amdhsa_user_sgpr_private_segment_size 0
		.amdhsa_wavefront_size32 1
		.amdhsa_uses_dynamic_stack 0
		.amdhsa_enable_private_segment 0
		.amdhsa_system_sgpr_workgroup_id_x 1
		.amdhsa_system_sgpr_workgroup_id_y 0
		.amdhsa_system_sgpr_workgroup_id_z 0
		.amdhsa_system_sgpr_workgroup_info 0
		.amdhsa_system_vgpr_workitem_id 0
		.amdhsa_next_free_vgpr 1
		.amdhsa_next_free_sgpr 1
		.amdhsa_reserve_vcc 0
		.amdhsa_float_round_mode_32 0
		.amdhsa_float_round_mode_16_64 0
		.amdhsa_float_denorm_mode_32 3
		.amdhsa_float_denorm_mode_16_64 3
		.amdhsa_dx10_clamp 1
		.amdhsa_ieee_mode 1
		.amdhsa_fp16_overflow 0
		.amdhsa_workgroup_processor_mode 1
		.amdhsa_memory_ordered 1
		.amdhsa_forward_progress 0
		.amdhsa_shared_vgpr_count 0
		.amdhsa_exception_fp_ieee_invalid_op 0
		.amdhsa_exception_fp_denorm_src 0
		.amdhsa_exception_fp_ieee_div_zero 0
		.amdhsa_exception_fp_ieee_overflow 0
		.amdhsa_exception_fp_ieee_underflow 0
		.amdhsa_exception_fp_ieee_inexact 0
		.amdhsa_exception_int_div_zero 0
	.end_amdhsa_kernel
	.section	.text._ZN7rocprim17ROCPRIM_400000_NS6detail17trampoline_kernelINS0_14default_configENS1_29binary_search_config_selectorItiEEZNS1_14transform_implILb0ES3_S5_N6thrust23THRUST_200600_302600_NS6detail15normal_iteratorINS8_10device_ptrItEEEENSA_INSB_IiEEEEZNS1_13binary_searchIS3_S5_SD_SD_SF_NS1_16binary_search_opENS9_16wrapped_functionINS0_4lessIvEEbEEEE10hipError_tPvRmT1_T2_T3_mmT4_T5_P12ihipStream_tbEUlRKtE_EESM_SQ_SR_mSS_SV_bEUlT_E_NS1_11comp_targetILNS1_3genE4ELNS1_11target_archE910ELNS1_3gpuE8ELNS1_3repE0EEENS1_30default_config_static_selectorELNS0_4arch9wavefront6targetE0EEEvSP_,"axG",@progbits,_ZN7rocprim17ROCPRIM_400000_NS6detail17trampoline_kernelINS0_14default_configENS1_29binary_search_config_selectorItiEEZNS1_14transform_implILb0ES3_S5_N6thrust23THRUST_200600_302600_NS6detail15normal_iteratorINS8_10device_ptrItEEEENSA_INSB_IiEEEEZNS1_13binary_searchIS3_S5_SD_SD_SF_NS1_16binary_search_opENS9_16wrapped_functionINS0_4lessIvEEbEEEE10hipError_tPvRmT1_T2_T3_mmT4_T5_P12ihipStream_tbEUlRKtE_EESM_SQ_SR_mSS_SV_bEUlT_E_NS1_11comp_targetILNS1_3genE4ELNS1_11target_archE910ELNS1_3gpuE8ELNS1_3repE0EEENS1_30default_config_static_selectorELNS0_4arch9wavefront6targetE0EEEvSP_,comdat
.Lfunc_end485:
	.size	_ZN7rocprim17ROCPRIM_400000_NS6detail17trampoline_kernelINS0_14default_configENS1_29binary_search_config_selectorItiEEZNS1_14transform_implILb0ES3_S5_N6thrust23THRUST_200600_302600_NS6detail15normal_iteratorINS8_10device_ptrItEEEENSA_INSB_IiEEEEZNS1_13binary_searchIS3_S5_SD_SD_SF_NS1_16binary_search_opENS9_16wrapped_functionINS0_4lessIvEEbEEEE10hipError_tPvRmT1_T2_T3_mmT4_T5_P12ihipStream_tbEUlRKtE_EESM_SQ_SR_mSS_SV_bEUlT_E_NS1_11comp_targetILNS1_3genE4ELNS1_11target_archE910ELNS1_3gpuE8ELNS1_3repE0EEENS1_30default_config_static_selectorELNS0_4arch9wavefront6targetE0EEEvSP_, .Lfunc_end485-_ZN7rocprim17ROCPRIM_400000_NS6detail17trampoline_kernelINS0_14default_configENS1_29binary_search_config_selectorItiEEZNS1_14transform_implILb0ES3_S5_N6thrust23THRUST_200600_302600_NS6detail15normal_iteratorINS8_10device_ptrItEEEENSA_INSB_IiEEEEZNS1_13binary_searchIS3_S5_SD_SD_SF_NS1_16binary_search_opENS9_16wrapped_functionINS0_4lessIvEEbEEEE10hipError_tPvRmT1_T2_T3_mmT4_T5_P12ihipStream_tbEUlRKtE_EESM_SQ_SR_mSS_SV_bEUlT_E_NS1_11comp_targetILNS1_3genE4ELNS1_11target_archE910ELNS1_3gpuE8ELNS1_3repE0EEENS1_30default_config_static_selectorELNS0_4arch9wavefront6targetE0EEEvSP_
                                        ; -- End function
	.section	.AMDGPU.csdata,"",@progbits
; Kernel info:
; codeLenInByte = 0
; NumSgprs: 0
; NumVgprs: 0
; ScratchSize: 0
; MemoryBound: 0
; FloatMode: 240
; IeeeMode: 1
; LDSByteSize: 0 bytes/workgroup (compile time only)
; SGPRBlocks: 0
; VGPRBlocks: 0
; NumSGPRsForWavesPerEU: 1
; NumVGPRsForWavesPerEU: 1
; Occupancy: 16
; WaveLimiterHint : 0
; COMPUTE_PGM_RSRC2:SCRATCH_EN: 0
; COMPUTE_PGM_RSRC2:USER_SGPR: 15
; COMPUTE_PGM_RSRC2:TRAP_HANDLER: 0
; COMPUTE_PGM_RSRC2:TGID_X_EN: 1
; COMPUTE_PGM_RSRC2:TGID_Y_EN: 0
; COMPUTE_PGM_RSRC2:TGID_Z_EN: 0
; COMPUTE_PGM_RSRC2:TIDIG_COMP_CNT: 0
	.section	.text._ZN7rocprim17ROCPRIM_400000_NS6detail17trampoline_kernelINS0_14default_configENS1_29binary_search_config_selectorItiEEZNS1_14transform_implILb0ES3_S5_N6thrust23THRUST_200600_302600_NS6detail15normal_iteratorINS8_10device_ptrItEEEENSA_INSB_IiEEEEZNS1_13binary_searchIS3_S5_SD_SD_SF_NS1_16binary_search_opENS9_16wrapped_functionINS0_4lessIvEEbEEEE10hipError_tPvRmT1_T2_T3_mmT4_T5_P12ihipStream_tbEUlRKtE_EESM_SQ_SR_mSS_SV_bEUlT_E_NS1_11comp_targetILNS1_3genE3ELNS1_11target_archE908ELNS1_3gpuE7ELNS1_3repE0EEENS1_30default_config_static_selectorELNS0_4arch9wavefront6targetE0EEEvSP_,"axG",@progbits,_ZN7rocprim17ROCPRIM_400000_NS6detail17trampoline_kernelINS0_14default_configENS1_29binary_search_config_selectorItiEEZNS1_14transform_implILb0ES3_S5_N6thrust23THRUST_200600_302600_NS6detail15normal_iteratorINS8_10device_ptrItEEEENSA_INSB_IiEEEEZNS1_13binary_searchIS3_S5_SD_SD_SF_NS1_16binary_search_opENS9_16wrapped_functionINS0_4lessIvEEbEEEE10hipError_tPvRmT1_T2_T3_mmT4_T5_P12ihipStream_tbEUlRKtE_EESM_SQ_SR_mSS_SV_bEUlT_E_NS1_11comp_targetILNS1_3genE3ELNS1_11target_archE908ELNS1_3gpuE7ELNS1_3repE0EEENS1_30default_config_static_selectorELNS0_4arch9wavefront6targetE0EEEvSP_,comdat
	.protected	_ZN7rocprim17ROCPRIM_400000_NS6detail17trampoline_kernelINS0_14default_configENS1_29binary_search_config_selectorItiEEZNS1_14transform_implILb0ES3_S5_N6thrust23THRUST_200600_302600_NS6detail15normal_iteratorINS8_10device_ptrItEEEENSA_INSB_IiEEEEZNS1_13binary_searchIS3_S5_SD_SD_SF_NS1_16binary_search_opENS9_16wrapped_functionINS0_4lessIvEEbEEEE10hipError_tPvRmT1_T2_T3_mmT4_T5_P12ihipStream_tbEUlRKtE_EESM_SQ_SR_mSS_SV_bEUlT_E_NS1_11comp_targetILNS1_3genE3ELNS1_11target_archE908ELNS1_3gpuE7ELNS1_3repE0EEENS1_30default_config_static_selectorELNS0_4arch9wavefront6targetE0EEEvSP_ ; -- Begin function _ZN7rocprim17ROCPRIM_400000_NS6detail17trampoline_kernelINS0_14default_configENS1_29binary_search_config_selectorItiEEZNS1_14transform_implILb0ES3_S5_N6thrust23THRUST_200600_302600_NS6detail15normal_iteratorINS8_10device_ptrItEEEENSA_INSB_IiEEEEZNS1_13binary_searchIS3_S5_SD_SD_SF_NS1_16binary_search_opENS9_16wrapped_functionINS0_4lessIvEEbEEEE10hipError_tPvRmT1_T2_T3_mmT4_T5_P12ihipStream_tbEUlRKtE_EESM_SQ_SR_mSS_SV_bEUlT_E_NS1_11comp_targetILNS1_3genE3ELNS1_11target_archE908ELNS1_3gpuE7ELNS1_3repE0EEENS1_30default_config_static_selectorELNS0_4arch9wavefront6targetE0EEEvSP_
	.globl	_ZN7rocprim17ROCPRIM_400000_NS6detail17trampoline_kernelINS0_14default_configENS1_29binary_search_config_selectorItiEEZNS1_14transform_implILb0ES3_S5_N6thrust23THRUST_200600_302600_NS6detail15normal_iteratorINS8_10device_ptrItEEEENSA_INSB_IiEEEEZNS1_13binary_searchIS3_S5_SD_SD_SF_NS1_16binary_search_opENS9_16wrapped_functionINS0_4lessIvEEbEEEE10hipError_tPvRmT1_T2_T3_mmT4_T5_P12ihipStream_tbEUlRKtE_EESM_SQ_SR_mSS_SV_bEUlT_E_NS1_11comp_targetILNS1_3genE3ELNS1_11target_archE908ELNS1_3gpuE7ELNS1_3repE0EEENS1_30default_config_static_selectorELNS0_4arch9wavefront6targetE0EEEvSP_
	.p2align	8
	.type	_ZN7rocprim17ROCPRIM_400000_NS6detail17trampoline_kernelINS0_14default_configENS1_29binary_search_config_selectorItiEEZNS1_14transform_implILb0ES3_S5_N6thrust23THRUST_200600_302600_NS6detail15normal_iteratorINS8_10device_ptrItEEEENSA_INSB_IiEEEEZNS1_13binary_searchIS3_S5_SD_SD_SF_NS1_16binary_search_opENS9_16wrapped_functionINS0_4lessIvEEbEEEE10hipError_tPvRmT1_T2_T3_mmT4_T5_P12ihipStream_tbEUlRKtE_EESM_SQ_SR_mSS_SV_bEUlT_E_NS1_11comp_targetILNS1_3genE3ELNS1_11target_archE908ELNS1_3gpuE7ELNS1_3repE0EEENS1_30default_config_static_selectorELNS0_4arch9wavefront6targetE0EEEvSP_,@function
_ZN7rocprim17ROCPRIM_400000_NS6detail17trampoline_kernelINS0_14default_configENS1_29binary_search_config_selectorItiEEZNS1_14transform_implILb0ES3_S5_N6thrust23THRUST_200600_302600_NS6detail15normal_iteratorINS8_10device_ptrItEEEENSA_INSB_IiEEEEZNS1_13binary_searchIS3_S5_SD_SD_SF_NS1_16binary_search_opENS9_16wrapped_functionINS0_4lessIvEEbEEEE10hipError_tPvRmT1_T2_T3_mmT4_T5_P12ihipStream_tbEUlRKtE_EESM_SQ_SR_mSS_SV_bEUlT_E_NS1_11comp_targetILNS1_3genE3ELNS1_11target_archE908ELNS1_3gpuE7ELNS1_3repE0EEENS1_30default_config_static_selectorELNS0_4arch9wavefront6targetE0EEEvSP_: ; @_ZN7rocprim17ROCPRIM_400000_NS6detail17trampoline_kernelINS0_14default_configENS1_29binary_search_config_selectorItiEEZNS1_14transform_implILb0ES3_S5_N6thrust23THRUST_200600_302600_NS6detail15normal_iteratorINS8_10device_ptrItEEEENSA_INSB_IiEEEEZNS1_13binary_searchIS3_S5_SD_SD_SF_NS1_16binary_search_opENS9_16wrapped_functionINS0_4lessIvEEbEEEE10hipError_tPvRmT1_T2_T3_mmT4_T5_P12ihipStream_tbEUlRKtE_EESM_SQ_SR_mSS_SV_bEUlT_E_NS1_11comp_targetILNS1_3genE3ELNS1_11target_archE908ELNS1_3gpuE7ELNS1_3repE0EEENS1_30default_config_static_selectorELNS0_4arch9wavefront6targetE0EEEvSP_
; %bb.0:
	.section	.rodata,"a",@progbits
	.p2align	6, 0x0
	.amdhsa_kernel _ZN7rocprim17ROCPRIM_400000_NS6detail17trampoline_kernelINS0_14default_configENS1_29binary_search_config_selectorItiEEZNS1_14transform_implILb0ES3_S5_N6thrust23THRUST_200600_302600_NS6detail15normal_iteratorINS8_10device_ptrItEEEENSA_INSB_IiEEEEZNS1_13binary_searchIS3_S5_SD_SD_SF_NS1_16binary_search_opENS9_16wrapped_functionINS0_4lessIvEEbEEEE10hipError_tPvRmT1_T2_T3_mmT4_T5_P12ihipStream_tbEUlRKtE_EESM_SQ_SR_mSS_SV_bEUlT_E_NS1_11comp_targetILNS1_3genE3ELNS1_11target_archE908ELNS1_3gpuE7ELNS1_3repE0EEENS1_30default_config_static_selectorELNS0_4arch9wavefront6targetE0EEEvSP_
		.amdhsa_group_segment_fixed_size 0
		.amdhsa_private_segment_fixed_size 0
		.amdhsa_kernarg_size 56
		.amdhsa_user_sgpr_count 15
		.amdhsa_user_sgpr_dispatch_ptr 0
		.amdhsa_user_sgpr_queue_ptr 0
		.amdhsa_user_sgpr_kernarg_segment_ptr 1
		.amdhsa_user_sgpr_dispatch_id 0
		.amdhsa_user_sgpr_private_segment_size 0
		.amdhsa_wavefront_size32 1
		.amdhsa_uses_dynamic_stack 0
		.amdhsa_enable_private_segment 0
		.amdhsa_system_sgpr_workgroup_id_x 1
		.amdhsa_system_sgpr_workgroup_id_y 0
		.amdhsa_system_sgpr_workgroup_id_z 0
		.amdhsa_system_sgpr_workgroup_info 0
		.amdhsa_system_vgpr_workitem_id 0
		.amdhsa_next_free_vgpr 1
		.amdhsa_next_free_sgpr 1
		.amdhsa_reserve_vcc 0
		.amdhsa_float_round_mode_32 0
		.amdhsa_float_round_mode_16_64 0
		.amdhsa_float_denorm_mode_32 3
		.amdhsa_float_denorm_mode_16_64 3
		.amdhsa_dx10_clamp 1
		.amdhsa_ieee_mode 1
		.amdhsa_fp16_overflow 0
		.amdhsa_workgroup_processor_mode 1
		.amdhsa_memory_ordered 1
		.amdhsa_forward_progress 0
		.amdhsa_shared_vgpr_count 0
		.amdhsa_exception_fp_ieee_invalid_op 0
		.amdhsa_exception_fp_denorm_src 0
		.amdhsa_exception_fp_ieee_div_zero 0
		.amdhsa_exception_fp_ieee_overflow 0
		.amdhsa_exception_fp_ieee_underflow 0
		.amdhsa_exception_fp_ieee_inexact 0
		.amdhsa_exception_int_div_zero 0
	.end_amdhsa_kernel
	.section	.text._ZN7rocprim17ROCPRIM_400000_NS6detail17trampoline_kernelINS0_14default_configENS1_29binary_search_config_selectorItiEEZNS1_14transform_implILb0ES3_S5_N6thrust23THRUST_200600_302600_NS6detail15normal_iteratorINS8_10device_ptrItEEEENSA_INSB_IiEEEEZNS1_13binary_searchIS3_S5_SD_SD_SF_NS1_16binary_search_opENS9_16wrapped_functionINS0_4lessIvEEbEEEE10hipError_tPvRmT1_T2_T3_mmT4_T5_P12ihipStream_tbEUlRKtE_EESM_SQ_SR_mSS_SV_bEUlT_E_NS1_11comp_targetILNS1_3genE3ELNS1_11target_archE908ELNS1_3gpuE7ELNS1_3repE0EEENS1_30default_config_static_selectorELNS0_4arch9wavefront6targetE0EEEvSP_,"axG",@progbits,_ZN7rocprim17ROCPRIM_400000_NS6detail17trampoline_kernelINS0_14default_configENS1_29binary_search_config_selectorItiEEZNS1_14transform_implILb0ES3_S5_N6thrust23THRUST_200600_302600_NS6detail15normal_iteratorINS8_10device_ptrItEEEENSA_INSB_IiEEEEZNS1_13binary_searchIS3_S5_SD_SD_SF_NS1_16binary_search_opENS9_16wrapped_functionINS0_4lessIvEEbEEEE10hipError_tPvRmT1_T2_T3_mmT4_T5_P12ihipStream_tbEUlRKtE_EESM_SQ_SR_mSS_SV_bEUlT_E_NS1_11comp_targetILNS1_3genE3ELNS1_11target_archE908ELNS1_3gpuE7ELNS1_3repE0EEENS1_30default_config_static_selectorELNS0_4arch9wavefront6targetE0EEEvSP_,comdat
.Lfunc_end486:
	.size	_ZN7rocprim17ROCPRIM_400000_NS6detail17trampoline_kernelINS0_14default_configENS1_29binary_search_config_selectorItiEEZNS1_14transform_implILb0ES3_S5_N6thrust23THRUST_200600_302600_NS6detail15normal_iteratorINS8_10device_ptrItEEEENSA_INSB_IiEEEEZNS1_13binary_searchIS3_S5_SD_SD_SF_NS1_16binary_search_opENS9_16wrapped_functionINS0_4lessIvEEbEEEE10hipError_tPvRmT1_T2_T3_mmT4_T5_P12ihipStream_tbEUlRKtE_EESM_SQ_SR_mSS_SV_bEUlT_E_NS1_11comp_targetILNS1_3genE3ELNS1_11target_archE908ELNS1_3gpuE7ELNS1_3repE0EEENS1_30default_config_static_selectorELNS0_4arch9wavefront6targetE0EEEvSP_, .Lfunc_end486-_ZN7rocprim17ROCPRIM_400000_NS6detail17trampoline_kernelINS0_14default_configENS1_29binary_search_config_selectorItiEEZNS1_14transform_implILb0ES3_S5_N6thrust23THRUST_200600_302600_NS6detail15normal_iteratorINS8_10device_ptrItEEEENSA_INSB_IiEEEEZNS1_13binary_searchIS3_S5_SD_SD_SF_NS1_16binary_search_opENS9_16wrapped_functionINS0_4lessIvEEbEEEE10hipError_tPvRmT1_T2_T3_mmT4_T5_P12ihipStream_tbEUlRKtE_EESM_SQ_SR_mSS_SV_bEUlT_E_NS1_11comp_targetILNS1_3genE3ELNS1_11target_archE908ELNS1_3gpuE7ELNS1_3repE0EEENS1_30default_config_static_selectorELNS0_4arch9wavefront6targetE0EEEvSP_
                                        ; -- End function
	.section	.AMDGPU.csdata,"",@progbits
; Kernel info:
; codeLenInByte = 0
; NumSgprs: 0
; NumVgprs: 0
; ScratchSize: 0
; MemoryBound: 0
; FloatMode: 240
; IeeeMode: 1
; LDSByteSize: 0 bytes/workgroup (compile time only)
; SGPRBlocks: 0
; VGPRBlocks: 0
; NumSGPRsForWavesPerEU: 1
; NumVGPRsForWavesPerEU: 1
; Occupancy: 16
; WaveLimiterHint : 0
; COMPUTE_PGM_RSRC2:SCRATCH_EN: 0
; COMPUTE_PGM_RSRC2:USER_SGPR: 15
; COMPUTE_PGM_RSRC2:TRAP_HANDLER: 0
; COMPUTE_PGM_RSRC2:TGID_X_EN: 1
; COMPUTE_PGM_RSRC2:TGID_Y_EN: 0
; COMPUTE_PGM_RSRC2:TGID_Z_EN: 0
; COMPUTE_PGM_RSRC2:TIDIG_COMP_CNT: 0
	.section	.text._ZN7rocprim17ROCPRIM_400000_NS6detail17trampoline_kernelINS0_14default_configENS1_29binary_search_config_selectorItiEEZNS1_14transform_implILb0ES3_S5_N6thrust23THRUST_200600_302600_NS6detail15normal_iteratorINS8_10device_ptrItEEEENSA_INSB_IiEEEEZNS1_13binary_searchIS3_S5_SD_SD_SF_NS1_16binary_search_opENS9_16wrapped_functionINS0_4lessIvEEbEEEE10hipError_tPvRmT1_T2_T3_mmT4_T5_P12ihipStream_tbEUlRKtE_EESM_SQ_SR_mSS_SV_bEUlT_E_NS1_11comp_targetILNS1_3genE2ELNS1_11target_archE906ELNS1_3gpuE6ELNS1_3repE0EEENS1_30default_config_static_selectorELNS0_4arch9wavefront6targetE0EEEvSP_,"axG",@progbits,_ZN7rocprim17ROCPRIM_400000_NS6detail17trampoline_kernelINS0_14default_configENS1_29binary_search_config_selectorItiEEZNS1_14transform_implILb0ES3_S5_N6thrust23THRUST_200600_302600_NS6detail15normal_iteratorINS8_10device_ptrItEEEENSA_INSB_IiEEEEZNS1_13binary_searchIS3_S5_SD_SD_SF_NS1_16binary_search_opENS9_16wrapped_functionINS0_4lessIvEEbEEEE10hipError_tPvRmT1_T2_T3_mmT4_T5_P12ihipStream_tbEUlRKtE_EESM_SQ_SR_mSS_SV_bEUlT_E_NS1_11comp_targetILNS1_3genE2ELNS1_11target_archE906ELNS1_3gpuE6ELNS1_3repE0EEENS1_30default_config_static_selectorELNS0_4arch9wavefront6targetE0EEEvSP_,comdat
	.protected	_ZN7rocprim17ROCPRIM_400000_NS6detail17trampoline_kernelINS0_14default_configENS1_29binary_search_config_selectorItiEEZNS1_14transform_implILb0ES3_S5_N6thrust23THRUST_200600_302600_NS6detail15normal_iteratorINS8_10device_ptrItEEEENSA_INSB_IiEEEEZNS1_13binary_searchIS3_S5_SD_SD_SF_NS1_16binary_search_opENS9_16wrapped_functionINS0_4lessIvEEbEEEE10hipError_tPvRmT1_T2_T3_mmT4_T5_P12ihipStream_tbEUlRKtE_EESM_SQ_SR_mSS_SV_bEUlT_E_NS1_11comp_targetILNS1_3genE2ELNS1_11target_archE906ELNS1_3gpuE6ELNS1_3repE0EEENS1_30default_config_static_selectorELNS0_4arch9wavefront6targetE0EEEvSP_ ; -- Begin function _ZN7rocprim17ROCPRIM_400000_NS6detail17trampoline_kernelINS0_14default_configENS1_29binary_search_config_selectorItiEEZNS1_14transform_implILb0ES3_S5_N6thrust23THRUST_200600_302600_NS6detail15normal_iteratorINS8_10device_ptrItEEEENSA_INSB_IiEEEEZNS1_13binary_searchIS3_S5_SD_SD_SF_NS1_16binary_search_opENS9_16wrapped_functionINS0_4lessIvEEbEEEE10hipError_tPvRmT1_T2_T3_mmT4_T5_P12ihipStream_tbEUlRKtE_EESM_SQ_SR_mSS_SV_bEUlT_E_NS1_11comp_targetILNS1_3genE2ELNS1_11target_archE906ELNS1_3gpuE6ELNS1_3repE0EEENS1_30default_config_static_selectorELNS0_4arch9wavefront6targetE0EEEvSP_
	.globl	_ZN7rocprim17ROCPRIM_400000_NS6detail17trampoline_kernelINS0_14default_configENS1_29binary_search_config_selectorItiEEZNS1_14transform_implILb0ES3_S5_N6thrust23THRUST_200600_302600_NS6detail15normal_iteratorINS8_10device_ptrItEEEENSA_INSB_IiEEEEZNS1_13binary_searchIS3_S5_SD_SD_SF_NS1_16binary_search_opENS9_16wrapped_functionINS0_4lessIvEEbEEEE10hipError_tPvRmT1_T2_T3_mmT4_T5_P12ihipStream_tbEUlRKtE_EESM_SQ_SR_mSS_SV_bEUlT_E_NS1_11comp_targetILNS1_3genE2ELNS1_11target_archE906ELNS1_3gpuE6ELNS1_3repE0EEENS1_30default_config_static_selectorELNS0_4arch9wavefront6targetE0EEEvSP_
	.p2align	8
	.type	_ZN7rocprim17ROCPRIM_400000_NS6detail17trampoline_kernelINS0_14default_configENS1_29binary_search_config_selectorItiEEZNS1_14transform_implILb0ES3_S5_N6thrust23THRUST_200600_302600_NS6detail15normal_iteratorINS8_10device_ptrItEEEENSA_INSB_IiEEEEZNS1_13binary_searchIS3_S5_SD_SD_SF_NS1_16binary_search_opENS9_16wrapped_functionINS0_4lessIvEEbEEEE10hipError_tPvRmT1_T2_T3_mmT4_T5_P12ihipStream_tbEUlRKtE_EESM_SQ_SR_mSS_SV_bEUlT_E_NS1_11comp_targetILNS1_3genE2ELNS1_11target_archE906ELNS1_3gpuE6ELNS1_3repE0EEENS1_30default_config_static_selectorELNS0_4arch9wavefront6targetE0EEEvSP_,@function
_ZN7rocprim17ROCPRIM_400000_NS6detail17trampoline_kernelINS0_14default_configENS1_29binary_search_config_selectorItiEEZNS1_14transform_implILb0ES3_S5_N6thrust23THRUST_200600_302600_NS6detail15normal_iteratorINS8_10device_ptrItEEEENSA_INSB_IiEEEEZNS1_13binary_searchIS3_S5_SD_SD_SF_NS1_16binary_search_opENS9_16wrapped_functionINS0_4lessIvEEbEEEE10hipError_tPvRmT1_T2_T3_mmT4_T5_P12ihipStream_tbEUlRKtE_EESM_SQ_SR_mSS_SV_bEUlT_E_NS1_11comp_targetILNS1_3genE2ELNS1_11target_archE906ELNS1_3gpuE6ELNS1_3repE0EEENS1_30default_config_static_selectorELNS0_4arch9wavefront6targetE0EEEvSP_: ; @_ZN7rocprim17ROCPRIM_400000_NS6detail17trampoline_kernelINS0_14default_configENS1_29binary_search_config_selectorItiEEZNS1_14transform_implILb0ES3_S5_N6thrust23THRUST_200600_302600_NS6detail15normal_iteratorINS8_10device_ptrItEEEENSA_INSB_IiEEEEZNS1_13binary_searchIS3_S5_SD_SD_SF_NS1_16binary_search_opENS9_16wrapped_functionINS0_4lessIvEEbEEEE10hipError_tPvRmT1_T2_T3_mmT4_T5_P12ihipStream_tbEUlRKtE_EESM_SQ_SR_mSS_SV_bEUlT_E_NS1_11comp_targetILNS1_3genE2ELNS1_11target_archE906ELNS1_3gpuE6ELNS1_3repE0EEENS1_30default_config_static_selectorELNS0_4arch9wavefront6targetE0EEEvSP_
; %bb.0:
	.section	.rodata,"a",@progbits
	.p2align	6, 0x0
	.amdhsa_kernel _ZN7rocprim17ROCPRIM_400000_NS6detail17trampoline_kernelINS0_14default_configENS1_29binary_search_config_selectorItiEEZNS1_14transform_implILb0ES3_S5_N6thrust23THRUST_200600_302600_NS6detail15normal_iteratorINS8_10device_ptrItEEEENSA_INSB_IiEEEEZNS1_13binary_searchIS3_S5_SD_SD_SF_NS1_16binary_search_opENS9_16wrapped_functionINS0_4lessIvEEbEEEE10hipError_tPvRmT1_T2_T3_mmT4_T5_P12ihipStream_tbEUlRKtE_EESM_SQ_SR_mSS_SV_bEUlT_E_NS1_11comp_targetILNS1_3genE2ELNS1_11target_archE906ELNS1_3gpuE6ELNS1_3repE0EEENS1_30default_config_static_selectorELNS0_4arch9wavefront6targetE0EEEvSP_
		.amdhsa_group_segment_fixed_size 0
		.amdhsa_private_segment_fixed_size 0
		.amdhsa_kernarg_size 56
		.amdhsa_user_sgpr_count 15
		.amdhsa_user_sgpr_dispatch_ptr 0
		.amdhsa_user_sgpr_queue_ptr 0
		.amdhsa_user_sgpr_kernarg_segment_ptr 1
		.amdhsa_user_sgpr_dispatch_id 0
		.amdhsa_user_sgpr_private_segment_size 0
		.amdhsa_wavefront_size32 1
		.amdhsa_uses_dynamic_stack 0
		.amdhsa_enable_private_segment 0
		.amdhsa_system_sgpr_workgroup_id_x 1
		.amdhsa_system_sgpr_workgroup_id_y 0
		.amdhsa_system_sgpr_workgroup_id_z 0
		.amdhsa_system_sgpr_workgroup_info 0
		.amdhsa_system_vgpr_workitem_id 0
		.amdhsa_next_free_vgpr 1
		.amdhsa_next_free_sgpr 1
		.amdhsa_reserve_vcc 0
		.amdhsa_float_round_mode_32 0
		.amdhsa_float_round_mode_16_64 0
		.amdhsa_float_denorm_mode_32 3
		.amdhsa_float_denorm_mode_16_64 3
		.amdhsa_dx10_clamp 1
		.amdhsa_ieee_mode 1
		.amdhsa_fp16_overflow 0
		.amdhsa_workgroup_processor_mode 1
		.amdhsa_memory_ordered 1
		.amdhsa_forward_progress 0
		.amdhsa_shared_vgpr_count 0
		.amdhsa_exception_fp_ieee_invalid_op 0
		.amdhsa_exception_fp_denorm_src 0
		.amdhsa_exception_fp_ieee_div_zero 0
		.amdhsa_exception_fp_ieee_overflow 0
		.amdhsa_exception_fp_ieee_underflow 0
		.amdhsa_exception_fp_ieee_inexact 0
		.amdhsa_exception_int_div_zero 0
	.end_amdhsa_kernel
	.section	.text._ZN7rocprim17ROCPRIM_400000_NS6detail17trampoline_kernelINS0_14default_configENS1_29binary_search_config_selectorItiEEZNS1_14transform_implILb0ES3_S5_N6thrust23THRUST_200600_302600_NS6detail15normal_iteratorINS8_10device_ptrItEEEENSA_INSB_IiEEEEZNS1_13binary_searchIS3_S5_SD_SD_SF_NS1_16binary_search_opENS9_16wrapped_functionINS0_4lessIvEEbEEEE10hipError_tPvRmT1_T2_T3_mmT4_T5_P12ihipStream_tbEUlRKtE_EESM_SQ_SR_mSS_SV_bEUlT_E_NS1_11comp_targetILNS1_3genE2ELNS1_11target_archE906ELNS1_3gpuE6ELNS1_3repE0EEENS1_30default_config_static_selectorELNS0_4arch9wavefront6targetE0EEEvSP_,"axG",@progbits,_ZN7rocprim17ROCPRIM_400000_NS6detail17trampoline_kernelINS0_14default_configENS1_29binary_search_config_selectorItiEEZNS1_14transform_implILb0ES3_S5_N6thrust23THRUST_200600_302600_NS6detail15normal_iteratorINS8_10device_ptrItEEEENSA_INSB_IiEEEEZNS1_13binary_searchIS3_S5_SD_SD_SF_NS1_16binary_search_opENS9_16wrapped_functionINS0_4lessIvEEbEEEE10hipError_tPvRmT1_T2_T3_mmT4_T5_P12ihipStream_tbEUlRKtE_EESM_SQ_SR_mSS_SV_bEUlT_E_NS1_11comp_targetILNS1_3genE2ELNS1_11target_archE906ELNS1_3gpuE6ELNS1_3repE0EEENS1_30default_config_static_selectorELNS0_4arch9wavefront6targetE0EEEvSP_,comdat
.Lfunc_end487:
	.size	_ZN7rocprim17ROCPRIM_400000_NS6detail17trampoline_kernelINS0_14default_configENS1_29binary_search_config_selectorItiEEZNS1_14transform_implILb0ES3_S5_N6thrust23THRUST_200600_302600_NS6detail15normal_iteratorINS8_10device_ptrItEEEENSA_INSB_IiEEEEZNS1_13binary_searchIS3_S5_SD_SD_SF_NS1_16binary_search_opENS9_16wrapped_functionINS0_4lessIvEEbEEEE10hipError_tPvRmT1_T2_T3_mmT4_T5_P12ihipStream_tbEUlRKtE_EESM_SQ_SR_mSS_SV_bEUlT_E_NS1_11comp_targetILNS1_3genE2ELNS1_11target_archE906ELNS1_3gpuE6ELNS1_3repE0EEENS1_30default_config_static_selectorELNS0_4arch9wavefront6targetE0EEEvSP_, .Lfunc_end487-_ZN7rocprim17ROCPRIM_400000_NS6detail17trampoline_kernelINS0_14default_configENS1_29binary_search_config_selectorItiEEZNS1_14transform_implILb0ES3_S5_N6thrust23THRUST_200600_302600_NS6detail15normal_iteratorINS8_10device_ptrItEEEENSA_INSB_IiEEEEZNS1_13binary_searchIS3_S5_SD_SD_SF_NS1_16binary_search_opENS9_16wrapped_functionINS0_4lessIvEEbEEEE10hipError_tPvRmT1_T2_T3_mmT4_T5_P12ihipStream_tbEUlRKtE_EESM_SQ_SR_mSS_SV_bEUlT_E_NS1_11comp_targetILNS1_3genE2ELNS1_11target_archE906ELNS1_3gpuE6ELNS1_3repE0EEENS1_30default_config_static_selectorELNS0_4arch9wavefront6targetE0EEEvSP_
                                        ; -- End function
	.section	.AMDGPU.csdata,"",@progbits
; Kernel info:
; codeLenInByte = 0
; NumSgprs: 0
; NumVgprs: 0
; ScratchSize: 0
; MemoryBound: 0
; FloatMode: 240
; IeeeMode: 1
; LDSByteSize: 0 bytes/workgroup (compile time only)
; SGPRBlocks: 0
; VGPRBlocks: 0
; NumSGPRsForWavesPerEU: 1
; NumVGPRsForWavesPerEU: 1
; Occupancy: 16
; WaveLimiterHint : 0
; COMPUTE_PGM_RSRC2:SCRATCH_EN: 0
; COMPUTE_PGM_RSRC2:USER_SGPR: 15
; COMPUTE_PGM_RSRC2:TRAP_HANDLER: 0
; COMPUTE_PGM_RSRC2:TGID_X_EN: 1
; COMPUTE_PGM_RSRC2:TGID_Y_EN: 0
; COMPUTE_PGM_RSRC2:TGID_Z_EN: 0
; COMPUTE_PGM_RSRC2:TIDIG_COMP_CNT: 0
	.section	.text._ZN7rocprim17ROCPRIM_400000_NS6detail17trampoline_kernelINS0_14default_configENS1_29binary_search_config_selectorItiEEZNS1_14transform_implILb0ES3_S5_N6thrust23THRUST_200600_302600_NS6detail15normal_iteratorINS8_10device_ptrItEEEENSA_INSB_IiEEEEZNS1_13binary_searchIS3_S5_SD_SD_SF_NS1_16binary_search_opENS9_16wrapped_functionINS0_4lessIvEEbEEEE10hipError_tPvRmT1_T2_T3_mmT4_T5_P12ihipStream_tbEUlRKtE_EESM_SQ_SR_mSS_SV_bEUlT_E_NS1_11comp_targetILNS1_3genE10ELNS1_11target_archE1201ELNS1_3gpuE5ELNS1_3repE0EEENS1_30default_config_static_selectorELNS0_4arch9wavefront6targetE0EEEvSP_,"axG",@progbits,_ZN7rocprim17ROCPRIM_400000_NS6detail17trampoline_kernelINS0_14default_configENS1_29binary_search_config_selectorItiEEZNS1_14transform_implILb0ES3_S5_N6thrust23THRUST_200600_302600_NS6detail15normal_iteratorINS8_10device_ptrItEEEENSA_INSB_IiEEEEZNS1_13binary_searchIS3_S5_SD_SD_SF_NS1_16binary_search_opENS9_16wrapped_functionINS0_4lessIvEEbEEEE10hipError_tPvRmT1_T2_T3_mmT4_T5_P12ihipStream_tbEUlRKtE_EESM_SQ_SR_mSS_SV_bEUlT_E_NS1_11comp_targetILNS1_3genE10ELNS1_11target_archE1201ELNS1_3gpuE5ELNS1_3repE0EEENS1_30default_config_static_selectorELNS0_4arch9wavefront6targetE0EEEvSP_,comdat
	.protected	_ZN7rocprim17ROCPRIM_400000_NS6detail17trampoline_kernelINS0_14default_configENS1_29binary_search_config_selectorItiEEZNS1_14transform_implILb0ES3_S5_N6thrust23THRUST_200600_302600_NS6detail15normal_iteratorINS8_10device_ptrItEEEENSA_INSB_IiEEEEZNS1_13binary_searchIS3_S5_SD_SD_SF_NS1_16binary_search_opENS9_16wrapped_functionINS0_4lessIvEEbEEEE10hipError_tPvRmT1_T2_T3_mmT4_T5_P12ihipStream_tbEUlRKtE_EESM_SQ_SR_mSS_SV_bEUlT_E_NS1_11comp_targetILNS1_3genE10ELNS1_11target_archE1201ELNS1_3gpuE5ELNS1_3repE0EEENS1_30default_config_static_selectorELNS0_4arch9wavefront6targetE0EEEvSP_ ; -- Begin function _ZN7rocprim17ROCPRIM_400000_NS6detail17trampoline_kernelINS0_14default_configENS1_29binary_search_config_selectorItiEEZNS1_14transform_implILb0ES3_S5_N6thrust23THRUST_200600_302600_NS6detail15normal_iteratorINS8_10device_ptrItEEEENSA_INSB_IiEEEEZNS1_13binary_searchIS3_S5_SD_SD_SF_NS1_16binary_search_opENS9_16wrapped_functionINS0_4lessIvEEbEEEE10hipError_tPvRmT1_T2_T3_mmT4_T5_P12ihipStream_tbEUlRKtE_EESM_SQ_SR_mSS_SV_bEUlT_E_NS1_11comp_targetILNS1_3genE10ELNS1_11target_archE1201ELNS1_3gpuE5ELNS1_3repE0EEENS1_30default_config_static_selectorELNS0_4arch9wavefront6targetE0EEEvSP_
	.globl	_ZN7rocprim17ROCPRIM_400000_NS6detail17trampoline_kernelINS0_14default_configENS1_29binary_search_config_selectorItiEEZNS1_14transform_implILb0ES3_S5_N6thrust23THRUST_200600_302600_NS6detail15normal_iteratorINS8_10device_ptrItEEEENSA_INSB_IiEEEEZNS1_13binary_searchIS3_S5_SD_SD_SF_NS1_16binary_search_opENS9_16wrapped_functionINS0_4lessIvEEbEEEE10hipError_tPvRmT1_T2_T3_mmT4_T5_P12ihipStream_tbEUlRKtE_EESM_SQ_SR_mSS_SV_bEUlT_E_NS1_11comp_targetILNS1_3genE10ELNS1_11target_archE1201ELNS1_3gpuE5ELNS1_3repE0EEENS1_30default_config_static_selectorELNS0_4arch9wavefront6targetE0EEEvSP_
	.p2align	8
	.type	_ZN7rocprim17ROCPRIM_400000_NS6detail17trampoline_kernelINS0_14default_configENS1_29binary_search_config_selectorItiEEZNS1_14transform_implILb0ES3_S5_N6thrust23THRUST_200600_302600_NS6detail15normal_iteratorINS8_10device_ptrItEEEENSA_INSB_IiEEEEZNS1_13binary_searchIS3_S5_SD_SD_SF_NS1_16binary_search_opENS9_16wrapped_functionINS0_4lessIvEEbEEEE10hipError_tPvRmT1_T2_T3_mmT4_T5_P12ihipStream_tbEUlRKtE_EESM_SQ_SR_mSS_SV_bEUlT_E_NS1_11comp_targetILNS1_3genE10ELNS1_11target_archE1201ELNS1_3gpuE5ELNS1_3repE0EEENS1_30default_config_static_selectorELNS0_4arch9wavefront6targetE0EEEvSP_,@function
_ZN7rocprim17ROCPRIM_400000_NS6detail17trampoline_kernelINS0_14default_configENS1_29binary_search_config_selectorItiEEZNS1_14transform_implILb0ES3_S5_N6thrust23THRUST_200600_302600_NS6detail15normal_iteratorINS8_10device_ptrItEEEENSA_INSB_IiEEEEZNS1_13binary_searchIS3_S5_SD_SD_SF_NS1_16binary_search_opENS9_16wrapped_functionINS0_4lessIvEEbEEEE10hipError_tPvRmT1_T2_T3_mmT4_T5_P12ihipStream_tbEUlRKtE_EESM_SQ_SR_mSS_SV_bEUlT_E_NS1_11comp_targetILNS1_3genE10ELNS1_11target_archE1201ELNS1_3gpuE5ELNS1_3repE0EEENS1_30default_config_static_selectorELNS0_4arch9wavefront6targetE0EEEvSP_: ; @_ZN7rocprim17ROCPRIM_400000_NS6detail17trampoline_kernelINS0_14default_configENS1_29binary_search_config_selectorItiEEZNS1_14transform_implILb0ES3_S5_N6thrust23THRUST_200600_302600_NS6detail15normal_iteratorINS8_10device_ptrItEEEENSA_INSB_IiEEEEZNS1_13binary_searchIS3_S5_SD_SD_SF_NS1_16binary_search_opENS9_16wrapped_functionINS0_4lessIvEEbEEEE10hipError_tPvRmT1_T2_T3_mmT4_T5_P12ihipStream_tbEUlRKtE_EESM_SQ_SR_mSS_SV_bEUlT_E_NS1_11comp_targetILNS1_3genE10ELNS1_11target_archE1201ELNS1_3gpuE5ELNS1_3repE0EEENS1_30default_config_static_selectorELNS0_4arch9wavefront6targetE0EEEvSP_
; %bb.0:
	.section	.rodata,"a",@progbits
	.p2align	6, 0x0
	.amdhsa_kernel _ZN7rocprim17ROCPRIM_400000_NS6detail17trampoline_kernelINS0_14default_configENS1_29binary_search_config_selectorItiEEZNS1_14transform_implILb0ES3_S5_N6thrust23THRUST_200600_302600_NS6detail15normal_iteratorINS8_10device_ptrItEEEENSA_INSB_IiEEEEZNS1_13binary_searchIS3_S5_SD_SD_SF_NS1_16binary_search_opENS9_16wrapped_functionINS0_4lessIvEEbEEEE10hipError_tPvRmT1_T2_T3_mmT4_T5_P12ihipStream_tbEUlRKtE_EESM_SQ_SR_mSS_SV_bEUlT_E_NS1_11comp_targetILNS1_3genE10ELNS1_11target_archE1201ELNS1_3gpuE5ELNS1_3repE0EEENS1_30default_config_static_selectorELNS0_4arch9wavefront6targetE0EEEvSP_
		.amdhsa_group_segment_fixed_size 0
		.amdhsa_private_segment_fixed_size 0
		.amdhsa_kernarg_size 56
		.amdhsa_user_sgpr_count 15
		.amdhsa_user_sgpr_dispatch_ptr 0
		.amdhsa_user_sgpr_queue_ptr 0
		.amdhsa_user_sgpr_kernarg_segment_ptr 1
		.amdhsa_user_sgpr_dispatch_id 0
		.amdhsa_user_sgpr_private_segment_size 0
		.amdhsa_wavefront_size32 1
		.amdhsa_uses_dynamic_stack 0
		.amdhsa_enable_private_segment 0
		.amdhsa_system_sgpr_workgroup_id_x 1
		.amdhsa_system_sgpr_workgroup_id_y 0
		.amdhsa_system_sgpr_workgroup_id_z 0
		.amdhsa_system_sgpr_workgroup_info 0
		.amdhsa_system_vgpr_workitem_id 0
		.amdhsa_next_free_vgpr 1
		.amdhsa_next_free_sgpr 1
		.amdhsa_reserve_vcc 0
		.amdhsa_float_round_mode_32 0
		.amdhsa_float_round_mode_16_64 0
		.amdhsa_float_denorm_mode_32 3
		.amdhsa_float_denorm_mode_16_64 3
		.amdhsa_dx10_clamp 1
		.amdhsa_ieee_mode 1
		.amdhsa_fp16_overflow 0
		.amdhsa_workgroup_processor_mode 1
		.amdhsa_memory_ordered 1
		.amdhsa_forward_progress 0
		.amdhsa_shared_vgpr_count 0
		.amdhsa_exception_fp_ieee_invalid_op 0
		.amdhsa_exception_fp_denorm_src 0
		.amdhsa_exception_fp_ieee_div_zero 0
		.amdhsa_exception_fp_ieee_overflow 0
		.amdhsa_exception_fp_ieee_underflow 0
		.amdhsa_exception_fp_ieee_inexact 0
		.amdhsa_exception_int_div_zero 0
	.end_amdhsa_kernel
	.section	.text._ZN7rocprim17ROCPRIM_400000_NS6detail17trampoline_kernelINS0_14default_configENS1_29binary_search_config_selectorItiEEZNS1_14transform_implILb0ES3_S5_N6thrust23THRUST_200600_302600_NS6detail15normal_iteratorINS8_10device_ptrItEEEENSA_INSB_IiEEEEZNS1_13binary_searchIS3_S5_SD_SD_SF_NS1_16binary_search_opENS9_16wrapped_functionINS0_4lessIvEEbEEEE10hipError_tPvRmT1_T2_T3_mmT4_T5_P12ihipStream_tbEUlRKtE_EESM_SQ_SR_mSS_SV_bEUlT_E_NS1_11comp_targetILNS1_3genE10ELNS1_11target_archE1201ELNS1_3gpuE5ELNS1_3repE0EEENS1_30default_config_static_selectorELNS0_4arch9wavefront6targetE0EEEvSP_,"axG",@progbits,_ZN7rocprim17ROCPRIM_400000_NS6detail17trampoline_kernelINS0_14default_configENS1_29binary_search_config_selectorItiEEZNS1_14transform_implILb0ES3_S5_N6thrust23THRUST_200600_302600_NS6detail15normal_iteratorINS8_10device_ptrItEEEENSA_INSB_IiEEEEZNS1_13binary_searchIS3_S5_SD_SD_SF_NS1_16binary_search_opENS9_16wrapped_functionINS0_4lessIvEEbEEEE10hipError_tPvRmT1_T2_T3_mmT4_T5_P12ihipStream_tbEUlRKtE_EESM_SQ_SR_mSS_SV_bEUlT_E_NS1_11comp_targetILNS1_3genE10ELNS1_11target_archE1201ELNS1_3gpuE5ELNS1_3repE0EEENS1_30default_config_static_selectorELNS0_4arch9wavefront6targetE0EEEvSP_,comdat
.Lfunc_end488:
	.size	_ZN7rocprim17ROCPRIM_400000_NS6detail17trampoline_kernelINS0_14default_configENS1_29binary_search_config_selectorItiEEZNS1_14transform_implILb0ES3_S5_N6thrust23THRUST_200600_302600_NS6detail15normal_iteratorINS8_10device_ptrItEEEENSA_INSB_IiEEEEZNS1_13binary_searchIS3_S5_SD_SD_SF_NS1_16binary_search_opENS9_16wrapped_functionINS0_4lessIvEEbEEEE10hipError_tPvRmT1_T2_T3_mmT4_T5_P12ihipStream_tbEUlRKtE_EESM_SQ_SR_mSS_SV_bEUlT_E_NS1_11comp_targetILNS1_3genE10ELNS1_11target_archE1201ELNS1_3gpuE5ELNS1_3repE0EEENS1_30default_config_static_selectorELNS0_4arch9wavefront6targetE0EEEvSP_, .Lfunc_end488-_ZN7rocprim17ROCPRIM_400000_NS6detail17trampoline_kernelINS0_14default_configENS1_29binary_search_config_selectorItiEEZNS1_14transform_implILb0ES3_S5_N6thrust23THRUST_200600_302600_NS6detail15normal_iteratorINS8_10device_ptrItEEEENSA_INSB_IiEEEEZNS1_13binary_searchIS3_S5_SD_SD_SF_NS1_16binary_search_opENS9_16wrapped_functionINS0_4lessIvEEbEEEE10hipError_tPvRmT1_T2_T3_mmT4_T5_P12ihipStream_tbEUlRKtE_EESM_SQ_SR_mSS_SV_bEUlT_E_NS1_11comp_targetILNS1_3genE10ELNS1_11target_archE1201ELNS1_3gpuE5ELNS1_3repE0EEENS1_30default_config_static_selectorELNS0_4arch9wavefront6targetE0EEEvSP_
                                        ; -- End function
	.section	.AMDGPU.csdata,"",@progbits
; Kernel info:
; codeLenInByte = 0
; NumSgprs: 0
; NumVgprs: 0
; ScratchSize: 0
; MemoryBound: 0
; FloatMode: 240
; IeeeMode: 1
; LDSByteSize: 0 bytes/workgroup (compile time only)
; SGPRBlocks: 0
; VGPRBlocks: 0
; NumSGPRsForWavesPerEU: 1
; NumVGPRsForWavesPerEU: 1
; Occupancy: 16
; WaveLimiterHint : 0
; COMPUTE_PGM_RSRC2:SCRATCH_EN: 0
; COMPUTE_PGM_RSRC2:USER_SGPR: 15
; COMPUTE_PGM_RSRC2:TRAP_HANDLER: 0
; COMPUTE_PGM_RSRC2:TGID_X_EN: 1
; COMPUTE_PGM_RSRC2:TGID_Y_EN: 0
; COMPUTE_PGM_RSRC2:TGID_Z_EN: 0
; COMPUTE_PGM_RSRC2:TIDIG_COMP_CNT: 0
	.section	.text._ZN7rocprim17ROCPRIM_400000_NS6detail17trampoline_kernelINS0_14default_configENS1_29binary_search_config_selectorItiEEZNS1_14transform_implILb0ES3_S5_N6thrust23THRUST_200600_302600_NS6detail15normal_iteratorINS8_10device_ptrItEEEENSA_INSB_IiEEEEZNS1_13binary_searchIS3_S5_SD_SD_SF_NS1_16binary_search_opENS9_16wrapped_functionINS0_4lessIvEEbEEEE10hipError_tPvRmT1_T2_T3_mmT4_T5_P12ihipStream_tbEUlRKtE_EESM_SQ_SR_mSS_SV_bEUlT_E_NS1_11comp_targetILNS1_3genE10ELNS1_11target_archE1200ELNS1_3gpuE4ELNS1_3repE0EEENS1_30default_config_static_selectorELNS0_4arch9wavefront6targetE0EEEvSP_,"axG",@progbits,_ZN7rocprim17ROCPRIM_400000_NS6detail17trampoline_kernelINS0_14default_configENS1_29binary_search_config_selectorItiEEZNS1_14transform_implILb0ES3_S5_N6thrust23THRUST_200600_302600_NS6detail15normal_iteratorINS8_10device_ptrItEEEENSA_INSB_IiEEEEZNS1_13binary_searchIS3_S5_SD_SD_SF_NS1_16binary_search_opENS9_16wrapped_functionINS0_4lessIvEEbEEEE10hipError_tPvRmT1_T2_T3_mmT4_T5_P12ihipStream_tbEUlRKtE_EESM_SQ_SR_mSS_SV_bEUlT_E_NS1_11comp_targetILNS1_3genE10ELNS1_11target_archE1200ELNS1_3gpuE4ELNS1_3repE0EEENS1_30default_config_static_selectorELNS0_4arch9wavefront6targetE0EEEvSP_,comdat
	.protected	_ZN7rocprim17ROCPRIM_400000_NS6detail17trampoline_kernelINS0_14default_configENS1_29binary_search_config_selectorItiEEZNS1_14transform_implILb0ES3_S5_N6thrust23THRUST_200600_302600_NS6detail15normal_iteratorINS8_10device_ptrItEEEENSA_INSB_IiEEEEZNS1_13binary_searchIS3_S5_SD_SD_SF_NS1_16binary_search_opENS9_16wrapped_functionINS0_4lessIvEEbEEEE10hipError_tPvRmT1_T2_T3_mmT4_T5_P12ihipStream_tbEUlRKtE_EESM_SQ_SR_mSS_SV_bEUlT_E_NS1_11comp_targetILNS1_3genE10ELNS1_11target_archE1200ELNS1_3gpuE4ELNS1_3repE0EEENS1_30default_config_static_selectorELNS0_4arch9wavefront6targetE0EEEvSP_ ; -- Begin function _ZN7rocprim17ROCPRIM_400000_NS6detail17trampoline_kernelINS0_14default_configENS1_29binary_search_config_selectorItiEEZNS1_14transform_implILb0ES3_S5_N6thrust23THRUST_200600_302600_NS6detail15normal_iteratorINS8_10device_ptrItEEEENSA_INSB_IiEEEEZNS1_13binary_searchIS3_S5_SD_SD_SF_NS1_16binary_search_opENS9_16wrapped_functionINS0_4lessIvEEbEEEE10hipError_tPvRmT1_T2_T3_mmT4_T5_P12ihipStream_tbEUlRKtE_EESM_SQ_SR_mSS_SV_bEUlT_E_NS1_11comp_targetILNS1_3genE10ELNS1_11target_archE1200ELNS1_3gpuE4ELNS1_3repE0EEENS1_30default_config_static_selectorELNS0_4arch9wavefront6targetE0EEEvSP_
	.globl	_ZN7rocprim17ROCPRIM_400000_NS6detail17trampoline_kernelINS0_14default_configENS1_29binary_search_config_selectorItiEEZNS1_14transform_implILb0ES3_S5_N6thrust23THRUST_200600_302600_NS6detail15normal_iteratorINS8_10device_ptrItEEEENSA_INSB_IiEEEEZNS1_13binary_searchIS3_S5_SD_SD_SF_NS1_16binary_search_opENS9_16wrapped_functionINS0_4lessIvEEbEEEE10hipError_tPvRmT1_T2_T3_mmT4_T5_P12ihipStream_tbEUlRKtE_EESM_SQ_SR_mSS_SV_bEUlT_E_NS1_11comp_targetILNS1_3genE10ELNS1_11target_archE1200ELNS1_3gpuE4ELNS1_3repE0EEENS1_30default_config_static_selectorELNS0_4arch9wavefront6targetE0EEEvSP_
	.p2align	8
	.type	_ZN7rocprim17ROCPRIM_400000_NS6detail17trampoline_kernelINS0_14default_configENS1_29binary_search_config_selectorItiEEZNS1_14transform_implILb0ES3_S5_N6thrust23THRUST_200600_302600_NS6detail15normal_iteratorINS8_10device_ptrItEEEENSA_INSB_IiEEEEZNS1_13binary_searchIS3_S5_SD_SD_SF_NS1_16binary_search_opENS9_16wrapped_functionINS0_4lessIvEEbEEEE10hipError_tPvRmT1_T2_T3_mmT4_T5_P12ihipStream_tbEUlRKtE_EESM_SQ_SR_mSS_SV_bEUlT_E_NS1_11comp_targetILNS1_3genE10ELNS1_11target_archE1200ELNS1_3gpuE4ELNS1_3repE0EEENS1_30default_config_static_selectorELNS0_4arch9wavefront6targetE0EEEvSP_,@function
_ZN7rocprim17ROCPRIM_400000_NS6detail17trampoline_kernelINS0_14default_configENS1_29binary_search_config_selectorItiEEZNS1_14transform_implILb0ES3_S5_N6thrust23THRUST_200600_302600_NS6detail15normal_iteratorINS8_10device_ptrItEEEENSA_INSB_IiEEEEZNS1_13binary_searchIS3_S5_SD_SD_SF_NS1_16binary_search_opENS9_16wrapped_functionINS0_4lessIvEEbEEEE10hipError_tPvRmT1_T2_T3_mmT4_T5_P12ihipStream_tbEUlRKtE_EESM_SQ_SR_mSS_SV_bEUlT_E_NS1_11comp_targetILNS1_3genE10ELNS1_11target_archE1200ELNS1_3gpuE4ELNS1_3repE0EEENS1_30default_config_static_selectorELNS0_4arch9wavefront6targetE0EEEvSP_: ; @_ZN7rocprim17ROCPRIM_400000_NS6detail17trampoline_kernelINS0_14default_configENS1_29binary_search_config_selectorItiEEZNS1_14transform_implILb0ES3_S5_N6thrust23THRUST_200600_302600_NS6detail15normal_iteratorINS8_10device_ptrItEEEENSA_INSB_IiEEEEZNS1_13binary_searchIS3_S5_SD_SD_SF_NS1_16binary_search_opENS9_16wrapped_functionINS0_4lessIvEEbEEEE10hipError_tPvRmT1_T2_T3_mmT4_T5_P12ihipStream_tbEUlRKtE_EESM_SQ_SR_mSS_SV_bEUlT_E_NS1_11comp_targetILNS1_3genE10ELNS1_11target_archE1200ELNS1_3gpuE4ELNS1_3repE0EEENS1_30default_config_static_selectorELNS0_4arch9wavefront6targetE0EEEvSP_
; %bb.0:
	.section	.rodata,"a",@progbits
	.p2align	6, 0x0
	.amdhsa_kernel _ZN7rocprim17ROCPRIM_400000_NS6detail17trampoline_kernelINS0_14default_configENS1_29binary_search_config_selectorItiEEZNS1_14transform_implILb0ES3_S5_N6thrust23THRUST_200600_302600_NS6detail15normal_iteratorINS8_10device_ptrItEEEENSA_INSB_IiEEEEZNS1_13binary_searchIS3_S5_SD_SD_SF_NS1_16binary_search_opENS9_16wrapped_functionINS0_4lessIvEEbEEEE10hipError_tPvRmT1_T2_T3_mmT4_T5_P12ihipStream_tbEUlRKtE_EESM_SQ_SR_mSS_SV_bEUlT_E_NS1_11comp_targetILNS1_3genE10ELNS1_11target_archE1200ELNS1_3gpuE4ELNS1_3repE0EEENS1_30default_config_static_selectorELNS0_4arch9wavefront6targetE0EEEvSP_
		.amdhsa_group_segment_fixed_size 0
		.amdhsa_private_segment_fixed_size 0
		.amdhsa_kernarg_size 56
		.amdhsa_user_sgpr_count 15
		.amdhsa_user_sgpr_dispatch_ptr 0
		.amdhsa_user_sgpr_queue_ptr 0
		.amdhsa_user_sgpr_kernarg_segment_ptr 1
		.amdhsa_user_sgpr_dispatch_id 0
		.amdhsa_user_sgpr_private_segment_size 0
		.amdhsa_wavefront_size32 1
		.amdhsa_uses_dynamic_stack 0
		.amdhsa_enable_private_segment 0
		.amdhsa_system_sgpr_workgroup_id_x 1
		.amdhsa_system_sgpr_workgroup_id_y 0
		.amdhsa_system_sgpr_workgroup_id_z 0
		.amdhsa_system_sgpr_workgroup_info 0
		.amdhsa_system_vgpr_workitem_id 0
		.amdhsa_next_free_vgpr 1
		.amdhsa_next_free_sgpr 1
		.amdhsa_reserve_vcc 0
		.amdhsa_float_round_mode_32 0
		.amdhsa_float_round_mode_16_64 0
		.amdhsa_float_denorm_mode_32 3
		.amdhsa_float_denorm_mode_16_64 3
		.amdhsa_dx10_clamp 1
		.amdhsa_ieee_mode 1
		.amdhsa_fp16_overflow 0
		.amdhsa_workgroup_processor_mode 1
		.amdhsa_memory_ordered 1
		.amdhsa_forward_progress 0
		.amdhsa_shared_vgpr_count 0
		.amdhsa_exception_fp_ieee_invalid_op 0
		.amdhsa_exception_fp_denorm_src 0
		.amdhsa_exception_fp_ieee_div_zero 0
		.amdhsa_exception_fp_ieee_overflow 0
		.amdhsa_exception_fp_ieee_underflow 0
		.amdhsa_exception_fp_ieee_inexact 0
		.amdhsa_exception_int_div_zero 0
	.end_amdhsa_kernel
	.section	.text._ZN7rocprim17ROCPRIM_400000_NS6detail17trampoline_kernelINS0_14default_configENS1_29binary_search_config_selectorItiEEZNS1_14transform_implILb0ES3_S5_N6thrust23THRUST_200600_302600_NS6detail15normal_iteratorINS8_10device_ptrItEEEENSA_INSB_IiEEEEZNS1_13binary_searchIS3_S5_SD_SD_SF_NS1_16binary_search_opENS9_16wrapped_functionINS0_4lessIvEEbEEEE10hipError_tPvRmT1_T2_T3_mmT4_T5_P12ihipStream_tbEUlRKtE_EESM_SQ_SR_mSS_SV_bEUlT_E_NS1_11comp_targetILNS1_3genE10ELNS1_11target_archE1200ELNS1_3gpuE4ELNS1_3repE0EEENS1_30default_config_static_selectorELNS0_4arch9wavefront6targetE0EEEvSP_,"axG",@progbits,_ZN7rocprim17ROCPRIM_400000_NS6detail17trampoline_kernelINS0_14default_configENS1_29binary_search_config_selectorItiEEZNS1_14transform_implILb0ES3_S5_N6thrust23THRUST_200600_302600_NS6detail15normal_iteratorINS8_10device_ptrItEEEENSA_INSB_IiEEEEZNS1_13binary_searchIS3_S5_SD_SD_SF_NS1_16binary_search_opENS9_16wrapped_functionINS0_4lessIvEEbEEEE10hipError_tPvRmT1_T2_T3_mmT4_T5_P12ihipStream_tbEUlRKtE_EESM_SQ_SR_mSS_SV_bEUlT_E_NS1_11comp_targetILNS1_3genE10ELNS1_11target_archE1200ELNS1_3gpuE4ELNS1_3repE0EEENS1_30default_config_static_selectorELNS0_4arch9wavefront6targetE0EEEvSP_,comdat
.Lfunc_end489:
	.size	_ZN7rocprim17ROCPRIM_400000_NS6detail17trampoline_kernelINS0_14default_configENS1_29binary_search_config_selectorItiEEZNS1_14transform_implILb0ES3_S5_N6thrust23THRUST_200600_302600_NS6detail15normal_iteratorINS8_10device_ptrItEEEENSA_INSB_IiEEEEZNS1_13binary_searchIS3_S5_SD_SD_SF_NS1_16binary_search_opENS9_16wrapped_functionINS0_4lessIvEEbEEEE10hipError_tPvRmT1_T2_T3_mmT4_T5_P12ihipStream_tbEUlRKtE_EESM_SQ_SR_mSS_SV_bEUlT_E_NS1_11comp_targetILNS1_3genE10ELNS1_11target_archE1200ELNS1_3gpuE4ELNS1_3repE0EEENS1_30default_config_static_selectorELNS0_4arch9wavefront6targetE0EEEvSP_, .Lfunc_end489-_ZN7rocprim17ROCPRIM_400000_NS6detail17trampoline_kernelINS0_14default_configENS1_29binary_search_config_selectorItiEEZNS1_14transform_implILb0ES3_S5_N6thrust23THRUST_200600_302600_NS6detail15normal_iteratorINS8_10device_ptrItEEEENSA_INSB_IiEEEEZNS1_13binary_searchIS3_S5_SD_SD_SF_NS1_16binary_search_opENS9_16wrapped_functionINS0_4lessIvEEbEEEE10hipError_tPvRmT1_T2_T3_mmT4_T5_P12ihipStream_tbEUlRKtE_EESM_SQ_SR_mSS_SV_bEUlT_E_NS1_11comp_targetILNS1_3genE10ELNS1_11target_archE1200ELNS1_3gpuE4ELNS1_3repE0EEENS1_30default_config_static_selectorELNS0_4arch9wavefront6targetE0EEEvSP_
                                        ; -- End function
	.section	.AMDGPU.csdata,"",@progbits
; Kernel info:
; codeLenInByte = 0
; NumSgprs: 0
; NumVgprs: 0
; ScratchSize: 0
; MemoryBound: 0
; FloatMode: 240
; IeeeMode: 1
; LDSByteSize: 0 bytes/workgroup (compile time only)
; SGPRBlocks: 0
; VGPRBlocks: 0
; NumSGPRsForWavesPerEU: 1
; NumVGPRsForWavesPerEU: 1
; Occupancy: 16
; WaveLimiterHint : 0
; COMPUTE_PGM_RSRC2:SCRATCH_EN: 0
; COMPUTE_PGM_RSRC2:USER_SGPR: 15
; COMPUTE_PGM_RSRC2:TRAP_HANDLER: 0
; COMPUTE_PGM_RSRC2:TGID_X_EN: 1
; COMPUTE_PGM_RSRC2:TGID_Y_EN: 0
; COMPUTE_PGM_RSRC2:TGID_Z_EN: 0
; COMPUTE_PGM_RSRC2:TIDIG_COMP_CNT: 0
	.section	.text._ZN7rocprim17ROCPRIM_400000_NS6detail17trampoline_kernelINS0_14default_configENS1_29binary_search_config_selectorItiEEZNS1_14transform_implILb0ES3_S5_N6thrust23THRUST_200600_302600_NS6detail15normal_iteratorINS8_10device_ptrItEEEENSA_INSB_IiEEEEZNS1_13binary_searchIS3_S5_SD_SD_SF_NS1_16binary_search_opENS9_16wrapped_functionINS0_4lessIvEEbEEEE10hipError_tPvRmT1_T2_T3_mmT4_T5_P12ihipStream_tbEUlRKtE_EESM_SQ_SR_mSS_SV_bEUlT_E_NS1_11comp_targetILNS1_3genE9ELNS1_11target_archE1100ELNS1_3gpuE3ELNS1_3repE0EEENS1_30default_config_static_selectorELNS0_4arch9wavefront6targetE0EEEvSP_,"axG",@progbits,_ZN7rocprim17ROCPRIM_400000_NS6detail17trampoline_kernelINS0_14default_configENS1_29binary_search_config_selectorItiEEZNS1_14transform_implILb0ES3_S5_N6thrust23THRUST_200600_302600_NS6detail15normal_iteratorINS8_10device_ptrItEEEENSA_INSB_IiEEEEZNS1_13binary_searchIS3_S5_SD_SD_SF_NS1_16binary_search_opENS9_16wrapped_functionINS0_4lessIvEEbEEEE10hipError_tPvRmT1_T2_T3_mmT4_T5_P12ihipStream_tbEUlRKtE_EESM_SQ_SR_mSS_SV_bEUlT_E_NS1_11comp_targetILNS1_3genE9ELNS1_11target_archE1100ELNS1_3gpuE3ELNS1_3repE0EEENS1_30default_config_static_selectorELNS0_4arch9wavefront6targetE0EEEvSP_,comdat
	.protected	_ZN7rocprim17ROCPRIM_400000_NS6detail17trampoline_kernelINS0_14default_configENS1_29binary_search_config_selectorItiEEZNS1_14transform_implILb0ES3_S5_N6thrust23THRUST_200600_302600_NS6detail15normal_iteratorINS8_10device_ptrItEEEENSA_INSB_IiEEEEZNS1_13binary_searchIS3_S5_SD_SD_SF_NS1_16binary_search_opENS9_16wrapped_functionINS0_4lessIvEEbEEEE10hipError_tPvRmT1_T2_T3_mmT4_T5_P12ihipStream_tbEUlRKtE_EESM_SQ_SR_mSS_SV_bEUlT_E_NS1_11comp_targetILNS1_3genE9ELNS1_11target_archE1100ELNS1_3gpuE3ELNS1_3repE0EEENS1_30default_config_static_selectorELNS0_4arch9wavefront6targetE0EEEvSP_ ; -- Begin function _ZN7rocprim17ROCPRIM_400000_NS6detail17trampoline_kernelINS0_14default_configENS1_29binary_search_config_selectorItiEEZNS1_14transform_implILb0ES3_S5_N6thrust23THRUST_200600_302600_NS6detail15normal_iteratorINS8_10device_ptrItEEEENSA_INSB_IiEEEEZNS1_13binary_searchIS3_S5_SD_SD_SF_NS1_16binary_search_opENS9_16wrapped_functionINS0_4lessIvEEbEEEE10hipError_tPvRmT1_T2_T3_mmT4_T5_P12ihipStream_tbEUlRKtE_EESM_SQ_SR_mSS_SV_bEUlT_E_NS1_11comp_targetILNS1_3genE9ELNS1_11target_archE1100ELNS1_3gpuE3ELNS1_3repE0EEENS1_30default_config_static_selectorELNS0_4arch9wavefront6targetE0EEEvSP_
	.globl	_ZN7rocprim17ROCPRIM_400000_NS6detail17trampoline_kernelINS0_14default_configENS1_29binary_search_config_selectorItiEEZNS1_14transform_implILb0ES3_S5_N6thrust23THRUST_200600_302600_NS6detail15normal_iteratorINS8_10device_ptrItEEEENSA_INSB_IiEEEEZNS1_13binary_searchIS3_S5_SD_SD_SF_NS1_16binary_search_opENS9_16wrapped_functionINS0_4lessIvEEbEEEE10hipError_tPvRmT1_T2_T3_mmT4_T5_P12ihipStream_tbEUlRKtE_EESM_SQ_SR_mSS_SV_bEUlT_E_NS1_11comp_targetILNS1_3genE9ELNS1_11target_archE1100ELNS1_3gpuE3ELNS1_3repE0EEENS1_30default_config_static_selectorELNS0_4arch9wavefront6targetE0EEEvSP_
	.p2align	8
	.type	_ZN7rocprim17ROCPRIM_400000_NS6detail17trampoline_kernelINS0_14default_configENS1_29binary_search_config_selectorItiEEZNS1_14transform_implILb0ES3_S5_N6thrust23THRUST_200600_302600_NS6detail15normal_iteratorINS8_10device_ptrItEEEENSA_INSB_IiEEEEZNS1_13binary_searchIS3_S5_SD_SD_SF_NS1_16binary_search_opENS9_16wrapped_functionINS0_4lessIvEEbEEEE10hipError_tPvRmT1_T2_T3_mmT4_T5_P12ihipStream_tbEUlRKtE_EESM_SQ_SR_mSS_SV_bEUlT_E_NS1_11comp_targetILNS1_3genE9ELNS1_11target_archE1100ELNS1_3gpuE3ELNS1_3repE0EEENS1_30default_config_static_selectorELNS0_4arch9wavefront6targetE0EEEvSP_,@function
_ZN7rocprim17ROCPRIM_400000_NS6detail17trampoline_kernelINS0_14default_configENS1_29binary_search_config_selectorItiEEZNS1_14transform_implILb0ES3_S5_N6thrust23THRUST_200600_302600_NS6detail15normal_iteratorINS8_10device_ptrItEEEENSA_INSB_IiEEEEZNS1_13binary_searchIS3_S5_SD_SD_SF_NS1_16binary_search_opENS9_16wrapped_functionINS0_4lessIvEEbEEEE10hipError_tPvRmT1_T2_T3_mmT4_T5_P12ihipStream_tbEUlRKtE_EESM_SQ_SR_mSS_SV_bEUlT_E_NS1_11comp_targetILNS1_3genE9ELNS1_11target_archE1100ELNS1_3gpuE3ELNS1_3repE0EEENS1_30default_config_static_selectorELNS0_4arch9wavefront6targetE0EEEvSP_: ; @_ZN7rocprim17ROCPRIM_400000_NS6detail17trampoline_kernelINS0_14default_configENS1_29binary_search_config_selectorItiEEZNS1_14transform_implILb0ES3_S5_N6thrust23THRUST_200600_302600_NS6detail15normal_iteratorINS8_10device_ptrItEEEENSA_INSB_IiEEEEZNS1_13binary_searchIS3_S5_SD_SD_SF_NS1_16binary_search_opENS9_16wrapped_functionINS0_4lessIvEEbEEEE10hipError_tPvRmT1_T2_T3_mmT4_T5_P12ihipStream_tbEUlRKtE_EESM_SQ_SR_mSS_SV_bEUlT_E_NS1_11comp_targetILNS1_3genE9ELNS1_11target_archE1100ELNS1_3gpuE3ELNS1_3repE0EEENS1_30default_config_static_selectorELNS0_4arch9wavefront6targetE0EEEvSP_
; %bb.0:
	s_clause 0x2
	s_load_b256 s[4:11], s[0:1], 0x0
	s_load_b32 s2, s[0:1], 0x38
	s_load_b128 s[16:19], s[0:1], 0x20
	s_waitcnt lgkmcnt(0)
	s_lshl_b64 s[0:1], s[6:7], 1
	s_delay_alu instid0(SALU_CYCLE_1) | instskip(SKIP_2) | instid1(SALU_CYCLE_1)
	s_add_u32 s3, s4, s0
	s_addc_u32 s4, s5, s1
	s_lshl_b64 s[0:1], s[6:7], 2
	s_add_u32 s7, s10, s0
	s_addc_u32 s9, s11, s1
	s_lshl_b32 s10, s15, 9
	s_mov_b32 s11, 0
	s_add_i32 s2, s2, -1
	s_lshl_b64 s[0:1], s[10:11], 1
	s_delay_alu instid0(SALU_CYCLE_1)
	s_add_u32 s13, s3, s0
	s_addc_u32 s14, s4, s1
	s_cmp_lg_u32 s15, s2
	s_mov_b32 s0, -1
	s_cbranch_scc0 .LBB490_50
; %bb.1:
	v_lshlrev_b32_e32 v1, 1, v0
	s_cmp_lg_u64 s[18:19], 0
	s_mov_b32 s1, 0
	s_delay_alu instid0(VALU_DEP_1) | instskip(NEXT) | instid1(VALU_DEP_1)
	v_add_co_u32 v1, s0, s13, v1
	v_add_co_ci_u32_e64 v2, null, s14, 0, s0
	s_cselect_b32 s0, -1, 0
	s_cmp_eq_u64 s[18:19], 0
	s_clause 0x7
	flat_load_u16 v8, v[1:2]
	flat_load_u16 v11, v[1:2] offset:128
	flat_load_u16 v13, v[1:2] offset:256
	;; [unrolled: 1-line block ×7, first 2 shown]
	v_mov_b32_e32 v1, 0
	v_mov_b32_e32 v2, 0
	s_cbranch_scc1 .LBB490_5
; %bb.2:
	v_mov_b32_e32 v1, 0
	v_dual_mov_b32 v2, 0 :: v_dual_mov_b32 v3, s18
	v_mov_b32_e32 v4, s19
	.p2align	6
.LBB490_3:                              ; =>This Inner Loop Header: Depth=1
	s_delay_alu instid0(VALU_DEP_2) | instskip(NEXT) | instid1(VALU_DEP_2)
	v_sub_co_u32 v15, vcc_lo, v3, v1
	v_sub_co_ci_u32_e32 v16, vcc_lo, v4, v2, vcc_lo
	s_delay_alu instid0(VALU_DEP_1) | instskip(SKIP_1) | instid1(VALU_DEP_2)
	v_lshrrev_b64 v[17:18], 1, v[15:16]
	v_lshrrev_b64 v[15:16], 6, v[15:16]
	v_add_co_u32 v6, vcc_lo, v17, v1
	s_delay_alu instid0(VALU_DEP_3) | instskip(NEXT) | instid1(VALU_DEP_2)
	v_add_co_ci_u32_e32 v9, vcc_lo, v18, v2, vcc_lo
	v_add_co_u32 v15, vcc_lo, v6, v15
	s_delay_alu instid0(VALU_DEP_2) | instskip(NEXT) | instid1(VALU_DEP_1)
	v_add_co_ci_u32_e32 v16, vcc_lo, v9, v16, vcc_lo
	v_lshlrev_b64 v[17:18], 1, v[15:16]
	s_delay_alu instid0(VALU_DEP_1) | instskip(NEXT) | instid1(VALU_DEP_2)
	v_add_co_u32 v17, vcc_lo, s16, v17
	v_add_co_ci_u32_e32 v18, vcc_lo, s17, v18, vcc_lo
	v_add_co_u32 v9, vcc_lo, v15, 1
	global_load_u16 v6, v[17:18], off
	v_add_co_ci_u32_e32 v17, vcc_lo, 0, v16, vcc_lo
	s_waitcnt vmcnt(0) lgkmcnt(7)
	v_cmp_lt_u16_e32 vcc_lo, v6, v8
	v_dual_cndmask_b32 v4, v16, v4 :: v_dual_cndmask_b32 v3, v15, v3
	s_delay_alu instid0(VALU_DEP_3) | instskip(SKIP_1) | instid1(VALU_DEP_1)
	v_cndmask_b32_e32 v2, v2, v17, vcc_lo
	v_cndmask_b32_e32 v1, v1, v9, vcc_lo
	v_cmp_ge_u64_e32 vcc_lo, v[1:2], v[3:4]
	s_or_b32 s1, vcc_lo, s1
	s_delay_alu instid0(SALU_CYCLE_1)
	s_and_not1_b32 exec_lo, exec_lo, s1
	s_cbranch_execnz .LBB490_3
; %bb.4:
	s_or_b32 exec_lo, exec_lo, s1
.LBB490_5:
	v_mov_b32_e32 v6, 0
	s_mov_b32 s1, exec_lo
	s_delay_alu instid0(VALU_DEP_2)
	v_cmpx_ne_u64_e64 s[18:19], v[1:2]
	s_cbranch_execz .LBB490_7
; %bb.6:
	v_lshlrev_b64 v[1:2], 1, v[1:2]
	s_delay_alu instid0(VALU_DEP_1) | instskip(NEXT) | instid1(VALU_DEP_2)
	v_add_co_u32 v1, vcc_lo, s16, v1
	v_add_co_ci_u32_e32 v2, vcc_lo, s17, v2, vcc_lo
	global_load_u16 v1, v[1:2], off
	s_waitcnt vmcnt(0) lgkmcnt(7)
	v_cmp_le_u16_e32 vcc_lo, v1, v8
	v_cndmask_b32_e64 v6, 0, 1, vcc_lo
.LBB490_7:
	s_or_b32 exec_lo, exec_lo, s1
	v_mov_b32_e32 v1, 0
	v_cndmask_b32_e64 v9, 0, 1, s0
	v_mov_b32_e32 v2, 0
	s_and_not1_b32 vcc_lo, exec_lo, s0
	s_cbranch_vccnz .LBB490_11
; %bb.8:
	v_dual_mov_b32 v3, s18 :: v_dual_mov_b32 v4, s19
	s_mov_b32 s0, 0
	.p2align	6
.LBB490_9:                              ; =>This Inner Loop Header: Depth=1
	s_delay_alu instid0(VALU_DEP_1) | instskip(NEXT) | instid1(VALU_DEP_2)
	v_sub_co_u32 v15, vcc_lo, v3, v1
	v_sub_co_ci_u32_e32 v16, vcc_lo, v4, v2, vcc_lo
	s_delay_alu instid0(VALU_DEP_1) | instskip(SKIP_2) | instid1(VALU_DEP_2)
	v_lshrrev_b64 v[17:18], 1, v[15:16]
	v_lshrrev_b64 v[15:16], 6, v[15:16]
	s_waitcnt vmcnt(7) lgkmcnt(7)
	v_add_co_u32 v8, vcc_lo, v17, v1
	s_delay_alu instid0(VALU_DEP_3) | instskip(NEXT) | instid1(VALU_DEP_2)
	v_add_co_ci_u32_e32 v17, vcc_lo, v18, v2, vcc_lo
	v_add_co_u32 v15, vcc_lo, v8, v15
	s_delay_alu instid0(VALU_DEP_2) | instskip(NEXT) | instid1(VALU_DEP_1)
	v_add_co_ci_u32_e32 v16, vcc_lo, v17, v16, vcc_lo
	v_lshlrev_b64 v[17:18], 1, v[15:16]
	s_delay_alu instid0(VALU_DEP_1) | instskip(NEXT) | instid1(VALU_DEP_2)
	v_add_co_u32 v17, vcc_lo, s16, v17
	v_add_co_ci_u32_e32 v18, vcc_lo, s17, v18, vcc_lo
	global_load_u16 v8, v[17:18], off
	v_add_co_u32 v17, vcc_lo, v15, 1
	v_add_co_ci_u32_e32 v18, vcc_lo, 0, v16, vcc_lo
	s_waitcnt vmcnt(0) lgkmcnt(6)
	v_cmp_lt_u16_e32 vcc_lo, v8, v11
	v_dual_cndmask_b32 v4, v16, v4 :: v_dual_cndmask_b32 v3, v15, v3
	s_delay_alu instid0(VALU_DEP_3) | instskip(NEXT) | instid1(VALU_DEP_1)
	v_dual_cndmask_b32 v2, v2, v18 :: v_dual_cndmask_b32 v1, v1, v17
	v_cmp_ge_u64_e32 vcc_lo, v[1:2], v[3:4]
	s_or_b32 s0, vcc_lo, s0
	s_delay_alu instid0(SALU_CYCLE_1)
	s_and_not1_b32 exec_lo, exec_lo, s0
	s_cbranch_execnz .LBB490_9
; %bb.10:
	s_or_b32 exec_lo, exec_lo, s0
.LBB490_11:
	s_waitcnt vmcnt(7) lgkmcnt(7)
	v_mov_b32_e32 v8, 0
	s_mov_b32 s0, exec_lo
	v_cmpx_ne_u64_e64 s[18:19], v[1:2]
	s_cbranch_execz .LBB490_13
; %bb.12:
	v_lshlrev_b64 v[1:2], 1, v[1:2]
	s_delay_alu instid0(VALU_DEP_1) | instskip(NEXT) | instid1(VALU_DEP_2)
	v_add_co_u32 v1, vcc_lo, s16, v1
	v_add_co_ci_u32_e32 v2, vcc_lo, s17, v2, vcc_lo
	global_load_u16 v1, v[1:2], off
	s_waitcnt vmcnt(0) lgkmcnt(6)
	v_cmp_le_u16_e32 vcc_lo, v1, v11
	v_cndmask_b32_e64 v8, 0, 1, vcc_lo
.LBB490_13:
	s_or_b32 exec_lo, exec_lo, s0
	v_cmp_ne_u32_e32 vcc_lo, 1, v9
	v_mov_b32_e32 v1, 0
	v_mov_b32_e32 v2, 0
	s_cbranch_vccnz .LBB490_17
; %bb.14:
	v_dual_mov_b32 v3, s18 :: v_dual_mov_b32 v4, s19
	s_mov_b32 s0, 0
	.p2align	6
.LBB490_15:                             ; =>This Inner Loop Header: Depth=1
	s_delay_alu instid0(VALU_DEP_1) | instskip(NEXT) | instid1(VALU_DEP_2)
	v_sub_co_u32 v15, vcc_lo, v3, v1
	v_sub_co_ci_u32_e32 v16, vcc_lo, v4, v2, vcc_lo
	s_delay_alu instid0(VALU_DEP_1) | instskip(SKIP_2) | instid1(VALU_DEP_2)
	v_lshrrev_b64 v[17:18], 1, v[15:16]
	v_lshrrev_b64 v[15:16], 6, v[15:16]
	s_waitcnt vmcnt(6) lgkmcnt(6)
	v_add_co_u32 v11, vcc_lo, v17, v1
	s_delay_alu instid0(VALU_DEP_3) | instskip(NEXT) | instid1(VALU_DEP_2)
	v_add_co_ci_u32_e32 v17, vcc_lo, v18, v2, vcc_lo
	v_add_co_u32 v15, vcc_lo, v11, v15
	s_delay_alu instid0(VALU_DEP_2) | instskip(NEXT) | instid1(VALU_DEP_1)
	v_add_co_ci_u32_e32 v16, vcc_lo, v17, v16, vcc_lo
	v_lshlrev_b64 v[17:18], 1, v[15:16]
	s_delay_alu instid0(VALU_DEP_1) | instskip(NEXT) | instid1(VALU_DEP_2)
	v_add_co_u32 v17, vcc_lo, s16, v17
	v_add_co_ci_u32_e32 v18, vcc_lo, s17, v18, vcc_lo
	global_load_u16 v11, v[17:18], off
	v_add_co_u32 v17, vcc_lo, v15, 1
	v_add_co_ci_u32_e32 v18, vcc_lo, 0, v16, vcc_lo
	s_waitcnt vmcnt(0) lgkmcnt(5)
	v_cmp_lt_u16_e32 vcc_lo, v11, v13
	v_dual_cndmask_b32 v4, v16, v4 :: v_dual_cndmask_b32 v3, v15, v3
	s_delay_alu instid0(VALU_DEP_3) | instskip(NEXT) | instid1(VALU_DEP_1)
	v_dual_cndmask_b32 v2, v2, v18 :: v_dual_cndmask_b32 v1, v1, v17
	v_cmp_ge_u64_e32 vcc_lo, v[1:2], v[3:4]
	s_or_b32 s0, vcc_lo, s0
	s_delay_alu instid0(SALU_CYCLE_1)
	s_and_not1_b32 exec_lo, exec_lo, s0
	s_cbranch_execnz .LBB490_15
; %bb.16:
	s_or_b32 exec_lo, exec_lo, s0
.LBB490_17:
	s_waitcnt vmcnt(6) lgkmcnt(6)
	v_mov_b32_e32 v11, 0
	s_mov_b32 s0, exec_lo
	v_cmpx_ne_u64_e64 s[18:19], v[1:2]
	s_cbranch_execz .LBB490_19
; %bb.18:
	v_lshlrev_b64 v[1:2], 1, v[1:2]
	s_delay_alu instid0(VALU_DEP_1) | instskip(NEXT) | instid1(VALU_DEP_2)
	v_add_co_u32 v1, vcc_lo, s16, v1
	v_add_co_ci_u32_e32 v2, vcc_lo, s17, v2, vcc_lo
	global_load_u16 v1, v[1:2], off
	s_waitcnt vmcnt(0) lgkmcnt(5)
	v_cmp_le_u16_e32 vcc_lo, v1, v13
	v_cndmask_b32_e64 v11, 0, 1, vcc_lo
.LBB490_19:
	s_or_b32 exec_lo, exec_lo, s0
	v_cmp_ne_u32_e32 vcc_lo, 1, v9
	v_mov_b32_e32 v1, 0
	v_mov_b32_e32 v2, 0
	s_cbranch_vccnz .LBB490_23
; %bb.20:
	v_dual_mov_b32 v3, s18 :: v_dual_mov_b32 v4, s19
	s_mov_b32 s0, 0
	.p2align	6
.LBB490_21:                             ; =>This Inner Loop Header: Depth=1
	s_delay_alu instid0(VALU_DEP_1) | instskip(NEXT) | instid1(VALU_DEP_2)
	v_sub_co_u32 v15, vcc_lo, v3, v1
	v_sub_co_ci_u32_e32 v16, vcc_lo, v4, v2, vcc_lo
	s_delay_alu instid0(VALU_DEP_1) | instskip(SKIP_2) | instid1(VALU_DEP_2)
	v_lshrrev_b64 v[17:18], 1, v[15:16]
	v_lshrrev_b64 v[15:16], 6, v[15:16]
	s_waitcnt vmcnt(5) lgkmcnt(5)
	v_add_co_u32 v13, vcc_lo, v17, v1
	s_delay_alu instid0(VALU_DEP_3) | instskip(NEXT) | instid1(VALU_DEP_2)
	v_add_co_ci_u32_e32 v17, vcc_lo, v18, v2, vcc_lo
	v_add_co_u32 v15, vcc_lo, v13, v15
	s_delay_alu instid0(VALU_DEP_2) | instskip(NEXT) | instid1(VALU_DEP_1)
	v_add_co_ci_u32_e32 v16, vcc_lo, v17, v16, vcc_lo
	v_lshlrev_b64 v[17:18], 1, v[15:16]
	s_delay_alu instid0(VALU_DEP_1) | instskip(NEXT) | instid1(VALU_DEP_2)
	v_add_co_u32 v17, vcc_lo, s16, v17
	v_add_co_ci_u32_e32 v18, vcc_lo, s17, v18, vcc_lo
	global_load_u16 v13, v[17:18], off
	v_add_co_u32 v17, vcc_lo, v15, 1
	v_add_co_ci_u32_e32 v18, vcc_lo, 0, v16, vcc_lo
	s_waitcnt vmcnt(0) lgkmcnt(4)
	v_cmp_lt_u16_e32 vcc_lo, v13, v14
	v_dual_cndmask_b32 v4, v16, v4 :: v_dual_cndmask_b32 v3, v15, v3
	s_delay_alu instid0(VALU_DEP_3) | instskip(NEXT) | instid1(VALU_DEP_1)
	v_dual_cndmask_b32 v2, v2, v18 :: v_dual_cndmask_b32 v1, v1, v17
	v_cmp_ge_u64_e32 vcc_lo, v[1:2], v[3:4]
	s_or_b32 s0, vcc_lo, s0
	s_delay_alu instid0(SALU_CYCLE_1)
	s_and_not1_b32 exec_lo, exec_lo, s0
	s_cbranch_execnz .LBB490_21
; %bb.22:
	s_or_b32 exec_lo, exec_lo, s0
.LBB490_23:
	s_waitcnt vmcnt(5) lgkmcnt(5)
	v_mov_b32_e32 v13, 0
	s_mov_b32 s0, exec_lo
	v_cmpx_ne_u64_e64 s[18:19], v[1:2]
	s_cbranch_execz .LBB490_25
; %bb.24:
	v_lshlrev_b64 v[1:2], 1, v[1:2]
	s_delay_alu instid0(VALU_DEP_1) | instskip(NEXT) | instid1(VALU_DEP_2)
	v_add_co_u32 v1, vcc_lo, s16, v1
	v_add_co_ci_u32_e32 v2, vcc_lo, s17, v2, vcc_lo
	global_load_u16 v1, v[1:2], off
	s_waitcnt vmcnt(0) lgkmcnt(4)
	v_cmp_le_u16_e32 vcc_lo, v1, v14
	v_cndmask_b32_e64 v13, 0, 1, vcc_lo
.LBB490_25:
	s_or_b32 exec_lo, exec_lo, s0
	v_cmp_ne_u32_e32 vcc_lo, 1, v9
	v_mov_b32_e32 v1, 0
	v_mov_b32_e32 v2, 0
	s_cbranch_vccnz .LBB490_29
; %bb.26:
	v_dual_mov_b32 v3, s18 :: v_dual_mov_b32 v4, s19
	s_mov_b32 s0, 0
	.p2align	6
.LBB490_27:                             ; =>This Inner Loop Header: Depth=1
	s_waitcnt vmcnt(4) lgkmcnt(4)
	s_delay_alu instid0(VALU_DEP_1) | instskip(NEXT) | instid1(VALU_DEP_2)
	v_sub_co_u32 v14, vcc_lo, v3, v1
	v_sub_co_ci_u32_e32 v15, vcc_lo, v4, v2, vcc_lo
	s_delay_alu instid0(VALU_DEP_1) | instskip(SKIP_1) | instid1(VALU_DEP_2)
	v_lshrrev_b64 v[16:17], 1, v[14:15]
	v_lshrrev_b64 v[14:15], 6, v[14:15]
	v_add_co_u32 v16, vcc_lo, v16, v1
	s_delay_alu instid0(VALU_DEP_3) | instskip(NEXT) | instid1(VALU_DEP_2)
	v_add_co_ci_u32_e32 v17, vcc_lo, v17, v2, vcc_lo
	v_add_co_u32 v14, vcc_lo, v16, v14
	s_delay_alu instid0(VALU_DEP_2) | instskip(NEXT) | instid1(VALU_DEP_1)
	v_add_co_ci_u32_e32 v15, vcc_lo, v17, v15, vcc_lo
	v_lshlrev_b64 v[16:17], 1, v[14:15]
	s_delay_alu instid0(VALU_DEP_1) | instskip(NEXT) | instid1(VALU_DEP_2)
	v_add_co_u32 v16, vcc_lo, s16, v16
	v_add_co_ci_u32_e32 v17, vcc_lo, s17, v17, vcc_lo
	global_load_u16 v16, v[16:17], off
	v_add_co_u32 v17, vcc_lo, v14, 1
	v_add_co_ci_u32_e32 v18, vcc_lo, 0, v15, vcc_lo
	s_waitcnt vmcnt(0) lgkmcnt(3)
	v_cmp_lt_u16_e32 vcc_lo, v16, v12
	v_dual_cndmask_b32 v4, v15, v4 :: v_dual_cndmask_b32 v3, v14, v3
	s_delay_alu instid0(VALU_DEP_3) | instskip(NEXT) | instid1(VALU_DEP_1)
	v_dual_cndmask_b32 v2, v2, v18 :: v_dual_cndmask_b32 v1, v1, v17
	v_cmp_ge_u64_e32 vcc_lo, v[1:2], v[3:4]
	s_or_b32 s0, vcc_lo, s0
	s_delay_alu instid0(SALU_CYCLE_1)
	s_and_not1_b32 exec_lo, exec_lo, s0
	s_cbranch_execnz .LBB490_27
; %bb.28:
	s_or_b32 exec_lo, exec_lo, s0
.LBB490_29:
	s_waitcnt vmcnt(4) lgkmcnt(4)
	v_mov_b32_e32 v14, 0
	s_mov_b32 s0, exec_lo
	v_cmpx_ne_u64_e64 s[18:19], v[1:2]
	s_cbranch_execz .LBB490_31
; %bb.30:
	v_lshlrev_b64 v[1:2], 1, v[1:2]
	s_delay_alu instid0(VALU_DEP_1) | instskip(NEXT) | instid1(VALU_DEP_2)
	v_add_co_u32 v1, vcc_lo, s16, v1
	v_add_co_ci_u32_e32 v2, vcc_lo, s17, v2, vcc_lo
	global_load_u16 v1, v[1:2], off
	s_waitcnt vmcnt(0) lgkmcnt(3)
	v_cmp_le_u16_e32 vcc_lo, v1, v12
	v_cndmask_b32_e64 v14, 0, 1, vcc_lo
.LBB490_31:
	s_or_b32 exec_lo, exec_lo, s0
	v_cmp_ne_u32_e32 vcc_lo, 1, v9
	v_mov_b32_e32 v1, 0
	v_mov_b32_e32 v2, 0
	s_cbranch_vccnz .LBB490_35
; %bb.32:
	v_dual_mov_b32 v3, s18 :: v_dual_mov_b32 v4, s19
	s_mov_b32 s0, 0
	.p2align	6
.LBB490_33:                             ; =>This Inner Loop Header: Depth=1
	s_delay_alu instid0(VALU_DEP_1) | instskip(NEXT) | instid1(VALU_DEP_2)
	v_sub_co_u32 v15, vcc_lo, v3, v1
	v_sub_co_ci_u32_e32 v16, vcc_lo, v4, v2, vcc_lo
	s_delay_alu instid0(VALU_DEP_1) | instskip(SKIP_2) | instid1(VALU_DEP_2)
	v_lshrrev_b64 v[17:18], 1, v[15:16]
	v_lshrrev_b64 v[15:16], 6, v[15:16]
	s_waitcnt vmcnt(3) lgkmcnt(3)
	v_add_co_u32 v12, vcc_lo, v17, v1
	s_delay_alu instid0(VALU_DEP_3) | instskip(NEXT) | instid1(VALU_DEP_2)
	v_add_co_ci_u32_e32 v17, vcc_lo, v18, v2, vcc_lo
	v_add_co_u32 v15, vcc_lo, v12, v15
	s_delay_alu instid0(VALU_DEP_2) | instskip(NEXT) | instid1(VALU_DEP_1)
	v_add_co_ci_u32_e32 v16, vcc_lo, v17, v16, vcc_lo
	v_lshlrev_b64 v[17:18], 1, v[15:16]
	s_delay_alu instid0(VALU_DEP_1) | instskip(NEXT) | instid1(VALU_DEP_2)
	v_add_co_u32 v17, vcc_lo, s16, v17
	v_add_co_ci_u32_e32 v18, vcc_lo, s17, v18, vcc_lo
	global_load_u16 v12, v[17:18], off
	v_add_co_u32 v17, vcc_lo, v15, 1
	v_add_co_ci_u32_e32 v18, vcc_lo, 0, v16, vcc_lo
	s_waitcnt vmcnt(0) lgkmcnt(2)
	v_cmp_lt_u16_e32 vcc_lo, v12, v10
	v_dual_cndmask_b32 v4, v16, v4 :: v_dual_cndmask_b32 v3, v15, v3
	s_delay_alu instid0(VALU_DEP_3) | instskip(NEXT) | instid1(VALU_DEP_1)
	v_dual_cndmask_b32 v2, v2, v18 :: v_dual_cndmask_b32 v1, v1, v17
	v_cmp_ge_u64_e32 vcc_lo, v[1:2], v[3:4]
	s_or_b32 s0, vcc_lo, s0
	s_delay_alu instid0(SALU_CYCLE_1)
	s_and_not1_b32 exec_lo, exec_lo, s0
	s_cbranch_execnz .LBB490_33
; %bb.34:
	s_or_b32 exec_lo, exec_lo, s0
.LBB490_35:
	s_waitcnt vmcnt(3) lgkmcnt(3)
	v_mov_b32_e32 v12, 0
	s_mov_b32 s0, exec_lo
	v_cmpx_ne_u64_e64 s[18:19], v[1:2]
	s_cbranch_execz .LBB490_37
; %bb.36:
	v_lshlrev_b64 v[1:2], 1, v[1:2]
	s_delay_alu instid0(VALU_DEP_1) | instskip(NEXT) | instid1(VALU_DEP_2)
	v_add_co_u32 v1, vcc_lo, s16, v1
	v_add_co_ci_u32_e32 v2, vcc_lo, s17, v2, vcc_lo
	global_load_u16 v1, v[1:2], off
	s_waitcnt vmcnt(0) lgkmcnt(2)
	v_cmp_le_u16_e32 vcc_lo, v1, v10
	v_cndmask_b32_e64 v12, 0, 1, vcc_lo
.LBB490_37:
	s_or_b32 exec_lo, exec_lo, s0
	v_cmp_ne_u32_e32 vcc_lo, 1, v9
	v_mov_b32_e32 v1, 0
	v_mov_b32_e32 v2, 0
	s_cbranch_vccnz .LBB490_41
; %bb.38:
	v_dual_mov_b32 v3, s18 :: v_dual_mov_b32 v4, s19
	s_mov_b32 s0, 0
	.p2align	6
.LBB490_39:                             ; =>This Inner Loop Header: Depth=1
	s_delay_alu instid0(VALU_DEP_1) | instskip(NEXT) | instid1(VALU_DEP_2)
	v_sub_co_u32 v15, vcc_lo, v3, v1
	v_sub_co_ci_u32_e32 v16, vcc_lo, v4, v2, vcc_lo
	s_delay_alu instid0(VALU_DEP_1) | instskip(SKIP_2) | instid1(VALU_DEP_2)
	v_lshrrev_b64 v[17:18], 1, v[15:16]
	v_lshrrev_b64 v[15:16], 6, v[15:16]
	s_waitcnt vmcnt(2) lgkmcnt(2)
	v_add_co_u32 v10, vcc_lo, v17, v1
	s_delay_alu instid0(VALU_DEP_3) | instskip(NEXT) | instid1(VALU_DEP_2)
	v_add_co_ci_u32_e32 v17, vcc_lo, v18, v2, vcc_lo
	v_add_co_u32 v15, vcc_lo, v10, v15
	s_delay_alu instid0(VALU_DEP_2) | instskip(NEXT) | instid1(VALU_DEP_1)
	v_add_co_ci_u32_e32 v16, vcc_lo, v17, v16, vcc_lo
	v_lshlrev_b64 v[17:18], 1, v[15:16]
	s_delay_alu instid0(VALU_DEP_1) | instskip(NEXT) | instid1(VALU_DEP_2)
	v_add_co_u32 v17, vcc_lo, s16, v17
	v_add_co_ci_u32_e32 v18, vcc_lo, s17, v18, vcc_lo
	global_load_u16 v10, v[17:18], off
	v_add_co_u32 v17, vcc_lo, v15, 1
	v_add_co_ci_u32_e32 v18, vcc_lo, 0, v16, vcc_lo
	s_waitcnt vmcnt(0) lgkmcnt(1)
	v_cmp_lt_u16_e32 vcc_lo, v10, v7
	v_dual_cndmask_b32 v4, v16, v4 :: v_dual_cndmask_b32 v3, v15, v3
	s_delay_alu instid0(VALU_DEP_3) | instskip(NEXT) | instid1(VALU_DEP_1)
	v_dual_cndmask_b32 v2, v2, v18 :: v_dual_cndmask_b32 v1, v1, v17
	v_cmp_ge_u64_e32 vcc_lo, v[1:2], v[3:4]
	s_or_b32 s0, vcc_lo, s0
	s_delay_alu instid0(SALU_CYCLE_1)
	s_and_not1_b32 exec_lo, exec_lo, s0
	s_cbranch_execnz .LBB490_39
; %bb.40:
	s_or_b32 exec_lo, exec_lo, s0
.LBB490_41:
	s_waitcnt vmcnt(2) lgkmcnt(2)
	v_mov_b32_e32 v10, 0
	s_mov_b32 s0, exec_lo
	v_cmpx_ne_u64_e64 s[18:19], v[1:2]
	s_cbranch_execz .LBB490_43
; %bb.42:
	v_lshlrev_b64 v[1:2], 1, v[1:2]
	s_delay_alu instid0(VALU_DEP_1) | instskip(NEXT) | instid1(VALU_DEP_2)
	v_add_co_u32 v1, vcc_lo, s16, v1
	v_add_co_ci_u32_e32 v2, vcc_lo, s17, v2, vcc_lo
	global_load_u16 v1, v[1:2], off
	s_waitcnt vmcnt(0) lgkmcnt(1)
	v_cmp_le_u16_e32 vcc_lo, v1, v7
	v_cndmask_b32_e64 v10, 0, 1, vcc_lo
.LBB490_43:
	s_or_b32 exec_lo, exec_lo, s0
	v_cmp_ne_u32_e32 vcc_lo, 1, v9
	v_mov_b32_e32 v1, 0
	v_mov_b32_e32 v2, 0
	s_cbranch_vccnz .LBB490_47
; %bb.44:
	v_dual_mov_b32 v3, s18 :: v_dual_mov_b32 v4, s19
	s_mov_b32 s0, 0
	.p2align	6
.LBB490_45:                             ; =>This Inner Loop Header: Depth=1
	s_delay_alu instid0(VALU_DEP_1) | instskip(NEXT) | instid1(VALU_DEP_2)
	v_sub_co_u32 v15, vcc_lo, v3, v1
	v_sub_co_ci_u32_e32 v16, vcc_lo, v4, v2, vcc_lo
	s_delay_alu instid0(VALU_DEP_1) | instskip(SKIP_2) | instid1(VALU_DEP_2)
	v_lshrrev_b64 v[17:18], 1, v[15:16]
	v_lshrrev_b64 v[15:16], 6, v[15:16]
	s_waitcnt vmcnt(1) lgkmcnt(1)
	v_add_co_u32 v7, vcc_lo, v17, v1
	s_delay_alu instid0(VALU_DEP_3) | instskip(NEXT) | instid1(VALU_DEP_2)
	v_add_co_ci_u32_e32 v9, vcc_lo, v18, v2, vcc_lo
	v_add_co_u32 v15, vcc_lo, v7, v15
	s_delay_alu instid0(VALU_DEP_2) | instskip(NEXT) | instid1(VALU_DEP_1)
	v_add_co_ci_u32_e32 v16, vcc_lo, v9, v16, vcc_lo
	v_lshlrev_b64 v[17:18], 1, v[15:16]
	s_delay_alu instid0(VALU_DEP_1) | instskip(NEXT) | instid1(VALU_DEP_2)
	v_add_co_u32 v17, vcc_lo, s16, v17
	v_add_co_ci_u32_e32 v18, vcc_lo, s17, v18, vcc_lo
	v_add_co_u32 v9, vcc_lo, v15, 1
	global_load_u16 v7, v[17:18], off
	v_add_co_ci_u32_e32 v17, vcc_lo, 0, v16, vcc_lo
	s_waitcnt vmcnt(0) lgkmcnt(0)
	v_cmp_lt_u16_e32 vcc_lo, v7, v5
	v_dual_cndmask_b32 v4, v16, v4 :: v_dual_cndmask_b32 v3, v15, v3
	s_delay_alu instid0(VALU_DEP_3) | instskip(SKIP_1) | instid1(VALU_DEP_1)
	v_cndmask_b32_e32 v2, v2, v17, vcc_lo
	v_cndmask_b32_e32 v1, v1, v9, vcc_lo
	v_cmp_ge_u64_e32 vcc_lo, v[1:2], v[3:4]
	s_or_b32 s0, vcc_lo, s0
	s_delay_alu instid0(SALU_CYCLE_1)
	s_and_not1_b32 exec_lo, exec_lo, s0
	s_cbranch_execnz .LBB490_45
; %bb.46:
	s_or_b32 exec_lo, exec_lo, s0
.LBB490_47:
	v_mov_b32_e32 v3, 0
	s_mov_b32 s0, exec_lo
	s_delay_alu instid0(VALU_DEP_2)
	v_cmpx_ne_u64_e64 s[18:19], v[1:2]
	s_cbranch_execz .LBB490_49
; %bb.48:
	v_lshlrev_b64 v[1:2], 1, v[1:2]
	s_delay_alu instid0(VALU_DEP_1) | instskip(NEXT) | instid1(VALU_DEP_2)
	v_add_co_u32 v1, vcc_lo, s16, v1
	v_add_co_ci_u32_e32 v2, vcc_lo, s17, v2, vcc_lo
	global_load_u16 v1, v[1:2], off
	s_waitcnt vmcnt(0) lgkmcnt(0)
	v_cmp_le_u16_e32 vcc_lo, v1, v5
	v_cndmask_b32_e64 v3, 0, 1, vcc_lo
.LBB490_49:
	s_or_b32 exec_lo, exec_lo, s0
	v_lshlrev_b32_e32 v1, 2, v0
	s_lshl_b64 s[0:1], s[10:11], 2
	s_mov_b32 s12, -1
	s_add_u32 s0, s7, s0
	s_addc_u32 s1, s9, s1
	v_add_co_u32 v1, s0, s0, v1
	s_delay_alu instid0(VALU_DEP_1)
	v_add_co_ci_u32_e64 v2, null, s1, 0, s0
	s_clause 0x6
	flat_store_b32 v[1:2], v6
	flat_store_b32 v[1:2], v8 offset:256
	flat_store_b32 v[1:2], v11 offset:512
	;; [unrolled: 1-line block ×6, first 2 shown]
	s_branch .LBB490_140
.LBB490_50:
	s_mov_b32 s12, s11
                                        ; implicit-def: $vgpr3
                                        ; implicit-def: $vgpr1_vgpr2
	s_and_b32 vcc_lo, exec_lo, s0
	s_cbranch_vccz .LBB490_140
; %bb.51:
	s_sub_i32 s8, s8, s10
                                        ; implicit-def: $vgpr1_vgpr2_vgpr3_vgpr4
	s_delay_alu instid0(SALU_CYCLE_1) | instskip(NEXT) | instid1(VALU_DEP_1)
	v_cmp_gt_u32_e64 s0, s8, v0
	s_and_saveexec_b32 s1, s0
	s_cbranch_execz .LBB490_53
; %bb.52:
	v_lshlrev_b32_e32 v1, 1, v0
	s_delay_alu instid0(VALU_DEP_1) | instskip(NEXT) | instid1(VALU_DEP_1)
	v_add_co_u32 v1, s2, s13, v1
	v_add_co_ci_u32_e64 v2, null, s14, 0, s2
	flat_load_d16_b16 v1, v[1:2]
.LBB490_53:
	s_or_b32 exec_lo, exec_lo, s1
	s_waitcnt vmcnt(0) lgkmcnt(7)
	v_or_b32_e32 v5, 64, v0
	s_delay_alu instid0(VALU_DEP_1) | instskip(NEXT) | instid1(VALU_DEP_1)
	v_cmp_gt_u32_e64 s1, s8, v5
	s_and_saveexec_b32 s2, s1
	s_cbranch_execz .LBB490_55
; %bb.54:
	v_lshlrev_b32_e32 v5, 1, v0
	s_delay_alu instid0(VALU_DEP_1) | instskip(NEXT) | instid1(VALU_DEP_1)
	v_add_co_u32 v5, s3, s13, v5
	v_add_co_ci_u32_e64 v6, null, s14, 0, s3
	s_waitcnt lgkmcnt(0)
	flat_load_d16_hi_b16 v1, v[5:6] offset:128
.LBB490_55:
	s_or_b32 exec_lo, exec_lo, s2
	v_or_b32_e32 v5, 0x80, v0
	s_delay_alu instid0(VALU_DEP_1) | instskip(NEXT) | instid1(VALU_DEP_1)
	v_cmp_gt_u32_e64 s2, s8, v5
	s_and_saveexec_b32 s3, s2
	s_cbranch_execz .LBB490_57
; %bb.56:
	v_lshlrev_b32_e32 v5, 1, v0
	s_delay_alu instid0(VALU_DEP_1) | instskip(NEXT) | instid1(VALU_DEP_1)
	v_add_co_u32 v5, s4, s13, v5
	v_add_co_ci_u32_e64 v6, null, s14, 0, s4
	flat_load_d16_b16 v2, v[5:6] offset:256
.LBB490_57:
	s_or_b32 exec_lo, exec_lo, s3
	v_or_b32_e32 v5, 0xc0, v0
	s_delay_alu instid0(VALU_DEP_1) | instskip(NEXT) | instid1(VALU_DEP_1)
	v_cmp_gt_u32_e64 s3, s8, v5
	s_and_saveexec_b32 s4, s3
	s_cbranch_execz .LBB490_59
; %bb.58:
	v_lshlrev_b32_e32 v5, 1, v0
	s_delay_alu instid0(VALU_DEP_1) | instskip(NEXT) | instid1(VALU_DEP_1)
	v_add_co_u32 v5, s5, s13, v5
	v_add_co_ci_u32_e64 v6, null, s14, 0, s5
	s_waitcnt vmcnt(0) lgkmcnt(0)
	flat_load_d16_hi_b16 v2, v[5:6] offset:384
.LBB490_59:
	s_or_b32 exec_lo, exec_lo, s4
	v_or_b32_e32 v5, 0x100, v0
	s_delay_alu instid0(VALU_DEP_1) | instskip(NEXT) | instid1(VALU_DEP_1)
	v_cmp_gt_u32_e64 s4, s8, v5
	s_and_saveexec_b32 s5, s4
	s_cbranch_execz .LBB490_61
; %bb.60:
	v_lshlrev_b32_e32 v5, 1, v0
	s_delay_alu instid0(VALU_DEP_1) | instskip(NEXT) | instid1(VALU_DEP_1)
	v_add_co_u32 v5, s6, s13, v5
	v_add_co_ci_u32_e64 v6, null, s14, 0, s6
	flat_load_d16_b16 v3, v[5:6] offset:512
.LBB490_61:
	s_or_b32 exec_lo, exec_lo, s5
	v_or_b32_e32 v5, 0x140, v0
	s_delay_alu instid0(VALU_DEP_1) | instskip(NEXT) | instid1(VALU_DEP_1)
	v_cmp_gt_u32_e64 s5, s8, v5
	s_and_saveexec_b32 s6, s5
	s_cbranch_execz .LBB490_63
; %bb.62:
	v_lshlrev_b32_e32 v5, 1, v0
	s_delay_alu instid0(VALU_DEP_1) | instskip(NEXT) | instid1(VALU_DEP_1)
	v_add_co_u32 v5, s12, s13, v5
	v_add_co_ci_u32_e64 v6, null, s14, 0, s12
	s_waitcnt vmcnt(0) lgkmcnt(0)
	flat_load_d16_hi_b16 v3, v[5:6] offset:640
.LBB490_63:
	;; [unrolled: 27-line block ×3, first 2 shown]
	s_or_b32 exec_lo, exec_lo, s8
	s_cmp_lg_u64 s[18:19], 0
                                        ; implicit-def: $vgpr9
	s_cselect_b32 s8, -1, 0
	s_and_saveexec_b32 s13, s0
	s_cbranch_execnz .LBB490_75
; %bb.68:
	s_or_b32 exec_lo, exec_lo, s13
                                        ; implicit-def: $vgpr10
	s_and_saveexec_b32 s13, s1
	s_cbranch_execnz .LBB490_82
.LBB490_69:
	s_or_b32 exec_lo, exec_lo, s13
                                        ; implicit-def: $vgpr7
	s_and_saveexec_b32 s13, s2
	s_cbranch_execnz .LBB490_89
.LBB490_70:
	s_or_b32 exec_lo, exec_lo, s13
                                        ; implicit-def: $vgpr8
	s_and_saveexec_b32 s13, s3
	s_cbranch_execnz .LBB490_96
.LBB490_71:
	s_or_b32 exec_lo, exec_lo, s13
                                        ; implicit-def: $vgpr11
	s_and_saveexec_b32 s13, s4
	s_cbranch_execnz .LBB490_103
.LBB490_72:
	s_or_b32 exec_lo, exec_lo, s13
                                        ; implicit-def: $vgpr12
	s_and_saveexec_b32 s13, s5
	s_cbranch_execnz .LBB490_110
.LBB490_73:
	s_or_b32 exec_lo, exec_lo, s13
                                        ; implicit-def: $vgpr5
	s_and_saveexec_b32 s13, s6
	s_cbranch_execnz .LBB490_117
.LBB490_74:
	s_or_b32 exec_lo, exec_lo, s13
                                        ; implicit-def: $vgpr3
	s_and_saveexec_b32 s13, s12
	s_cbranch_execnz .LBB490_124
	s_branch .LBB490_131
.LBB490_75:
	v_mov_b32_e32 v5, 0
	v_mov_b32_e32 v6, 0
	s_and_not1_b32 vcc_lo, exec_lo, s8
	s_cbranch_vccnz .LBB490_79
; %bb.76:
	v_dual_mov_b32 v7, s18 :: v_dual_mov_b32 v8, s19
	s_mov_b32 s14, 0
	.p2align	6
.LBB490_77:                             ; =>This Inner Loop Header: Depth=1
	s_delay_alu instid0(VALU_DEP_1) | instskip(NEXT) | instid1(VALU_DEP_2)
	v_sub_co_u32 v9, vcc_lo, v7, v5
	v_sub_co_ci_u32_e32 v10, vcc_lo, v8, v6, vcc_lo
	s_delay_alu instid0(VALU_DEP_1) | instskip(SKIP_1) | instid1(VALU_DEP_2)
	v_lshrrev_b64 v[11:12], 1, v[9:10]
	v_lshrrev_b64 v[9:10], 6, v[9:10]
	v_add_co_u32 v11, vcc_lo, v11, v5
	s_delay_alu instid0(VALU_DEP_3) | instskip(NEXT) | instid1(VALU_DEP_2)
	v_add_co_ci_u32_e32 v12, vcc_lo, v12, v6, vcc_lo
	v_add_co_u32 v9, vcc_lo, v11, v9
	s_delay_alu instid0(VALU_DEP_2) | instskip(NEXT) | instid1(VALU_DEP_1)
	v_add_co_ci_u32_e32 v10, vcc_lo, v12, v10, vcc_lo
	v_lshlrev_b64 v[11:12], 1, v[9:10]
	s_delay_alu instid0(VALU_DEP_1) | instskip(NEXT) | instid1(VALU_DEP_2)
	v_add_co_u32 v11, vcc_lo, s16, v11
	v_add_co_ci_u32_e32 v12, vcc_lo, s17, v12, vcc_lo
	global_load_u16 v11, v[11:12], off
	v_add_co_u32 v12, vcc_lo, v9, 1
	v_add_co_ci_u32_e32 v13, vcc_lo, 0, v10, vcc_lo
	s_waitcnt vmcnt(0) lgkmcnt(0)
	v_cmp_lt_u16_e32 vcc_lo, v11, v1
	v_dual_cndmask_b32 v8, v10, v8 :: v_dual_cndmask_b32 v7, v9, v7
	s_delay_alu instid0(VALU_DEP_3) | instskip(NEXT) | instid1(VALU_DEP_1)
	v_dual_cndmask_b32 v6, v6, v13 :: v_dual_cndmask_b32 v5, v5, v12
	v_cmp_ge_u64_e32 vcc_lo, v[5:6], v[7:8]
	s_or_b32 s14, vcc_lo, s14
	s_delay_alu instid0(SALU_CYCLE_1)
	s_and_not1_b32 exec_lo, exec_lo, s14
	s_cbranch_execnz .LBB490_77
; %bb.78:
	s_or_b32 exec_lo, exec_lo, s14
.LBB490_79:
	s_mov_b32 s15, 0
	s_mov_b32 s14, exec_lo
	v_cmpx_ne_u64_e64 s[18:19], v[5:6]
	s_cbranch_execz .LBB490_81
; %bb.80:
	v_lshlrev_b64 v[5:6], 1, v[5:6]
	s_delay_alu instid0(VALU_DEP_1) | instskip(NEXT) | instid1(VALU_DEP_2)
	v_add_co_u32 v5, vcc_lo, s16, v5
	v_add_co_ci_u32_e32 v6, vcc_lo, s17, v6, vcc_lo
	global_load_u16 v5, v[5:6], off
	s_waitcnt vmcnt(0) lgkmcnt(0)
	v_cmp_le_u16_e32 vcc_lo, v5, v1
	s_and_b32 s15, vcc_lo, exec_lo
.LBB490_81:
	s_or_b32 exec_lo, exec_lo, s14
	v_cndmask_b32_e64 v9, 0, 1, s15
	s_or_b32 exec_lo, exec_lo, s13
                                        ; implicit-def: $vgpr10
	s_and_saveexec_b32 s13, s1
	s_cbranch_execz .LBB490_69
.LBB490_82:
	v_mov_b32_e32 v5, 0
	s_waitcnt vmcnt(0) lgkmcnt(0)
	v_lshrrev_b32_e32 v1, 16, v1
	v_mov_b32_e32 v6, 0
	s_and_not1_b32 vcc_lo, exec_lo, s8
	s_cbranch_vccnz .LBB490_86
; %bb.83:
	v_dual_mov_b32 v7, s18 :: v_dual_mov_b32 v8, s19
	s_mov_b32 s14, 0
	.p2align	6
.LBB490_84:                             ; =>This Inner Loop Header: Depth=1
	s_delay_alu instid0(VALU_DEP_1) | instskip(NEXT) | instid1(VALU_DEP_2)
	v_sub_co_u32 v10, vcc_lo, v7, v5
	v_sub_co_ci_u32_e32 v11, vcc_lo, v8, v6, vcc_lo
	s_delay_alu instid0(VALU_DEP_1) | instskip(SKIP_1) | instid1(VALU_DEP_2)
	v_lshrrev_b64 v[12:13], 1, v[10:11]
	v_lshrrev_b64 v[10:11], 6, v[10:11]
	v_add_co_u32 v12, vcc_lo, v12, v5
	s_delay_alu instid0(VALU_DEP_3) | instskip(NEXT) | instid1(VALU_DEP_2)
	v_add_co_ci_u32_e32 v13, vcc_lo, v13, v6, vcc_lo
	v_add_co_u32 v10, vcc_lo, v12, v10
	s_delay_alu instid0(VALU_DEP_2) | instskip(NEXT) | instid1(VALU_DEP_1)
	v_add_co_ci_u32_e32 v11, vcc_lo, v13, v11, vcc_lo
	v_lshlrev_b64 v[12:13], 1, v[10:11]
	s_delay_alu instid0(VALU_DEP_1) | instskip(NEXT) | instid1(VALU_DEP_2)
	v_add_co_u32 v12, vcc_lo, s16, v12
	v_add_co_ci_u32_e32 v13, vcc_lo, s17, v13, vcc_lo
	global_load_u16 v12, v[12:13], off
	v_add_co_u32 v13, vcc_lo, v10, 1
	v_add_co_ci_u32_e32 v14, vcc_lo, 0, v11, vcc_lo
	s_waitcnt vmcnt(0)
	v_cmp_lt_u16_e32 vcc_lo, v12, v1
	v_dual_cndmask_b32 v8, v11, v8 :: v_dual_cndmask_b32 v7, v10, v7
	s_delay_alu instid0(VALU_DEP_3) | instskip(NEXT) | instid1(VALU_DEP_1)
	v_dual_cndmask_b32 v6, v6, v14 :: v_dual_cndmask_b32 v5, v5, v13
	v_cmp_ge_u64_e32 vcc_lo, v[5:6], v[7:8]
	s_or_b32 s14, vcc_lo, s14
	s_delay_alu instid0(SALU_CYCLE_1)
	s_and_not1_b32 exec_lo, exec_lo, s14
	s_cbranch_execnz .LBB490_84
; %bb.85:
	s_or_b32 exec_lo, exec_lo, s14
.LBB490_86:
	s_mov_b32 s15, 0
	s_mov_b32 s14, exec_lo
	v_cmpx_ne_u64_e64 s[18:19], v[5:6]
	s_cbranch_execz .LBB490_88
; %bb.87:
	v_lshlrev_b64 v[5:6], 1, v[5:6]
	s_delay_alu instid0(VALU_DEP_1) | instskip(NEXT) | instid1(VALU_DEP_2)
	v_add_co_u32 v5, vcc_lo, s16, v5
	v_add_co_ci_u32_e32 v6, vcc_lo, s17, v6, vcc_lo
	global_load_u16 v5, v[5:6], off
	s_waitcnt vmcnt(0)
	v_cmp_le_u16_e32 vcc_lo, v5, v1
	s_and_b32 s15, vcc_lo, exec_lo
.LBB490_88:
	s_or_b32 exec_lo, exec_lo, s14
	v_cndmask_b32_e64 v10, 0, 1, s15
	s_or_b32 exec_lo, exec_lo, s13
                                        ; implicit-def: $vgpr7
	s_and_saveexec_b32 s13, s2
	s_cbranch_execz .LBB490_70
.LBB490_89:
	v_mov_b32_e32 v5, 0
	v_mov_b32_e32 v6, 0
	s_and_not1_b32 vcc_lo, exec_lo, s8
	s_cbranch_vccnz .LBB490_93
; %bb.90:
	v_dual_mov_b32 v7, s18 :: v_dual_mov_b32 v8, s19
	s_mov_b32 s14, 0
	.p2align	6
.LBB490_91:                             ; =>This Inner Loop Header: Depth=1
	s_delay_alu instid0(VALU_DEP_1) | instskip(NEXT) | instid1(VALU_DEP_2)
	v_sub_co_u32 v11, vcc_lo, v7, v5
	v_sub_co_ci_u32_e32 v12, vcc_lo, v8, v6, vcc_lo
	s_delay_alu instid0(VALU_DEP_1) | instskip(SKIP_2) | instid1(VALU_DEP_2)
	v_lshrrev_b64 v[13:14], 1, v[11:12]
	v_lshrrev_b64 v[11:12], 6, v[11:12]
	s_waitcnt vmcnt(0) lgkmcnt(0)
	v_add_co_u32 v1, vcc_lo, v13, v5
	s_delay_alu instid0(VALU_DEP_3) | instskip(NEXT) | instid1(VALU_DEP_2)
	v_add_co_ci_u32_e32 v13, vcc_lo, v14, v6, vcc_lo
	v_add_co_u32 v11, vcc_lo, v1, v11
	s_delay_alu instid0(VALU_DEP_2) | instskip(NEXT) | instid1(VALU_DEP_1)
	v_add_co_ci_u32_e32 v12, vcc_lo, v13, v12, vcc_lo
	v_lshlrev_b64 v[13:14], 1, v[11:12]
	s_delay_alu instid0(VALU_DEP_1) | instskip(NEXT) | instid1(VALU_DEP_2)
	v_add_co_u32 v13, vcc_lo, s16, v13
	v_add_co_ci_u32_e32 v14, vcc_lo, s17, v14, vcc_lo
	global_load_u16 v1, v[13:14], off
	v_add_co_u32 v13, vcc_lo, v11, 1
	v_add_co_ci_u32_e32 v14, vcc_lo, 0, v12, vcc_lo
	s_waitcnt vmcnt(0)
	v_cmp_lt_u16_e32 vcc_lo, v1, v2
	v_dual_cndmask_b32 v8, v12, v8 :: v_dual_cndmask_b32 v7, v11, v7
	s_delay_alu instid0(VALU_DEP_3) | instskip(NEXT) | instid1(VALU_DEP_1)
	v_dual_cndmask_b32 v6, v6, v14 :: v_dual_cndmask_b32 v5, v5, v13
	v_cmp_ge_u64_e32 vcc_lo, v[5:6], v[7:8]
	s_or_b32 s14, vcc_lo, s14
	s_delay_alu instid0(SALU_CYCLE_1)
	s_and_not1_b32 exec_lo, exec_lo, s14
	s_cbranch_execnz .LBB490_91
; %bb.92:
	s_or_b32 exec_lo, exec_lo, s14
.LBB490_93:
	s_mov_b32 s15, 0
	s_mov_b32 s14, exec_lo
	v_cmpx_ne_u64_e64 s[18:19], v[5:6]
	s_cbranch_execz .LBB490_95
; %bb.94:
	v_lshlrev_b64 v[5:6], 1, v[5:6]
	s_delay_alu instid0(VALU_DEP_1) | instskip(NEXT) | instid1(VALU_DEP_2)
	v_add_co_u32 v5, vcc_lo, s16, v5
	v_add_co_ci_u32_e32 v6, vcc_lo, s17, v6, vcc_lo
	s_waitcnt lgkmcnt(0)
	global_load_u16 v1, v[5:6], off
	s_waitcnt vmcnt(0)
	v_cmp_le_u16_e32 vcc_lo, v1, v2
	s_and_b32 s15, vcc_lo, exec_lo
.LBB490_95:
	s_or_b32 exec_lo, exec_lo, s14
	v_cndmask_b32_e64 v7, 0, 1, s15
	s_or_b32 exec_lo, exec_lo, s13
                                        ; implicit-def: $vgpr8
	s_and_saveexec_b32 s13, s3
	s_cbranch_execz .LBB490_71
.LBB490_96:
	s_waitcnt vmcnt(0) lgkmcnt(0)
	v_lshrrev_b32_e32 v8, 16, v2
	v_mov_b32_e32 v1, 0
	v_mov_b32_e32 v2, 0
	s_and_not1_b32 vcc_lo, exec_lo, s8
	s_cbranch_vccnz .LBB490_100
; %bb.97:
	v_dual_mov_b32 v5, s18 :: v_dual_mov_b32 v6, s19
	s_mov_b32 s14, 0
	.p2align	6
.LBB490_98:                             ; =>This Inner Loop Header: Depth=1
	s_delay_alu instid0(VALU_DEP_1) | instskip(NEXT) | instid1(VALU_DEP_2)
	v_sub_co_u32 v11, vcc_lo, v5, v1
	v_sub_co_ci_u32_e32 v12, vcc_lo, v6, v2, vcc_lo
	s_delay_alu instid0(VALU_DEP_1) | instskip(SKIP_1) | instid1(VALU_DEP_2)
	v_lshrrev_b64 v[13:14], 1, v[11:12]
	v_lshrrev_b64 v[11:12], 6, v[11:12]
	v_add_co_u32 v13, vcc_lo, v13, v1
	s_delay_alu instid0(VALU_DEP_3) | instskip(NEXT) | instid1(VALU_DEP_2)
	v_add_co_ci_u32_e32 v14, vcc_lo, v14, v2, vcc_lo
	v_add_co_u32 v11, vcc_lo, v13, v11
	s_delay_alu instid0(VALU_DEP_2) | instskip(NEXT) | instid1(VALU_DEP_1)
	v_add_co_ci_u32_e32 v12, vcc_lo, v14, v12, vcc_lo
	v_lshlrev_b64 v[13:14], 1, v[11:12]
	s_delay_alu instid0(VALU_DEP_1) | instskip(NEXT) | instid1(VALU_DEP_2)
	v_add_co_u32 v13, vcc_lo, s16, v13
	v_add_co_ci_u32_e32 v14, vcc_lo, s17, v14, vcc_lo
	global_load_u16 v13, v[13:14], off
	v_add_co_u32 v14, vcc_lo, v11, 1
	v_add_co_ci_u32_e32 v15, vcc_lo, 0, v12, vcc_lo
	s_waitcnt vmcnt(0)
	v_cmp_lt_u16_e32 vcc_lo, v13, v8
	v_dual_cndmask_b32 v6, v12, v6 :: v_dual_cndmask_b32 v5, v11, v5
	s_delay_alu instid0(VALU_DEP_3) | instskip(NEXT) | instid1(VALU_DEP_1)
	v_dual_cndmask_b32 v2, v2, v15 :: v_dual_cndmask_b32 v1, v1, v14
	v_cmp_ge_u64_e32 vcc_lo, v[1:2], v[5:6]
	s_or_b32 s14, vcc_lo, s14
	s_delay_alu instid0(SALU_CYCLE_1)
	s_and_not1_b32 exec_lo, exec_lo, s14
	s_cbranch_execnz .LBB490_98
; %bb.99:
	s_or_b32 exec_lo, exec_lo, s14
.LBB490_100:
	s_mov_b32 s15, 0
	s_mov_b32 s14, exec_lo
	v_cmpx_ne_u64_e64 s[18:19], v[1:2]
	s_cbranch_execz .LBB490_102
; %bb.101:
	v_lshlrev_b64 v[1:2], 1, v[1:2]
	s_delay_alu instid0(VALU_DEP_1) | instskip(NEXT) | instid1(VALU_DEP_2)
	v_add_co_u32 v1, vcc_lo, s16, v1
	v_add_co_ci_u32_e32 v2, vcc_lo, s17, v2, vcc_lo
	global_load_u16 v1, v[1:2], off
	s_waitcnt vmcnt(0)
	v_cmp_le_u16_e32 vcc_lo, v1, v8
	s_and_b32 s15, vcc_lo, exec_lo
.LBB490_102:
	s_or_b32 exec_lo, exec_lo, s14
	v_cndmask_b32_e64 v8, 0, 1, s15
	s_or_b32 exec_lo, exec_lo, s13
                                        ; implicit-def: $vgpr11
	s_and_saveexec_b32 s13, s4
	s_cbranch_execz .LBB490_72
.LBB490_103:
	s_waitcnt vmcnt(0) lgkmcnt(0)
	v_mov_b32_e32 v1, 0
	v_mov_b32_e32 v2, 0
	s_and_not1_b32 vcc_lo, exec_lo, s8
	s_cbranch_vccnz .LBB490_107
; %bb.104:
	v_dual_mov_b32 v5, s18 :: v_dual_mov_b32 v6, s19
	s_mov_b32 s14, 0
	.p2align	6
.LBB490_105:                            ; =>This Inner Loop Header: Depth=1
	s_delay_alu instid0(VALU_DEP_1) | instskip(NEXT) | instid1(VALU_DEP_2)
	v_sub_co_u32 v11, vcc_lo, v5, v1
	v_sub_co_ci_u32_e32 v12, vcc_lo, v6, v2, vcc_lo
	s_delay_alu instid0(VALU_DEP_1) | instskip(SKIP_1) | instid1(VALU_DEP_2)
	v_lshrrev_b64 v[13:14], 1, v[11:12]
	v_lshrrev_b64 v[11:12], 6, v[11:12]
	v_add_co_u32 v13, vcc_lo, v13, v1
	s_delay_alu instid0(VALU_DEP_3) | instskip(NEXT) | instid1(VALU_DEP_2)
	v_add_co_ci_u32_e32 v14, vcc_lo, v14, v2, vcc_lo
	v_add_co_u32 v11, vcc_lo, v13, v11
	s_delay_alu instid0(VALU_DEP_2) | instskip(NEXT) | instid1(VALU_DEP_1)
	v_add_co_ci_u32_e32 v12, vcc_lo, v14, v12, vcc_lo
	v_lshlrev_b64 v[13:14], 1, v[11:12]
	s_delay_alu instid0(VALU_DEP_1) | instskip(NEXT) | instid1(VALU_DEP_2)
	v_add_co_u32 v13, vcc_lo, s16, v13
	v_add_co_ci_u32_e32 v14, vcc_lo, s17, v14, vcc_lo
	global_load_u16 v13, v[13:14], off
	v_add_co_u32 v14, vcc_lo, v11, 1
	v_add_co_ci_u32_e32 v15, vcc_lo, 0, v12, vcc_lo
	s_waitcnt vmcnt(0)
	v_cmp_lt_u16_e32 vcc_lo, v13, v3
	v_dual_cndmask_b32 v6, v12, v6 :: v_dual_cndmask_b32 v5, v11, v5
	s_delay_alu instid0(VALU_DEP_3) | instskip(NEXT) | instid1(VALU_DEP_1)
	v_dual_cndmask_b32 v2, v2, v15 :: v_dual_cndmask_b32 v1, v1, v14
	v_cmp_ge_u64_e32 vcc_lo, v[1:2], v[5:6]
	s_or_b32 s14, vcc_lo, s14
	s_delay_alu instid0(SALU_CYCLE_1)
	s_and_not1_b32 exec_lo, exec_lo, s14
	s_cbranch_execnz .LBB490_105
; %bb.106:
	s_or_b32 exec_lo, exec_lo, s14
.LBB490_107:
	s_mov_b32 s15, 0
	s_mov_b32 s14, exec_lo
	v_cmpx_ne_u64_e64 s[18:19], v[1:2]
	s_cbranch_execz .LBB490_109
; %bb.108:
	v_lshlrev_b64 v[1:2], 1, v[1:2]
	s_delay_alu instid0(VALU_DEP_1) | instskip(NEXT) | instid1(VALU_DEP_2)
	v_add_co_u32 v1, vcc_lo, s16, v1
	v_add_co_ci_u32_e32 v2, vcc_lo, s17, v2, vcc_lo
	global_load_u16 v1, v[1:2], off
	s_waitcnt vmcnt(0)
	v_cmp_le_u16_e32 vcc_lo, v1, v3
	s_and_b32 s15, vcc_lo, exec_lo
.LBB490_109:
	s_or_b32 exec_lo, exec_lo, s14
	v_cndmask_b32_e64 v11, 0, 1, s15
	s_or_b32 exec_lo, exec_lo, s13
                                        ; implicit-def: $vgpr12
	s_and_saveexec_b32 s13, s5
	s_cbranch_execz .LBB490_73
.LBB490_110:
	s_waitcnt vmcnt(0) lgkmcnt(0)
	v_mov_b32_e32 v1, 0
	v_lshrrev_b32_e32 v3, 16, v3
	v_mov_b32_e32 v2, 0
	s_and_not1_b32 vcc_lo, exec_lo, s8
	s_cbranch_vccnz .LBB490_114
; %bb.111:
	v_dual_mov_b32 v5, s18 :: v_dual_mov_b32 v6, s19
	s_mov_b32 s14, 0
	.p2align	6
.LBB490_112:                            ; =>This Inner Loop Header: Depth=1
	s_delay_alu instid0(VALU_DEP_1) | instskip(NEXT) | instid1(VALU_DEP_2)
	v_sub_co_u32 v12, vcc_lo, v5, v1
	v_sub_co_ci_u32_e32 v13, vcc_lo, v6, v2, vcc_lo
	s_delay_alu instid0(VALU_DEP_1) | instskip(SKIP_1) | instid1(VALU_DEP_2)
	v_lshrrev_b64 v[14:15], 1, v[12:13]
	v_lshrrev_b64 v[12:13], 6, v[12:13]
	v_add_co_u32 v14, vcc_lo, v14, v1
	s_delay_alu instid0(VALU_DEP_3) | instskip(NEXT) | instid1(VALU_DEP_2)
	v_add_co_ci_u32_e32 v15, vcc_lo, v15, v2, vcc_lo
	v_add_co_u32 v12, vcc_lo, v14, v12
	s_delay_alu instid0(VALU_DEP_2) | instskip(NEXT) | instid1(VALU_DEP_1)
	v_add_co_ci_u32_e32 v13, vcc_lo, v15, v13, vcc_lo
	v_lshlrev_b64 v[14:15], 1, v[12:13]
	s_delay_alu instid0(VALU_DEP_1) | instskip(NEXT) | instid1(VALU_DEP_2)
	v_add_co_u32 v14, vcc_lo, s16, v14
	v_add_co_ci_u32_e32 v15, vcc_lo, s17, v15, vcc_lo
	global_load_u16 v14, v[14:15], off
	v_add_co_u32 v15, vcc_lo, v12, 1
	v_add_co_ci_u32_e32 v16, vcc_lo, 0, v13, vcc_lo
	s_waitcnt vmcnt(0)
	v_cmp_lt_u16_e32 vcc_lo, v14, v3
	v_dual_cndmask_b32 v6, v13, v6 :: v_dual_cndmask_b32 v5, v12, v5
	s_delay_alu instid0(VALU_DEP_3) | instskip(NEXT) | instid1(VALU_DEP_1)
	v_dual_cndmask_b32 v2, v2, v16 :: v_dual_cndmask_b32 v1, v1, v15
	v_cmp_ge_u64_e32 vcc_lo, v[1:2], v[5:6]
	s_or_b32 s14, vcc_lo, s14
	s_delay_alu instid0(SALU_CYCLE_1)
	s_and_not1_b32 exec_lo, exec_lo, s14
	s_cbranch_execnz .LBB490_112
; %bb.113:
	s_or_b32 exec_lo, exec_lo, s14
.LBB490_114:
	v_mov_b32_e32 v12, 0
	s_mov_b32 s14, exec_lo
	v_cmpx_ne_u64_e64 s[18:19], v[1:2]
	s_cbranch_execz .LBB490_116
; %bb.115:
	v_lshlrev_b64 v[1:2], 1, v[1:2]
	s_delay_alu instid0(VALU_DEP_1) | instskip(NEXT) | instid1(VALU_DEP_2)
	v_add_co_u32 v1, vcc_lo, s16, v1
	v_add_co_ci_u32_e32 v2, vcc_lo, s17, v2, vcc_lo
	global_load_u16 v1, v[1:2], off
	s_waitcnt vmcnt(0)
	v_cmp_le_u16_e32 vcc_lo, v1, v3
	v_cndmask_b32_e64 v12, 0, 1, vcc_lo
.LBB490_116:
	s_or_b32 exec_lo, exec_lo, s14
	s_delay_alu instid0(SALU_CYCLE_1)
	s_or_b32 exec_lo, exec_lo, s13
                                        ; implicit-def: $vgpr5
	s_and_saveexec_b32 s13, s6
	s_cbranch_execz .LBB490_74
.LBB490_117:
	s_waitcnt vmcnt(0) lgkmcnt(0)
	v_mov_b32_e32 v1, 0
	v_mov_b32_e32 v2, 0
	s_and_not1_b32 vcc_lo, exec_lo, s8
	s_cbranch_vccnz .LBB490_121
; %bb.118:
	v_dual_mov_b32 v5, s18 :: v_dual_mov_b32 v6, s19
	s_mov_b32 s14, 0
	.p2align	6
.LBB490_119:                            ; =>This Inner Loop Header: Depth=1
	s_delay_alu instid0(VALU_DEP_1) | instskip(NEXT) | instid1(VALU_DEP_2)
	v_sub_co_u32 v13, vcc_lo, v5, v1
	v_sub_co_ci_u32_e32 v14, vcc_lo, v6, v2, vcc_lo
	s_delay_alu instid0(VALU_DEP_1) | instskip(SKIP_1) | instid1(VALU_DEP_2)
	v_lshrrev_b64 v[15:16], 1, v[13:14]
	v_lshrrev_b64 v[13:14], 6, v[13:14]
	v_add_co_u32 v3, vcc_lo, v15, v1
	s_delay_alu instid0(VALU_DEP_3) | instskip(NEXT) | instid1(VALU_DEP_2)
	v_add_co_ci_u32_e32 v15, vcc_lo, v16, v2, vcc_lo
	v_add_co_u32 v13, vcc_lo, v3, v13
	s_delay_alu instid0(VALU_DEP_2) | instskip(NEXT) | instid1(VALU_DEP_1)
	v_add_co_ci_u32_e32 v14, vcc_lo, v15, v14, vcc_lo
	v_lshlrev_b64 v[15:16], 1, v[13:14]
	s_delay_alu instid0(VALU_DEP_1) | instskip(NEXT) | instid1(VALU_DEP_2)
	v_add_co_u32 v15, vcc_lo, s16, v15
	v_add_co_ci_u32_e32 v16, vcc_lo, s17, v16, vcc_lo
	global_load_u16 v3, v[15:16], off
	v_add_co_u32 v15, vcc_lo, v13, 1
	v_add_co_ci_u32_e32 v16, vcc_lo, 0, v14, vcc_lo
	s_waitcnt vmcnt(0)
	v_cmp_lt_u16_e32 vcc_lo, v3, v4
	v_dual_cndmask_b32 v6, v14, v6 :: v_dual_cndmask_b32 v5, v13, v5
	s_delay_alu instid0(VALU_DEP_3) | instskip(NEXT) | instid1(VALU_DEP_1)
	v_dual_cndmask_b32 v2, v2, v16 :: v_dual_cndmask_b32 v1, v1, v15
	v_cmp_ge_u64_e32 vcc_lo, v[1:2], v[5:6]
	s_or_b32 s14, vcc_lo, s14
	s_delay_alu instid0(SALU_CYCLE_1)
	s_and_not1_b32 exec_lo, exec_lo, s14
	s_cbranch_execnz .LBB490_119
; %bb.120:
	s_or_b32 exec_lo, exec_lo, s14
.LBB490_121:
	v_mov_b32_e32 v5, 0
	s_mov_b32 s14, exec_lo
	v_cmpx_ne_u64_e64 s[18:19], v[1:2]
	s_cbranch_execz .LBB490_123
; %bb.122:
	v_lshlrev_b64 v[1:2], 1, v[1:2]
	s_delay_alu instid0(VALU_DEP_1) | instskip(NEXT) | instid1(VALU_DEP_2)
	v_add_co_u32 v1, vcc_lo, s16, v1
	v_add_co_ci_u32_e32 v2, vcc_lo, s17, v2, vcc_lo
	global_load_u16 v1, v[1:2], off
	s_waitcnt vmcnt(0)
	v_cmp_le_u16_e32 vcc_lo, v1, v4
	v_cndmask_b32_e64 v5, 0, 1, vcc_lo
.LBB490_123:
	s_or_b32 exec_lo, exec_lo, s14
	s_delay_alu instid0(SALU_CYCLE_1)
	s_or_b32 exec_lo, exec_lo, s13
                                        ; implicit-def: $vgpr3
	s_and_saveexec_b32 s13, s12
	s_cbranch_execz .LBB490_131
.LBB490_124:
	s_waitcnt vmcnt(0) lgkmcnt(0)
	v_mov_b32_e32 v1, 0
	v_lshrrev_b32_e32 v6, 16, v4
	v_mov_b32_e32 v2, 0
	s_and_not1_b32 vcc_lo, exec_lo, s8
	s_cbranch_vccnz .LBB490_128
; %bb.125:
	v_dual_mov_b32 v3, s18 :: v_dual_mov_b32 v4, s19
	s_mov_b32 s8, 0
	.p2align	6
.LBB490_126:                            ; =>This Inner Loop Header: Depth=1
	s_delay_alu instid0(VALU_DEP_1) | instskip(NEXT) | instid1(VALU_DEP_2)
	v_sub_co_u32 v13, vcc_lo, v3, v1
	v_sub_co_ci_u32_e32 v14, vcc_lo, v4, v2, vcc_lo
	s_delay_alu instid0(VALU_DEP_1) | instskip(SKIP_1) | instid1(VALU_DEP_2)
	v_lshrrev_b64 v[15:16], 1, v[13:14]
	v_lshrrev_b64 v[13:14], 6, v[13:14]
	v_add_co_u32 v15, vcc_lo, v15, v1
	s_delay_alu instid0(VALU_DEP_3) | instskip(NEXT) | instid1(VALU_DEP_2)
	v_add_co_ci_u32_e32 v16, vcc_lo, v16, v2, vcc_lo
	v_add_co_u32 v13, vcc_lo, v15, v13
	s_delay_alu instid0(VALU_DEP_2) | instskip(NEXT) | instid1(VALU_DEP_1)
	v_add_co_ci_u32_e32 v14, vcc_lo, v16, v14, vcc_lo
	v_lshlrev_b64 v[15:16], 1, v[13:14]
	s_delay_alu instid0(VALU_DEP_1) | instskip(NEXT) | instid1(VALU_DEP_2)
	v_add_co_u32 v15, vcc_lo, s16, v15
	v_add_co_ci_u32_e32 v16, vcc_lo, s17, v16, vcc_lo
	global_load_u16 v15, v[15:16], off
	v_add_co_u32 v16, vcc_lo, v13, 1
	v_add_co_ci_u32_e32 v17, vcc_lo, 0, v14, vcc_lo
	s_waitcnt vmcnt(0)
	v_cmp_lt_u16_e32 vcc_lo, v15, v6
	v_dual_cndmask_b32 v4, v14, v4 :: v_dual_cndmask_b32 v3, v13, v3
	s_delay_alu instid0(VALU_DEP_3) | instskip(NEXT) | instid1(VALU_DEP_1)
	v_dual_cndmask_b32 v2, v2, v17 :: v_dual_cndmask_b32 v1, v1, v16
	v_cmp_ge_u64_e32 vcc_lo, v[1:2], v[3:4]
	s_or_b32 s8, vcc_lo, s8
	s_delay_alu instid0(SALU_CYCLE_1)
	s_and_not1_b32 exec_lo, exec_lo, s8
	s_cbranch_execnz .LBB490_126
; %bb.127:
	s_or_b32 exec_lo, exec_lo, s8
.LBB490_128:
	v_mov_b32_e32 v3, 0
	s_mov_b32 s8, exec_lo
	v_cmpx_ne_u64_e64 s[18:19], v[1:2]
	s_cbranch_execz .LBB490_130
; %bb.129:
	v_lshlrev_b64 v[1:2], 1, v[1:2]
	s_delay_alu instid0(VALU_DEP_1) | instskip(NEXT) | instid1(VALU_DEP_2)
	v_add_co_u32 v1, vcc_lo, s16, v1
	v_add_co_ci_u32_e32 v2, vcc_lo, s17, v2, vcc_lo
	global_load_u16 v1, v[1:2], off
	s_waitcnt vmcnt(0)
	v_cmp_le_u16_e32 vcc_lo, v1, v6
	v_cndmask_b32_e64 v3, 0, 1, vcc_lo
.LBB490_130:
	s_or_b32 exec_lo, exec_lo, s8
.LBB490_131:
	s_delay_alu instid0(SALU_CYCLE_1) | instskip(SKIP_2) | instid1(SALU_CYCLE_1)
	s_or_b32 exec_lo, exec_lo, s13
	v_lshlrev_b32_e32 v0, 2, v0
	s_lshl_b64 s[10:11], s[10:11], 2
	s_add_u32 s7, s7, s10
	s_addc_u32 s8, s9, s11
	s_waitcnt vmcnt(0) lgkmcnt(0)
	v_add_co_u32 v1, s7, s7, v0
	s_delay_alu instid0(VALU_DEP_1) | instskip(SKIP_1) | instid1(SALU_CYCLE_1)
	v_add_co_ci_u32_e64 v2, null, s8, 0, s7
	s_and_saveexec_b32 s7, s0
	s_xor_b32 s0, exec_lo, s7
	s_cbranch_execnz .LBB490_143
; %bb.132:
	s_or_b32 exec_lo, exec_lo, s0
	s_and_saveexec_b32 s0, s1
	s_cbranch_execnz .LBB490_144
.LBB490_133:
	s_or_b32 exec_lo, exec_lo, s0
	s_and_saveexec_b32 s0, s2
	s_cbranch_execnz .LBB490_145
.LBB490_134:
	s_or_b32 exec_lo, exec_lo, s0
	s_and_saveexec_b32 s0, s3
	s_cbranch_execnz .LBB490_146
.LBB490_135:
	s_or_b32 exec_lo, exec_lo, s0
	s_and_saveexec_b32 s0, s4
	s_cbranch_execnz .LBB490_147
.LBB490_136:
	s_or_b32 exec_lo, exec_lo, s0
	s_and_saveexec_b32 s0, s5
	s_cbranch_execnz .LBB490_148
.LBB490_137:
	s_or_b32 exec_lo, exec_lo, s0
	s_and_saveexec_b32 s0, s6
	s_cbranch_execz .LBB490_139
.LBB490_138:
	flat_store_b32 v[1:2], v5 offset:1536
.LBB490_139:
	s_or_b32 exec_lo, exec_lo, s0
.LBB490_140:
	s_and_saveexec_b32 s0, s12
	s_cbranch_execnz .LBB490_142
; %bb.141:
	s_endpgm
.LBB490_142:
	flat_store_b32 v[1:2], v3 offset:1792
	s_endpgm
.LBB490_143:
	flat_store_b32 v[1:2], v9
	s_or_b32 exec_lo, exec_lo, s0
	s_and_saveexec_b32 s0, s1
	s_cbranch_execz .LBB490_133
.LBB490_144:
	flat_store_b32 v[1:2], v10 offset:256
	s_or_b32 exec_lo, exec_lo, s0
	s_and_saveexec_b32 s0, s2
	s_cbranch_execz .LBB490_134
.LBB490_145:
	flat_store_b32 v[1:2], v7 offset:512
	s_or_b32 exec_lo, exec_lo, s0
	s_and_saveexec_b32 s0, s3
	s_cbranch_execz .LBB490_135
.LBB490_146:
	flat_store_b32 v[1:2], v8 offset:768
	s_or_b32 exec_lo, exec_lo, s0
	s_and_saveexec_b32 s0, s4
	s_cbranch_execz .LBB490_136
.LBB490_147:
	flat_store_b32 v[1:2], v11 offset:1024
	s_or_b32 exec_lo, exec_lo, s0
	s_and_saveexec_b32 s0, s5
	s_cbranch_execz .LBB490_137
.LBB490_148:
	flat_store_b32 v[1:2], v12 offset:1280
	s_or_b32 exec_lo, exec_lo, s0
	s_and_saveexec_b32 s0, s6
	s_cbranch_execnz .LBB490_138
	s_branch .LBB490_139
	.section	.rodata,"a",@progbits
	.p2align	6, 0x0
	.amdhsa_kernel _ZN7rocprim17ROCPRIM_400000_NS6detail17trampoline_kernelINS0_14default_configENS1_29binary_search_config_selectorItiEEZNS1_14transform_implILb0ES3_S5_N6thrust23THRUST_200600_302600_NS6detail15normal_iteratorINS8_10device_ptrItEEEENSA_INSB_IiEEEEZNS1_13binary_searchIS3_S5_SD_SD_SF_NS1_16binary_search_opENS9_16wrapped_functionINS0_4lessIvEEbEEEE10hipError_tPvRmT1_T2_T3_mmT4_T5_P12ihipStream_tbEUlRKtE_EESM_SQ_SR_mSS_SV_bEUlT_E_NS1_11comp_targetILNS1_3genE9ELNS1_11target_archE1100ELNS1_3gpuE3ELNS1_3repE0EEENS1_30default_config_static_selectorELNS0_4arch9wavefront6targetE0EEEvSP_
		.amdhsa_group_segment_fixed_size 0
		.amdhsa_private_segment_fixed_size 0
		.amdhsa_kernarg_size 312
		.amdhsa_user_sgpr_count 15
		.amdhsa_user_sgpr_dispatch_ptr 0
		.amdhsa_user_sgpr_queue_ptr 0
		.amdhsa_user_sgpr_kernarg_segment_ptr 1
		.amdhsa_user_sgpr_dispatch_id 0
		.amdhsa_user_sgpr_private_segment_size 0
		.amdhsa_wavefront_size32 1
		.amdhsa_uses_dynamic_stack 0
		.amdhsa_enable_private_segment 0
		.amdhsa_system_sgpr_workgroup_id_x 1
		.amdhsa_system_sgpr_workgroup_id_y 0
		.amdhsa_system_sgpr_workgroup_id_z 0
		.amdhsa_system_sgpr_workgroup_info 0
		.amdhsa_system_vgpr_workitem_id 0
		.amdhsa_next_free_vgpr 19
		.amdhsa_next_free_sgpr 20
		.amdhsa_reserve_vcc 1
		.amdhsa_float_round_mode_32 0
		.amdhsa_float_round_mode_16_64 0
		.amdhsa_float_denorm_mode_32 3
		.amdhsa_float_denorm_mode_16_64 3
		.amdhsa_dx10_clamp 1
		.amdhsa_ieee_mode 1
		.amdhsa_fp16_overflow 0
		.amdhsa_workgroup_processor_mode 1
		.amdhsa_memory_ordered 1
		.amdhsa_forward_progress 0
		.amdhsa_shared_vgpr_count 0
		.amdhsa_exception_fp_ieee_invalid_op 0
		.amdhsa_exception_fp_denorm_src 0
		.amdhsa_exception_fp_ieee_div_zero 0
		.amdhsa_exception_fp_ieee_overflow 0
		.amdhsa_exception_fp_ieee_underflow 0
		.amdhsa_exception_fp_ieee_inexact 0
		.amdhsa_exception_int_div_zero 0
	.end_amdhsa_kernel
	.section	.text._ZN7rocprim17ROCPRIM_400000_NS6detail17trampoline_kernelINS0_14default_configENS1_29binary_search_config_selectorItiEEZNS1_14transform_implILb0ES3_S5_N6thrust23THRUST_200600_302600_NS6detail15normal_iteratorINS8_10device_ptrItEEEENSA_INSB_IiEEEEZNS1_13binary_searchIS3_S5_SD_SD_SF_NS1_16binary_search_opENS9_16wrapped_functionINS0_4lessIvEEbEEEE10hipError_tPvRmT1_T2_T3_mmT4_T5_P12ihipStream_tbEUlRKtE_EESM_SQ_SR_mSS_SV_bEUlT_E_NS1_11comp_targetILNS1_3genE9ELNS1_11target_archE1100ELNS1_3gpuE3ELNS1_3repE0EEENS1_30default_config_static_selectorELNS0_4arch9wavefront6targetE0EEEvSP_,"axG",@progbits,_ZN7rocprim17ROCPRIM_400000_NS6detail17trampoline_kernelINS0_14default_configENS1_29binary_search_config_selectorItiEEZNS1_14transform_implILb0ES3_S5_N6thrust23THRUST_200600_302600_NS6detail15normal_iteratorINS8_10device_ptrItEEEENSA_INSB_IiEEEEZNS1_13binary_searchIS3_S5_SD_SD_SF_NS1_16binary_search_opENS9_16wrapped_functionINS0_4lessIvEEbEEEE10hipError_tPvRmT1_T2_T3_mmT4_T5_P12ihipStream_tbEUlRKtE_EESM_SQ_SR_mSS_SV_bEUlT_E_NS1_11comp_targetILNS1_3genE9ELNS1_11target_archE1100ELNS1_3gpuE3ELNS1_3repE0EEENS1_30default_config_static_selectorELNS0_4arch9wavefront6targetE0EEEvSP_,comdat
.Lfunc_end490:
	.size	_ZN7rocprim17ROCPRIM_400000_NS6detail17trampoline_kernelINS0_14default_configENS1_29binary_search_config_selectorItiEEZNS1_14transform_implILb0ES3_S5_N6thrust23THRUST_200600_302600_NS6detail15normal_iteratorINS8_10device_ptrItEEEENSA_INSB_IiEEEEZNS1_13binary_searchIS3_S5_SD_SD_SF_NS1_16binary_search_opENS9_16wrapped_functionINS0_4lessIvEEbEEEE10hipError_tPvRmT1_T2_T3_mmT4_T5_P12ihipStream_tbEUlRKtE_EESM_SQ_SR_mSS_SV_bEUlT_E_NS1_11comp_targetILNS1_3genE9ELNS1_11target_archE1100ELNS1_3gpuE3ELNS1_3repE0EEENS1_30default_config_static_selectorELNS0_4arch9wavefront6targetE0EEEvSP_, .Lfunc_end490-_ZN7rocprim17ROCPRIM_400000_NS6detail17trampoline_kernelINS0_14default_configENS1_29binary_search_config_selectorItiEEZNS1_14transform_implILb0ES3_S5_N6thrust23THRUST_200600_302600_NS6detail15normal_iteratorINS8_10device_ptrItEEEENSA_INSB_IiEEEEZNS1_13binary_searchIS3_S5_SD_SD_SF_NS1_16binary_search_opENS9_16wrapped_functionINS0_4lessIvEEbEEEE10hipError_tPvRmT1_T2_T3_mmT4_T5_P12ihipStream_tbEUlRKtE_EESM_SQ_SR_mSS_SV_bEUlT_E_NS1_11comp_targetILNS1_3genE9ELNS1_11target_archE1100ELNS1_3gpuE3ELNS1_3repE0EEENS1_30default_config_static_selectorELNS0_4arch9wavefront6targetE0EEEvSP_
                                        ; -- End function
	.section	.AMDGPU.csdata,"",@progbits
; Kernel info:
; codeLenInByte = 5696
; NumSgprs: 22
; NumVgprs: 19
; ScratchSize: 0
; MemoryBound: 0
; FloatMode: 240
; IeeeMode: 1
; LDSByteSize: 0 bytes/workgroup (compile time only)
; SGPRBlocks: 2
; VGPRBlocks: 2
; NumSGPRsForWavesPerEU: 22
; NumVGPRsForWavesPerEU: 19
; Occupancy: 16
; WaveLimiterHint : 1
; COMPUTE_PGM_RSRC2:SCRATCH_EN: 0
; COMPUTE_PGM_RSRC2:USER_SGPR: 15
; COMPUTE_PGM_RSRC2:TRAP_HANDLER: 0
; COMPUTE_PGM_RSRC2:TGID_X_EN: 1
; COMPUTE_PGM_RSRC2:TGID_Y_EN: 0
; COMPUTE_PGM_RSRC2:TGID_Z_EN: 0
; COMPUTE_PGM_RSRC2:TIDIG_COMP_CNT: 0
	.section	.text._ZN7rocprim17ROCPRIM_400000_NS6detail17trampoline_kernelINS0_14default_configENS1_29binary_search_config_selectorItiEEZNS1_14transform_implILb0ES3_S5_N6thrust23THRUST_200600_302600_NS6detail15normal_iteratorINS8_10device_ptrItEEEENSA_INSB_IiEEEEZNS1_13binary_searchIS3_S5_SD_SD_SF_NS1_16binary_search_opENS9_16wrapped_functionINS0_4lessIvEEbEEEE10hipError_tPvRmT1_T2_T3_mmT4_T5_P12ihipStream_tbEUlRKtE_EESM_SQ_SR_mSS_SV_bEUlT_E_NS1_11comp_targetILNS1_3genE8ELNS1_11target_archE1030ELNS1_3gpuE2ELNS1_3repE0EEENS1_30default_config_static_selectorELNS0_4arch9wavefront6targetE0EEEvSP_,"axG",@progbits,_ZN7rocprim17ROCPRIM_400000_NS6detail17trampoline_kernelINS0_14default_configENS1_29binary_search_config_selectorItiEEZNS1_14transform_implILb0ES3_S5_N6thrust23THRUST_200600_302600_NS6detail15normal_iteratorINS8_10device_ptrItEEEENSA_INSB_IiEEEEZNS1_13binary_searchIS3_S5_SD_SD_SF_NS1_16binary_search_opENS9_16wrapped_functionINS0_4lessIvEEbEEEE10hipError_tPvRmT1_T2_T3_mmT4_T5_P12ihipStream_tbEUlRKtE_EESM_SQ_SR_mSS_SV_bEUlT_E_NS1_11comp_targetILNS1_3genE8ELNS1_11target_archE1030ELNS1_3gpuE2ELNS1_3repE0EEENS1_30default_config_static_selectorELNS0_4arch9wavefront6targetE0EEEvSP_,comdat
	.protected	_ZN7rocprim17ROCPRIM_400000_NS6detail17trampoline_kernelINS0_14default_configENS1_29binary_search_config_selectorItiEEZNS1_14transform_implILb0ES3_S5_N6thrust23THRUST_200600_302600_NS6detail15normal_iteratorINS8_10device_ptrItEEEENSA_INSB_IiEEEEZNS1_13binary_searchIS3_S5_SD_SD_SF_NS1_16binary_search_opENS9_16wrapped_functionINS0_4lessIvEEbEEEE10hipError_tPvRmT1_T2_T3_mmT4_T5_P12ihipStream_tbEUlRKtE_EESM_SQ_SR_mSS_SV_bEUlT_E_NS1_11comp_targetILNS1_3genE8ELNS1_11target_archE1030ELNS1_3gpuE2ELNS1_3repE0EEENS1_30default_config_static_selectorELNS0_4arch9wavefront6targetE0EEEvSP_ ; -- Begin function _ZN7rocprim17ROCPRIM_400000_NS6detail17trampoline_kernelINS0_14default_configENS1_29binary_search_config_selectorItiEEZNS1_14transform_implILb0ES3_S5_N6thrust23THRUST_200600_302600_NS6detail15normal_iteratorINS8_10device_ptrItEEEENSA_INSB_IiEEEEZNS1_13binary_searchIS3_S5_SD_SD_SF_NS1_16binary_search_opENS9_16wrapped_functionINS0_4lessIvEEbEEEE10hipError_tPvRmT1_T2_T3_mmT4_T5_P12ihipStream_tbEUlRKtE_EESM_SQ_SR_mSS_SV_bEUlT_E_NS1_11comp_targetILNS1_3genE8ELNS1_11target_archE1030ELNS1_3gpuE2ELNS1_3repE0EEENS1_30default_config_static_selectorELNS0_4arch9wavefront6targetE0EEEvSP_
	.globl	_ZN7rocprim17ROCPRIM_400000_NS6detail17trampoline_kernelINS0_14default_configENS1_29binary_search_config_selectorItiEEZNS1_14transform_implILb0ES3_S5_N6thrust23THRUST_200600_302600_NS6detail15normal_iteratorINS8_10device_ptrItEEEENSA_INSB_IiEEEEZNS1_13binary_searchIS3_S5_SD_SD_SF_NS1_16binary_search_opENS9_16wrapped_functionINS0_4lessIvEEbEEEE10hipError_tPvRmT1_T2_T3_mmT4_T5_P12ihipStream_tbEUlRKtE_EESM_SQ_SR_mSS_SV_bEUlT_E_NS1_11comp_targetILNS1_3genE8ELNS1_11target_archE1030ELNS1_3gpuE2ELNS1_3repE0EEENS1_30default_config_static_selectorELNS0_4arch9wavefront6targetE0EEEvSP_
	.p2align	8
	.type	_ZN7rocprim17ROCPRIM_400000_NS6detail17trampoline_kernelINS0_14default_configENS1_29binary_search_config_selectorItiEEZNS1_14transform_implILb0ES3_S5_N6thrust23THRUST_200600_302600_NS6detail15normal_iteratorINS8_10device_ptrItEEEENSA_INSB_IiEEEEZNS1_13binary_searchIS3_S5_SD_SD_SF_NS1_16binary_search_opENS9_16wrapped_functionINS0_4lessIvEEbEEEE10hipError_tPvRmT1_T2_T3_mmT4_T5_P12ihipStream_tbEUlRKtE_EESM_SQ_SR_mSS_SV_bEUlT_E_NS1_11comp_targetILNS1_3genE8ELNS1_11target_archE1030ELNS1_3gpuE2ELNS1_3repE0EEENS1_30default_config_static_selectorELNS0_4arch9wavefront6targetE0EEEvSP_,@function
_ZN7rocprim17ROCPRIM_400000_NS6detail17trampoline_kernelINS0_14default_configENS1_29binary_search_config_selectorItiEEZNS1_14transform_implILb0ES3_S5_N6thrust23THRUST_200600_302600_NS6detail15normal_iteratorINS8_10device_ptrItEEEENSA_INSB_IiEEEEZNS1_13binary_searchIS3_S5_SD_SD_SF_NS1_16binary_search_opENS9_16wrapped_functionINS0_4lessIvEEbEEEE10hipError_tPvRmT1_T2_T3_mmT4_T5_P12ihipStream_tbEUlRKtE_EESM_SQ_SR_mSS_SV_bEUlT_E_NS1_11comp_targetILNS1_3genE8ELNS1_11target_archE1030ELNS1_3gpuE2ELNS1_3repE0EEENS1_30default_config_static_selectorELNS0_4arch9wavefront6targetE0EEEvSP_: ; @_ZN7rocprim17ROCPRIM_400000_NS6detail17trampoline_kernelINS0_14default_configENS1_29binary_search_config_selectorItiEEZNS1_14transform_implILb0ES3_S5_N6thrust23THRUST_200600_302600_NS6detail15normal_iteratorINS8_10device_ptrItEEEENSA_INSB_IiEEEEZNS1_13binary_searchIS3_S5_SD_SD_SF_NS1_16binary_search_opENS9_16wrapped_functionINS0_4lessIvEEbEEEE10hipError_tPvRmT1_T2_T3_mmT4_T5_P12ihipStream_tbEUlRKtE_EESM_SQ_SR_mSS_SV_bEUlT_E_NS1_11comp_targetILNS1_3genE8ELNS1_11target_archE1030ELNS1_3gpuE2ELNS1_3repE0EEENS1_30default_config_static_selectorELNS0_4arch9wavefront6targetE0EEEvSP_
; %bb.0:
	.section	.rodata,"a",@progbits
	.p2align	6, 0x0
	.amdhsa_kernel _ZN7rocprim17ROCPRIM_400000_NS6detail17trampoline_kernelINS0_14default_configENS1_29binary_search_config_selectorItiEEZNS1_14transform_implILb0ES3_S5_N6thrust23THRUST_200600_302600_NS6detail15normal_iteratorINS8_10device_ptrItEEEENSA_INSB_IiEEEEZNS1_13binary_searchIS3_S5_SD_SD_SF_NS1_16binary_search_opENS9_16wrapped_functionINS0_4lessIvEEbEEEE10hipError_tPvRmT1_T2_T3_mmT4_T5_P12ihipStream_tbEUlRKtE_EESM_SQ_SR_mSS_SV_bEUlT_E_NS1_11comp_targetILNS1_3genE8ELNS1_11target_archE1030ELNS1_3gpuE2ELNS1_3repE0EEENS1_30default_config_static_selectorELNS0_4arch9wavefront6targetE0EEEvSP_
		.amdhsa_group_segment_fixed_size 0
		.amdhsa_private_segment_fixed_size 0
		.amdhsa_kernarg_size 56
		.amdhsa_user_sgpr_count 15
		.amdhsa_user_sgpr_dispatch_ptr 0
		.amdhsa_user_sgpr_queue_ptr 0
		.amdhsa_user_sgpr_kernarg_segment_ptr 1
		.amdhsa_user_sgpr_dispatch_id 0
		.amdhsa_user_sgpr_private_segment_size 0
		.amdhsa_wavefront_size32 1
		.amdhsa_uses_dynamic_stack 0
		.amdhsa_enable_private_segment 0
		.amdhsa_system_sgpr_workgroup_id_x 1
		.amdhsa_system_sgpr_workgroup_id_y 0
		.amdhsa_system_sgpr_workgroup_id_z 0
		.amdhsa_system_sgpr_workgroup_info 0
		.amdhsa_system_vgpr_workitem_id 0
		.amdhsa_next_free_vgpr 1
		.amdhsa_next_free_sgpr 1
		.amdhsa_reserve_vcc 0
		.amdhsa_float_round_mode_32 0
		.amdhsa_float_round_mode_16_64 0
		.amdhsa_float_denorm_mode_32 3
		.amdhsa_float_denorm_mode_16_64 3
		.amdhsa_dx10_clamp 1
		.amdhsa_ieee_mode 1
		.amdhsa_fp16_overflow 0
		.amdhsa_workgroup_processor_mode 1
		.amdhsa_memory_ordered 1
		.amdhsa_forward_progress 0
		.amdhsa_shared_vgpr_count 0
		.amdhsa_exception_fp_ieee_invalid_op 0
		.amdhsa_exception_fp_denorm_src 0
		.amdhsa_exception_fp_ieee_div_zero 0
		.amdhsa_exception_fp_ieee_overflow 0
		.amdhsa_exception_fp_ieee_underflow 0
		.amdhsa_exception_fp_ieee_inexact 0
		.amdhsa_exception_int_div_zero 0
	.end_amdhsa_kernel
	.section	.text._ZN7rocprim17ROCPRIM_400000_NS6detail17trampoline_kernelINS0_14default_configENS1_29binary_search_config_selectorItiEEZNS1_14transform_implILb0ES3_S5_N6thrust23THRUST_200600_302600_NS6detail15normal_iteratorINS8_10device_ptrItEEEENSA_INSB_IiEEEEZNS1_13binary_searchIS3_S5_SD_SD_SF_NS1_16binary_search_opENS9_16wrapped_functionINS0_4lessIvEEbEEEE10hipError_tPvRmT1_T2_T3_mmT4_T5_P12ihipStream_tbEUlRKtE_EESM_SQ_SR_mSS_SV_bEUlT_E_NS1_11comp_targetILNS1_3genE8ELNS1_11target_archE1030ELNS1_3gpuE2ELNS1_3repE0EEENS1_30default_config_static_selectorELNS0_4arch9wavefront6targetE0EEEvSP_,"axG",@progbits,_ZN7rocprim17ROCPRIM_400000_NS6detail17trampoline_kernelINS0_14default_configENS1_29binary_search_config_selectorItiEEZNS1_14transform_implILb0ES3_S5_N6thrust23THRUST_200600_302600_NS6detail15normal_iteratorINS8_10device_ptrItEEEENSA_INSB_IiEEEEZNS1_13binary_searchIS3_S5_SD_SD_SF_NS1_16binary_search_opENS9_16wrapped_functionINS0_4lessIvEEbEEEE10hipError_tPvRmT1_T2_T3_mmT4_T5_P12ihipStream_tbEUlRKtE_EESM_SQ_SR_mSS_SV_bEUlT_E_NS1_11comp_targetILNS1_3genE8ELNS1_11target_archE1030ELNS1_3gpuE2ELNS1_3repE0EEENS1_30default_config_static_selectorELNS0_4arch9wavefront6targetE0EEEvSP_,comdat
.Lfunc_end491:
	.size	_ZN7rocprim17ROCPRIM_400000_NS6detail17trampoline_kernelINS0_14default_configENS1_29binary_search_config_selectorItiEEZNS1_14transform_implILb0ES3_S5_N6thrust23THRUST_200600_302600_NS6detail15normal_iteratorINS8_10device_ptrItEEEENSA_INSB_IiEEEEZNS1_13binary_searchIS3_S5_SD_SD_SF_NS1_16binary_search_opENS9_16wrapped_functionINS0_4lessIvEEbEEEE10hipError_tPvRmT1_T2_T3_mmT4_T5_P12ihipStream_tbEUlRKtE_EESM_SQ_SR_mSS_SV_bEUlT_E_NS1_11comp_targetILNS1_3genE8ELNS1_11target_archE1030ELNS1_3gpuE2ELNS1_3repE0EEENS1_30default_config_static_selectorELNS0_4arch9wavefront6targetE0EEEvSP_, .Lfunc_end491-_ZN7rocprim17ROCPRIM_400000_NS6detail17trampoline_kernelINS0_14default_configENS1_29binary_search_config_selectorItiEEZNS1_14transform_implILb0ES3_S5_N6thrust23THRUST_200600_302600_NS6detail15normal_iteratorINS8_10device_ptrItEEEENSA_INSB_IiEEEEZNS1_13binary_searchIS3_S5_SD_SD_SF_NS1_16binary_search_opENS9_16wrapped_functionINS0_4lessIvEEbEEEE10hipError_tPvRmT1_T2_T3_mmT4_T5_P12ihipStream_tbEUlRKtE_EESM_SQ_SR_mSS_SV_bEUlT_E_NS1_11comp_targetILNS1_3genE8ELNS1_11target_archE1030ELNS1_3gpuE2ELNS1_3repE0EEENS1_30default_config_static_selectorELNS0_4arch9wavefront6targetE0EEEvSP_
                                        ; -- End function
	.section	.AMDGPU.csdata,"",@progbits
; Kernel info:
; codeLenInByte = 0
; NumSgprs: 0
; NumVgprs: 0
; ScratchSize: 0
; MemoryBound: 0
; FloatMode: 240
; IeeeMode: 1
; LDSByteSize: 0 bytes/workgroup (compile time only)
; SGPRBlocks: 0
; VGPRBlocks: 0
; NumSGPRsForWavesPerEU: 1
; NumVGPRsForWavesPerEU: 1
; Occupancy: 16
; WaveLimiterHint : 0
; COMPUTE_PGM_RSRC2:SCRATCH_EN: 0
; COMPUTE_PGM_RSRC2:USER_SGPR: 15
; COMPUTE_PGM_RSRC2:TRAP_HANDLER: 0
; COMPUTE_PGM_RSRC2:TGID_X_EN: 1
; COMPUTE_PGM_RSRC2:TGID_Y_EN: 0
; COMPUTE_PGM_RSRC2:TGID_Z_EN: 0
; COMPUTE_PGM_RSRC2:TIDIG_COMP_CNT: 0
	.section	.text._ZN7rocprim17ROCPRIM_400000_NS6detail17trampoline_kernelINS0_14default_configENS1_29binary_search_config_selectorIxbEEZNS1_14transform_implILb0ES3_S5_N6thrust23THRUST_200600_302600_NS6detail15normal_iteratorINS8_10device_ptrIxEEEENSA_INSB_IbEEEEZNS1_13binary_searchIS3_S5_SD_SD_SF_NS1_16binary_search_opENS9_16wrapped_functionINS0_4lessIvEEbEEEE10hipError_tPvRmT1_T2_T3_mmT4_T5_P12ihipStream_tbEUlRKxE_EESM_SQ_SR_mSS_SV_bEUlT_E_NS1_11comp_targetILNS1_3genE0ELNS1_11target_archE4294967295ELNS1_3gpuE0ELNS1_3repE0EEENS1_30default_config_static_selectorELNS0_4arch9wavefront6targetE0EEEvSP_,"axG",@progbits,_ZN7rocprim17ROCPRIM_400000_NS6detail17trampoline_kernelINS0_14default_configENS1_29binary_search_config_selectorIxbEEZNS1_14transform_implILb0ES3_S5_N6thrust23THRUST_200600_302600_NS6detail15normal_iteratorINS8_10device_ptrIxEEEENSA_INSB_IbEEEEZNS1_13binary_searchIS3_S5_SD_SD_SF_NS1_16binary_search_opENS9_16wrapped_functionINS0_4lessIvEEbEEEE10hipError_tPvRmT1_T2_T3_mmT4_T5_P12ihipStream_tbEUlRKxE_EESM_SQ_SR_mSS_SV_bEUlT_E_NS1_11comp_targetILNS1_3genE0ELNS1_11target_archE4294967295ELNS1_3gpuE0ELNS1_3repE0EEENS1_30default_config_static_selectorELNS0_4arch9wavefront6targetE0EEEvSP_,comdat
	.protected	_ZN7rocprim17ROCPRIM_400000_NS6detail17trampoline_kernelINS0_14default_configENS1_29binary_search_config_selectorIxbEEZNS1_14transform_implILb0ES3_S5_N6thrust23THRUST_200600_302600_NS6detail15normal_iteratorINS8_10device_ptrIxEEEENSA_INSB_IbEEEEZNS1_13binary_searchIS3_S5_SD_SD_SF_NS1_16binary_search_opENS9_16wrapped_functionINS0_4lessIvEEbEEEE10hipError_tPvRmT1_T2_T3_mmT4_T5_P12ihipStream_tbEUlRKxE_EESM_SQ_SR_mSS_SV_bEUlT_E_NS1_11comp_targetILNS1_3genE0ELNS1_11target_archE4294967295ELNS1_3gpuE0ELNS1_3repE0EEENS1_30default_config_static_selectorELNS0_4arch9wavefront6targetE0EEEvSP_ ; -- Begin function _ZN7rocprim17ROCPRIM_400000_NS6detail17trampoline_kernelINS0_14default_configENS1_29binary_search_config_selectorIxbEEZNS1_14transform_implILb0ES3_S5_N6thrust23THRUST_200600_302600_NS6detail15normal_iteratorINS8_10device_ptrIxEEEENSA_INSB_IbEEEEZNS1_13binary_searchIS3_S5_SD_SD_SF_NS1_16binary_search_opENS9_16wrapped_functionINS0_4lessIvEEbEEEE10hipError_tPvRmT1_T2_T3_mmT4_T5_P12ihipStream_tbEUlRKxE_EESM_SQ_SR_mSS_SV_bEUlT_E_NS1_11comp_targetILNS1_3genE0ELNS1_11target_archE4294967295ELNS1_3gpuE0ELNS1_3repE0EEENS1_30default_config_static_selectorELNS0_4arch9wavefront6targetE0EEEvSP_
	.globl	_ZN7rocprim17ROCPRIM_400000_NS6detail17trampoline_kernelINS0_14default_configENS1_29binary_search_config_selectorIxbEEZNS1_14transform_implILb0ES3_S5_N6thrust23THRUST_200600_302600_NS6detail15normal_iteratorINS8_10device_ptrIxEEEENSA_INSB_IbEEEEZNS1_13binary_searchIS3_S5_SD_SD_SF_NS1_16binary_search_opENS9_16wrapped_functionINS0_4lessIvEEbEEEE10hipError_tPvRmT1_T2_T3_mmT4_T5_P12ihipStream_tbEUlRKxE_EESM_SQ_SR_mSS_SV_bEUlT_E_NS1_11comp_targetILNS1_3genE0ELNS1_11target_archE4294967295ELNS1_3gpuE0ELNS1_3repE0EEENS1_30default_config_static_selectorELNS0_4arch9wavefront6targetE0EEEvSP_
	.p2align	8
	.type	_ZN7rocprim17ROCPRIM_400000_NS6detail17trampoline_kernelINS0_14default_configENS1_29binary_search_config_selectorIxbEEZNS1_14transform_implILb0ES3_S5_N6thrust23THRUST_200600_302600_NS6detail15normal_iteratorINS8_10device_ptrIxEEEENSA_INSB_IbEEEEZNS1_13binary_searchIS3_S5_SD_SD_SF_NS1_16binary_search_opENS9_16wrapped_functionINS0_4lessIvEEbEEEE10hipError_tPvRmT1_T2_T3_mmT4_T5_P12ihipStream_tbEUlRKxE_EESM_SQ_SR_mSS_SV_bEUlT_E_NS1_11comp_targetILNS1_3genE0ELNS1_11target_archE4294967295ELNS1_3gpuE0ELNS1_3repE0EEENS1_30default_config_static_selectorELNS0_4arch9wavefront6targetE0EEEvSP_,@function
_ZN7rocprim17ROCPRIM_400000_NS6detail17trampoline_kernelINS0_14default_configENS1_29binary_search_config_selectorIxbEEZNS1_14transform_implILb0ES3_S5_N6thrust23THRUST_200600_302600_NS6detail15normal_iteratorINS8_10device_ptrIxEEEENSA_INSB_IbEEEEZNS1_13binary_searchIS3_S5_SD_SD_SF_NS1_16binary_search_opENS9_16wrapped_functionINS0_4lessIvEEbEEEE10hipError_tPvRmT1_T2_T3_mmT4_T5_P12ihipStream_tbEUlRKxE_EESM_SQ_SR_mSS_SV_bEUlT_E_NS1_11comp_targetILNS1_3genE0ELNS1_11target_archE4294967295ELNS1_3gpuE0ELNS1_3repE0EEENS1_30default_config_static_selectorELNS0_4arch9wavefront6targetE0EEEvSP_: ; @_ZN7rocprim17ROCPRIM_400000_NS6detail17trampoline_kernelINS0_14default_configENS1_29binary_search_config_selectorIxbEEZNS1_14transform_implILb0ES3_S5_N6thrust23THRUST_200600_302600_NS6detail15normal_iteratorINS8_10device_ptrIxEEEENSA_INSB_IbEEEEZNS1_13binary_searchIS3_S5_SD_SD_SF_NS1_16binary_search_opENS9_16wrapped_functionINS0_4lessIvEEbEEEE10hipError_tPvRmT1_T2_T3_mmT4_T5_P12ihipStream_tbEUlRKxE_EESM_SQ_SR_mSS_SV_bEUlT_E_NS1_11comp_targetILNS1_3genE0ELNS1_11target_archE4294967295ELNS1_3gpuE0ELNS1_3repE0EEENS1_30default_config_static_selectorELNS0_4arch9wavefront6targetE0EEEvSP_
; %bb.0:
	.section	.rodata,"a",@progbits
	.p2align	6, 0x0
	.amdhsa_kernel _ZN7rocprim17ROCPRIM_400000_NS6detail17trampoline_kernelINS0_14default_configENS1_29binary_search_config_selectorIxbEEZNS1_14transform_implILb0ES3_S5_N6thrust23THRUST_200600_302600_NS6detail15normal_iteratorINS8_10device_ptrIxEEEENSA_INSB_IbEEEEZNS1_13binary_searchIS3_S5_SD_SD_SF_NS1_16binary_search_opENS9_16wrapped_functionINS0_4lessIvEEbEEEE10hipError_tPvRmT1_T2_T3_mmT4_T5_P12ihipStream_tbEUlRKxE_EESM_SQ_SR_mSS_SV_bEUlT_E_NS1_11comp_targetILNS1_3genE0ELNS1_11target_archE4294967295ELNS1_3gpuE0ELNS1_3repE0EEENS1_30default_config_static_selectorELNS0_4arch9wavefront6targetE0EEEvSP_
		.amdhsa_group_segment_fixed_size 0
		.amdhsa_private_segment_fixed_size 0
		.amdhsa_kernarg_size 56
		.amdhsa_user_sgpr_count 15
		.amdhsa_user_sgpr_dispatch_ptr 0
		.amdhsa_user_sgpr_queue_ptr 0
		.amdhsa_user_sgpr_kernarg_segment_ptr 1
		.amdhsa_user_sgpr_dispatch_id 0
		.amdhsa_user_sgpr_private_segment_size 0
		.amdhsa_wavefront_size32 1
		.amdhsa_uses_dynamic_stack 0
		.amdhsa_enable_private_segment 0
		.amdhsa_system_sgpr_workgroup_id_x 1
		.amdhsa_system_sgpr_workgroup_id_y 0
		.amdhsa_system_sgpr_workgroup_id_z 0
		.amdhsa_system_sgpr_workgroup_info 0
		.amdhsa_system_vgpr_workitem_id 0
		.amdhsa_next_free_vgpr 1
		.amdhsa_next_free_sgpr 1
		.amdhsa_reserve_vcc 0
		.amdhsa_float_round_mode_32 0
		.amdhsa_float_round_mode_16_64 0
		.amdhsa_float_denorm_mode_32 3
		.amdhsa_float_denorm_mode_16_64 3
		.amdhsa_dx10_clamp 1
		.amdhsa_ieee_mode 1
		.amdhsa_fp16_overflow 0
		.amdhsa_workgroup_processor_mode 1
		.amdhsa_memory_ordered 1
		.amdhsa_forward_progress 0
		.amdhsa_shared_vgpr_count 0
		.amdhsa_exception_fp_ieee_invalid_op 0
		.amdhsa_exception_fp_denorm_src 0
		.amdhsa_exception_fp_ieee_div_zero 0
		.amdhsa_exception_fp_ieee_overflow 0
		.amdhsa_exception_fp_ieee_underflow 0
		.amdhsa_exception_fp_ieee_inexact 0
		.amdhsa_exception_int_div_zero 0
	.end_amdhsa_kernel
	.section	.text._ZN7rocprim17ROCPRIM_400000_NS6detail17trampoline_kernelINS0_14default_configENS1_29binary_search_config_selectorIxbEEZNS1_14transform_implILb0ES3_S5_N6thrust23THRUST_200600_302600_NS6detail15normal_iteratorINS8_10device_ptrIxEEEENSA_INSB_IbEEEEZNS1_13binary_searchIS3_S5_SD_SD_SF_NS1_16binary_search_opENS9_16wrapped_functionINS0_4lessIvEEbEEEE10hipError_tPvRmT1_T2_T3_mmT4_T5_P12ihipStream_tbEUlRKxE_EESM_SQ_SR_mSS_SV_bEUlT_E_NS1_11comp_targetILNS1_3genE0ELNS1_11target_archE4294967295ELNS1_3gpuE0ELNS1_3repE0EEENS1_30default_config_static_selectorELNS0_4arch9wavefront6targetE0EEEvSP_,"axG",@progbits,_ZN7rocprim17ROCPRIM_400000_NS6detail17trampoline_kernelINS0_14default_configENS1_29binary_search_config_selectorIxbEEZNS1_14transform_implILb0ES3_S5_N6thrust23THRUST_200600_302600_NS6detail15normal_iteratorINS8_10device_ptrIxEEEENSA_INSB_IbEEEEZNS1_13binary_searchIS3_S5_SD_SD_SF_NS1_16binary_search_opENS9_16wrapped_functionINS0_4lessIvEEbEEEE10hipError_tPvRmT1_T2_T3_mmT4_T5_P12ihipStream_tbEUlRKxE_EESM_SQ_SR_mSS_SV_bEUlT_E_NS1_11comp_targetILNS1_3genE0ELNS1_11target_archE4294967295ELNS1_3gpuE0ELNS1_3repE0EEENS1_30default_config_static_selectorELNS0_4arch9wavefront6targetE0EEEvSP_,comdat
.Lfunc_end492:
	.size	_ZN7rocprim17ROCPRIM_400000_NS6detail17trampoline_kernelINS0_14default_configENS1_29binary_search_config_selectorIxbEEZNS1_14transform_implILb0ES3_S5_N6thrust23THRUST_200600_302600_NS6detail15normal_iteratorINS8_10device_ptrIxEEEENSA_INSB_IbEEEEZNS1_13binary_searchIS3_S5_SD_SD_SF_NS1_16binary_search_opENS9_16wrapped_functionINS0_4lessIvEEbEEEE10hipError_tPvRmT1_T2_T3_mmT4_T5_P12ihipStream_tbEUlRKxE_EESM_SQ_SR_mSS_SV_bEUlT_E_NS1_11comp_targetILNS1_3genE0ELNS1_11target_archE4294967295ELNS1_3gpuE0ELNS1_3repE0EEENS1_30default_config_static_selectorELNS0_4arch9wavefront6targetE0EEEvSP_, .Lfunc_end492-_ZN7rocprim17ROCPRIM_400000_NS6detail17trampoline_kernelINS0_14default_configENS1_29binary_search_config_selectorIxbEEZNS1_14transform_implILb0ES3_S5_N6thrust23THRUST_200600_302600_NS6detail15normal_iteratorINS8_10device_ptrIxEEEENSA_INSB_IbEEEEZNS1_13binary_searchIS3_S5_SD_SD_SF_NS1_16binary_search_opENS9_16wrapped_functionINS0_4lessIvEEbEEEE10hipError_tPvRmT1_T2_T3_mmT4_T5_P12ihipStream_tbEUlRKxE_EESM_SQ_SR_mSS_SV_bEUlT_E_NS1_11comp_targetILNS1_3genE0ELNS1_11target_archE4294967295ELNS1_3gpuE0ELNS1_3repE0EEENS1_30default_config_static_selectorELNS0_4arch9wavefront6targetE0EEEvSP_
                                        ; -- End function
	.section	.AMDGPU.csdata,"",@progbits
; Kernel info:
; codeLenInByte = 0
; NumSgprs: 0
; NumVgprs: 0
; ScratchSize: 0
; MemoryBound: 0
; FloatMode: 240
; IeeeMode: 1
; LDSByteSize: 0 bytes/workgroup (compile time only)
; SGPRBlocks: 0
; VGPRBlocks: 0
; NumSGPRsForWavesPerEU: 1
; NumVGPRsForWavesPerEU: 1
; Occupancy: 16
; WaveLimiterHint : 0
; COMPUTE_PGM_RSRC2:SCRATCH_EN: 0
; COMPUTE_PGM_RSRC2:USER_SGPR: 15
; COMPUTE_PGM_RSRC2:TRAP_HANDLER: 0
; COMPUTE_PGM_RSRC2:TGID_X_EN: 1
; COMPUTE_PGM_RSRC2:TGID_Y_EN: 0
; COMPUTE_PGM_RSRC2:TGID_Z_EN: 0
; COMPUTE_PGM_RSRC2:TIDIG_COMP_CNT: 0
	.section	.text._ZN7rocprim17ROCPRIM_400000_NS6detail17trampoline_kernelINS0_14default_configENS1_29binary_search_config_selectorIxbEEZNS1_14transform_implILb0ES3_S5_N6thrust23THRUST_200600_302600_NS6detail15normal_iteratorINS8_10device_ptrIxEEEENSA_INSB_IbEEEEZNS1_13binary_searchIS3_S5_SD_SD_SF_NS1_16binary_search_opENS9_16wrapped_functionINS0_4lessIvEEbEEEE10hipError_tPvRmT1_T2_T3_mmT4_T5_P12ihipStream_tbEUlRKxE_EESM_SQ_SR_mSS_SV_bEUlT_E_NS1_11comp_targetILNS1_3genE5ELNS1_11target_archE942ELNS1_3gpuE9ELNS1_3repE0EEENS1_30default_config_static_selectorELNS0_4arch9wavefront6targetE0EEEvSP_,"axG",@progbits,_ZN7rocprim17ROCPRIM_400000_NS6detail17trampoline_kernelINS0_14default_configENS1_29binary_search_config_selectorIxbEEZNS1_14transform_implILb0ES3_S5_N6thrust23THRUST_200600_302600_NS6detail15normal_iteratorINS8_10device_ptrIxEEEENSA_INSB_IbEEEEZNS1_13binary_searchIS3_S5_SD_SD_SF_NS1_16binary_search_opENS9_16wrapped_functionINS0_4lessIvEEbEEEE10hipError_tPvRmT1_T2_T3_mmT4_T5_P12ihipStream_tbEUlRKxE_EESM_SQ_SR_mSS_SV_bEUlT_E_NS1_11comp_targetILNS1_3genE5ELNS1_11target_archE942ELNS1_3gpuE9ELNS1_3repE0EEENS1_30default_config_static_selectorELNS0_4arch9wavefront6targetE0EEEvSP_,comdat
	.protected	_ZN7rocprim17ROCPRIM_400000_NS6detail17trampoline_kernelINS0_14default_configENS1_29binary_search_config_selectorIxbEEZNS1_14transform_implILb0ES3_S5_N6thrust23THRUST_200600_302600_NS6detail15normal_iteratorINS8_10device_ptrIxEEEENSA_INSB_IbEEEEZNS1_13binary_searchIS3_S5_SD_SD_SF_NS1_16binary_search_opENS9_16wrapped_functionINS0_4lessIvEEbEEEE10hipError_tPvRmT1_T2_T3_mmT4_T5_P12ihipStream_tbEUlRKxE_EESM_SQ_SR_mSS_SV_bEUlT_E_NS1_11comp_targetILNS1_3genE5ELNS1_11target_archE942ELNS1_3gpuE9ELNS1_3repE0EEENS1_30default_config_static_selectorELNS0_4arch9wavefront6targetE0EEEvSP_ ; -- Begin function _ZN7rocprim17ROCPRIM_400000_NS6detail17trampoline_kernelINS0_14default_configENS1_29binary_search_config_selectorIxbEEZNS1_14transform_implILb0ES3_S5_N6thrust23THRUST_200600_302600_NS6detail15normal_iteratorINS8_10device_ptrIxEEEENSA_INSB_IbEEEEZNS1_13binary_searchIS3_S5_SD_SD_SF_NS1_16binary_search_opENS9_16wrapped_functionINS0_4lessIvEEbEEEE10hipError_tPvRmT1_T2_T3_mmT4_T5_P12ihipStream_tbEUlRKxE_EESM_SQ_SR_mSS_SV_bEUlT_E_NS1_11comp_targetILNS1_3genE5ELNS1_11target_archE942ELNS1_3gpuE9ELNS1_3repE0EEENS1_30default_config_static_selectorELNS0_4arch9wavefront6targetE0EEEvSP_
	.globl	_ZN7rocprim17ROCPRIM_400000_NS6detail17trampoline_kernelINS0_14default_configENS1_29binary_search_config_selectorIxbEEZNS1_14transform_implILb0ES3_S5_N6thrust23THRUST_200600_302600_NS6detail15normal_iteratorINS8_10device_ptrIxEEEENSA_INSB_IbEEEEZNS1_13binary_searchIS3_S5_SD_SD_SF_NS1_16binary_search_opENS9_16wrapped_functionINS0_4lessIvEEbEEEE10hipError_tPvRmT1_T2_T3_mmT4_T5_P12ihipStream_tbEUlRKxE_EESM_SQ_SR_mSS_SV_bEUlT_E_NS1_11comp_targetILNS1_3genE5ELNS1_11target_archE942ELNS1_3gpuE9ELNS1_3repE0EEENS1_30default_config_static_selectorELNS0_4arch9wavefront6targetE0EEEvSP_
	.p2align	8
	.type	_ZN7rocprim17ROCPRIM_400000_NS6detail17trampoline_kernelINS0_14default_configENS1_29binary_search_config_selectorIxbEEZNS1_14transform_implILb0ES3_S5_N6thrust23THRUST_200600_302600_NS6detail15normal_iteratorINS8_10device_ptrIxEEEENSA_INSB_IbEEEEZNS1_13binary_searchIS3_S5_SD_SD_SF_NS1_16binary_search_opENS9_16wrapped_functionINS0_4lessIvEEbEEEE10hipError_tPvRmT1_T2_T3_mmT4_T5_P12ihipStream_tbEUlRKxE_EESM_SQ_SR_mSS_SV_bEUlT_E_NS1_11comp_targetILNS1_3genE5ELNS1_11target_archE942ELNS1_3gpuE9ELNS1_3repE0EEENS1_30default_config_static_selectorELNS0_4arch9wavefront6targetE0EEEvSP_,@function
_ZN7rocprim17ROCPRIM_400000_NS6detail17trampoline_kernelINS0_14default_configENS1_29binary_search_config_selectorIxbEEZNS1_14transform_implILb0ES3_S5_N6thrust23THRUST_200600_302600_NS6detail15normal_iteratorINS8_10device_ptrIxEEEENSA_INSB_IbEEEEZNS1_13binary_searchIS3_S5_SD_SD_SF_NS1_16binary_search_opENS9_16wrapped_functionINS0_4lessIvEEbEEEE10hipError_tPvRmT1_T2_T3_mmT4_T5_P12ihipStream_tbEUlRKxE_EESM_SQ_SR_mSS_SV_bEUlT_E_NS1_11comp_targetILNS1_3genE5ELNS1_11target_archE942ELNS1_3gpuE9ELNS1_3repE0EEENS1_30default_config_static_selectorELNS0_4arch9wavefront6targetE0EEEvSP_: ; @_ZN7rocprim17ROCPRIM_400000_NS6detail17trampoline_kernelINS0_14default_configENS1_29binary_search_config_selectorIxbEEZNS1_14transform_implILb0ES3_S5_N6thrust23THRUST_200600_302600_NS6detail15normal_iteratorINS8_10device_ptrIxEEEENSA_INSB_IbEEEEZNS1_13binary_searchIS3_S5_SD_SD_SF_NS1_16binary_search_opENS9_16wrapped_functionINS0_4lessIvEEbEEEE10hipError_tPvRmT1_T2_T3_mmT4_T5_P12ihipStream_tbEUlRKxE_EESM_SQ_SR_mSS_SV_bEUlT_E_NS1_11comp_targetILNS1_3genE5ELNS1_11target_archE942ELNS1_3gpuE9ELNS1_3repE0EEENS1_30default_config_static_selectorELNS0_4arch9wavefront6targetE0EEEvSP_
; %bb.0:
	.section	.rodata,"a",@progbits
	.p2align	6, 0x0
	.amdhsa_kernel _ZN7rocprim17ROCPRIM_400000_NS6detail17trampoline_kernelINS0_14default_configENS1_29binary_search_config_selectorIxbEEZNS1_14transform_implILb0ES3_S5_N6thrust23THRUST_200600_302600_NS6detail15normal_iteratorINS8_10device_ptrIxEEEENSA_INSB_IbEEEEZNS1_13binary_searchIS3_S5_SD_SD_SF_NS1_16binary_search_opENS9_16wrapped_functionINS0_4lessIvEEbEEEE10hipError_tPvRmT1_T2_T3_mmT4_T5_P12ihipStream_tbEUlRKxE_EESM_SQ_SR_mSS_SV_bEUlT_E_NS1_11comp_targetILNS1_3genE5ELNS1_11target_archE942ELNS1_3gpuE9ELNS1_3repE0EEENS1_30default_config_static_selectorELNS0_4arch9wavefront6targetE0EEEvSP_
		.amdhsa_group_segment_fixed_size 0
		.amdhsa_private_segment_fixed_size 0
		.amdhsa_kernarg_size 56
		.amdhsa_user_sgpr_count 15
		.amdhsa_user_sgpr_dispatch_ptr 0
		.amdhsa_user_sgpr_queue_ptr 0
		.amdhsa_user_sgpr_kernarg_segment_ptr 1
		.amdhsa_user_sgpr_dispatch_id 0
		.amdhsa_user_sgpr_private_segment_size 0
		.amdhsa_wavefront_size32 1
		.amdhsa_uses_dynamic_stack 0
		.amdhsa_enable_private_segment 0
		.amdhsa_system_sgpr_workgroup_id_x 1
		.amdhsa_system_sgpr_workgroup_id_y 0
		.amdhsa_system_sgpr_workgroup_id_z 0
		.amdhsa_system_sgpr_workgroup_info 0
		.amdhsa_system_vgpr_workitem_id 0
		.amdhsa_next_free_vgpr 1
		.amdhsa_next_free_sgpr 1
		.amdhsa_reserve_vcc 0
		.amdhsa_float_round_mode_32 0
		.amdhsa_float_round_mode_16_64 0
		.amdhsa_float_denorm_mode_32 3
		.amdhsa_float_denorm_mode_16_64 3
		.amdhsa_dx10_clamp 1
		.amdhsa_ieee_mode 1
		.amdhsa_fp16_overflow 0
		.amdhsa_workgroup_processor_mode 1
		.amdhsa_memory_ordered 1
		.amdhsa_forward_progress 0
		.amdhsa_shared_vgpr_count 0
		.amdhsa_exception_fp_ieee_invalid_op 0
		.amdhsa_exception_fp_denorm_src 0
		.amdhsa_exception_fp_ieee_div_zero 0
		.amdhsa_exception_fp_ieee_overflow 0
		.amdhsa_exception_fp_ieee_underflow 0
		.amdhsa_exception_fp_ieee_inexact 0
		.amdhsa_exception_int_div_zero 0
	.end_amdhsa_kernel
	.section	.text._ZN7rocprim17ROCPRIM_400000_NS6detail17trampoline_kernelINS0_14default_configENS1_29binary_search_config_selectorIxbEEZNS1_14transform_implILb0ES3_S5_N6thrust23THRUST_200600_302600_NS6detail15normal_iteratorINS8_10device_ptrIxEEEENSA_INSB_IbEEEEZNS1_13binary_searchIS3_S5_SD_SD_SF_NS1_16binary_search_opENS9_16wrapped_functionINS0_4lessIvEEbEEEE10hipError_tPvRmT1_T2_T3_mmT4_T5_P12ihipStream_tbEUlRKxE_EESM_SQ_SR_mSS_SV_bEUlT_E_NS1_11comp_targetILNS1_3genE5ELNS1_11target_archE942ELNS1_3gpuE9ELNS1_3repE0EEENS1_30default_config_static_selectorELNS0_4arch9wavefront6targetE0EEEvSP_,"axG",@progbits,_ZN7rocprim17ROCPRIM_400000_NS6detail17trampoline_kernelINS0_14default_configENS1_29binary_search_config_selectorIxbEEZNS1_14transform_implILb0ES3_S5_N6thrust23THRUST_200600_302600_NS6detail15normal_iteratorINS8_10device_ptrIxEEEENSA_INSB_IbEEEEZNS1_13binary_searchIS3_S5_SD_SD_SF_NS1_16binary_search_opENS9_16wrapped_functionINS0_4lessIvEEbEEEE10hipError_tPvRmT1_T2_T3_mmT4_T5_P12ihipStream_tbEUlRKxE_EESM_SQ_SR_mSS_SV_bEUlT_E_NS1_11comp_targetILNS1_3genE5ELNS1_11target_archE942ELNS1_3gpuE9ELNS1_3repE0EEENS1_30default_config_static_selectorELNS0_4arch9wavefront6targetE0EEEvSP_,comdat
.Lfunc_end493:
	.size	_ZN7rocprim17ROCPRIM_400000_NS6detail17trampoline_kernelINS0_14default_configENS1_29binary_search_config_selectorIxbEEZNS1_14transform_implILb0ES3_S5_N6thrust23THRUST_200600_302600_NS6detail15normal_iteratorINS8_10device_ptrIxEEEENSA_INSB_IbEEEEZNS1_13binary_searchIS3_S5_SD_SD_SF_NS1_16binary_search_opENS9_16wrapped_functionINS0_4lessIvEEbEEEE10hipError_tPvRmT1_T2_T3_mmT4_T5_P12ihipStream_tbEUlRKxE_EESM_SQ_SR_mSS_SV_bEUlT_E_NS1_11comp_targetILNS1_3genE5ELNS1_11target_archE942ELNS1_3gpuE9ELNS1_3repE0EEENS1_30default_config_static_selectorELNS0_4arch9wavefront6targetE0EEEvSP_, .Lfunc_end493-_ZN7rocprim17ROCPRIM_400000_NS6detail17trampoline_kernelINS0_14default_configENS1_29binary_search_config_selectorIxbEEZNS1_14transform_implILb0ES3_S5_N6thrust23THRUST_200600_302600_NS6detail15normal_iteratorINS8_10device_ptrIxEEEENSA_INSB_IbEEEEZNS1_13binary_searchIS3_S5_SD_SD_SF_NS1_16binary_search_opENS9_16wrapped_functionINS0_4lessIvEEbEEEE10hipError_tPvRmT1_T2_T3_mmT4_T5_P12ihipStream_tbEUlRKxE_EESM_SQ_SR_mSS_SV_bEUlT_E_NS1_11comp_targetILNS1_3genE5ELNS1_11target_archE942ELNS1_3gpuE9ELNS1_3repE0EEENS1_30default_config_static_selectorELNS0_4arch9wavefront6targetE0EEEvSP_
                                        ; -- End function
	.section	.AMDGPU.csdata,"",@progbits
; Kernel info:
; codeLenInByte = 0
; NumSgprs: 0
; NumVgprs: 0
; ScratchSize: 0
; MemoryBound: 0
; FloatMode: 240
; IeeeMode: 1
; LDSByteSize: 0 bytes/workgroup (compile time only)
; SGPRBlocks: 0
; VGPRBlocks: 0
; NumSGPRsForWavesPerEU: 1
; NumVGPRsForWavesPerEU: 1
; Occupancy: 16
; WaveLimiterHint : 0
; COMPUTE_PGM_RSRC2:SCRATCH_EN: 0
; COMPUTE_PGM_RSRC2:USER_SGPR: 15
; COMPUTE_PGM_RSRC2:TRAP_HANDLER: 0
; COMPUTE_PGM_RSRC2:TGID_X_EN: 1
; COMPUTE_PGM_RSRC2:TGID_Y_EN: 0
; COMPUTE_PGM_RSRC2:TGID_Z_EN: 0
; COMPUTE_PGM_RSRC2:TIDIG_COMP_CNT: 0
	.section	.text._ZN7rocprim17ROCPRIM_400000_NS6detail17trampoline_kernelINS0_14default_configENS1_29binary_search_config_selectorIxbEEZNS1_14transform_implILb0ES3_S5_N6thrust23THRUST_200600_302600_NS6detail15normal_iteratorINS8_10device_ptrIxEEEENSA_INSB_IbEEEEZNS1_13binary_searchIS3_S5_SD_SD_SF_NS1_16binary_search_opENS9_16wrapped_functionINS0_4lessIvEEbEEEE10hipError_tPvRmT1_T2_T3_mmT4_T5_P12ihipStream_tbEUlRKxE_EESM_SQ_SR_mSS_SV_bEUlT_E_NS1_11comp_targetILNS1_3genE4ELNS1_11target_archE910ELNS1_3gpuE8ELNS1_3repE0EEENS1_30default_config_static_selectorELNS0_4arch9wavefront6targetE0EEEvSP_,"axG",@progbits,_ZN7rocprim17ROCPRIM_400000_NS6detail17trampoline_kernelINS0_14default_configENS1_29binary_search_config_selectorIxbEEZNS1_14transform_implILb0ES3_S5_N6thrust23THRUST_200600_302600_NS6detail15normal_iteratorINS8_10device_ptrIxEEEENSA_INSB_IbEEEEZNS1_13binary_searchIS3_S5_SD_SD_SF_NS1_16binary_search_opENS9_16wrapped_functionINS0_4lessIvEEbEEEE10hipError_tPvRmT1_T2_T3_mmT4_T5_P12ihipStream_tbEUlRKxE_EESM_SQ_SR_mSS_SV_bEUlT_E_NS1_11comp_targetILNS1_3genE4ELNS1_11target_archE910ELNS1_3gpuE8ELNS1_3repE0EEENS1_30default_config_static_selectorELNS0_4arch9wavefront6targetE0EEEvSP_,comdat
	.protected	_ZN7rocprim17ROCPRIM_400000_NS6detail17trampoline_kernelINS0_14default_configENS1_29binary_search_config_selectorIxbEEZNS1_14transform_implILb0ES3_S5_N6thrust23THRUST_200600_302600_NS6detail15normal_iteratorINS8_10device_ptrIxEEEENSA_INSB_IbEEEEZNS1_13binary_searchIS3_S5_SD_SD_SF_NS1_16binary_search_opENS9_16wrapped_functionINS0_4lessIvEEbEEEE10hipError_tPvRmT1_T2_T3_mmT4_T5_P12ihipStream_tbEUlRKxE_EESM_SQ_SR_mSS_SV_bEUlT_E_NS1_11comp_targetILNS1_3genE4ELNS1_11target_archE910ELNS1_3gpuE8ELNS1_3repE0EEENS1_30default_config_static_selectorELNS0_4arch9wavefront6targetE0EEEvSP_ ; -- Begin function _ZN7rocprim17ROCPRIM_400000_NS6detail17trampoline_kernelINS0_14default_configENS1_29binary_search_config_selectorIxbEEZNS1_14transform_implILb0ES3_S5_N6thrust23THRUST_200600_302600_NS6detail15normal_iteratorINS8_10device_ptrIxEEEENSA_INSB_IbEEEEZNS1_13binary_searchIS3_S5_SD_SD_SF_NS1_16binary_search_opENS9_16wrapped_functionINS0_4lessIvEEbEEEE10hipError_tPvRmT1_T2_T3_mmT4_T5_P12ihipStream_tbEUlRKxE_EESM_SQ_SR_mSS_SV_bEUlT_E_NS1_11comp_targetILNS1_3genE4ELNS1_11target_archE910ELNS1_3gpuE8ELNS1_3repE0EEENS1_30default_config_static_selectorELNS0_4arch9wavefront6targetE0EEEvSP_
	.globl	_ZN7rocprim17ROCPRIM_400000_NS6detail17trampoline_kernelINS0_14default_configENS1_29binary_search_config_selectorIxbEEZNS1_14transform_implILb0ES3_S5_N6thrust23THRUST_200600_302600_NS6detail15normal_iteratorINS8_10device_ptrIxEEEENSA_INSB_IbEEEEZNS1_13binary_searchIS3_S5_SD_SD_SF_NS1_16binary_search_opENS9_16wrapped_functionINS0_4lessIvEEbEEEE10hipError_tPvRmT1_T2_T3_mmT4_T5_P12ihipStream_tbEUlRKxE_EESM_SQ_SR_mSS_SV_bEUlT_E_NS1_11comp_targetILNS1_3genE4ELNS1_11target_archE910ELNS1_3gpuE8ELNS1_3repE0EEENS1_30default_config_static_selectorELNS0_4arch9wavefront6targetE0EEEvSP_
	.p2align	8
	.type	_ZN7rocprim17ROCPRIM_400000_NS6detail17trampoline_kernelINS0_14default_configENS1_29binary_search_config_selectorIxbEEZNS1_14transform_implILb0ES3_S5_N6thrust23THRUST_200600_302600_NS6detail15normal_iteratorINS8_10device_ptrIxEEEENSA_INSB_IbEEEEZNS1_13binary_searchIS3_S5_SD_SD_SF_NS1_16binary_search_opENS9_16wrapped_functionINS0_4lessIvEEbEEEE10hipError_tPvRmT1_T2_T3_mmT4_T5_P12ihipStream_tbEUlRKxE_EESM_SQ_SR_mSS_SV_bEUlT_E_NS1_11comp_targetILNS1_3genE4ELNS1_11target_archE910ELNS1_3gpuE8ELNS1_3repE0EEENS1_30default_config_static_selectorELNS0_4arch9wavefront6targetE0EEEvSP_,@function
_ZN7rocprim17ROCPRIM_400000_NS6detail17trampoline_kernelINS0_14default_configENS1_29binary_search_config_selectorIxbEEZNS1_14transform_implILb0ES3_S5_N6thrust23THRUST_200600_302600_NS6detail15normal_iteratorINS8_10device_ptrIxEEEENSA_INSB_IbEEEEZNS1_13binary_searchIS3_S5_SD_SD_SF_NS1_16binary_search_opENS9_16wrapped_functionINS0_4lessIvEEbEEEE10hipError_tPvRmT1_T2_T3_mmT4_T5_P12ihipStream_tbEUlRKxE_EESM_SQ_SR_mSS_SV_bEUlT_E_NS1_11comp_targetILNS1_3genE4ELNS1_11target_archE910ELNS1_3gpuE8ELNS1_3repE0EEENS1_30default_config_static_selectorELNS0_4arch9wavefront6targetE0EEEvSP_: ; @_ZN7rocprim17ROCPRIM_400000_NS6detail17trampoline_kernelINS0_14default_configENS1_29binary_search_config_selectorIxbEEZNS1_14transform_implILb0ES3_S5_N6thrust23THRUST_200600_302600_NS6detail15normal_iteratorINS8_10device_ptrIxEEEENSA_INSB_IbEEEEZNS1_13binary_searchIS3_S5_SD_SD_SF_NS1_16binary_search_opENS9_16wrapped_functionINS0_4lessIvEEbEEEE10hipError_tPvRmT1_T2_T3_mmT4_T5_P12ihipStream_tbEUlRKxE_EESM_SQ_SR_mSS_SV_bEUlT_E_NS1_11comp_targetILNS1_3genE4ELNS1_11target_archE910ELNS1_3gpuE8ELNS1_3repE0EEENS1_30default_config_static_selectorELNS0_4arch9wavefront6targetE0EEEvSP_
; %bb.0:
	.section	.rodata,"a",@progbits
	.p2align	6, 0x0
	.amdhsa_kernel _ZN7rocprim17ROCPRIM_400000_NS6detail17trampoline_kernelINS0_14default_configENS1_29binary_search_config_selectorIxbEEZNS1_14transform_implILb0ES3_S5_N6thrust23THRUST_200600_302600_NS6detail15normal_iteratorINS8_10device_ptrIxEEEENSA_INSB_IbEEEEZNS1_13binary_searchIS3_S5_SD_SD_SF_NS1_16binary_search_opENS9_16wrapped_functionINS0_4lessIvEEbEEEE10hipError_tPvRmT1_T2_T3_mmT4_T5_P12ihipStream_tbEUlRKxE_EESM_SQ_SR_mSS_SV_bEUlT_E_NS1_11comp_targetILNS1_3genE4ELNS1_11target_archE910ELNS1_3gpuE8ELNS1_3repE0EEENS1_30default_config_static_selectorELNS0_4arch9wavefront6targetE0EEEvSP_
		.amdhsa_group_segment_fixed_size 0
		.amdhsa_private_segment_fixed_size 0
		.amdhsa_kernarg_size 56
		.amdhsa_user_sgpr_count 15
		.amdhsa_user_sgpr_dispatch_ptr 0
		.amdhsa_user_sgpr_queue_ptr 0
		.amdhsa_user_sgpr_kernarg_segment_ptr 1
		.amdhsa_user_sgpr_dispatch_id 0
		.amdhsa_user_sgpr_private_segment_size 0
		.amdhsa_wavefront_size32 1
		.amdhsa_uses_dynamic_stack 0
		.amdhsa_enable_private_segment 0
		.amdhsa_system_sgpr_workgroup_id_x 1
		.amdhsa_system_sgpr_workgroup_id_y 0
		.amdhsa_system_sgpr_workgroup_id_z 0
		.amdhsa_system_sgpr_workgroup_info 0
		.amdhsa_system_vgpr_workitem_id 0
		.amdhsa_next_free_vgpr 1
		.amdhsa_next_free_sgpr 1
		.amdhsa_reserve_vcc 0
		.amdhsa_float_round_mode_32 0
		.amdhsa_float_round_mode_16_64 0
		.amdhsa_float_denorm_mode_32 3
		.amdhsa_float_denorm_mode_16_64 3
		.amdhsa_dx10_clamp 1
		.amdhsa_ieee_mode 1
		.amdhsa_fp16_overflow 0
		.amdhsa_workgroup_processor_mode 1
		.amdhsa_memory_ordered 1
		.amdhsa_forward_progress 0
		.amdhsa_shared_vgpr_count 0
		.amdhsa_exception_fp_ieee_invalid_op 0
		.amdhsa_exception_fp_denorm_src 0
		.amdhsa_exception_fp_ieee_div_zero 0
		.amdhsa_exception_fp_ieee_overflow 0
		.amdhsa_exception_fp_ieee_underflow 0
		.amdhsa_exception_fp_ieee_inexact 0
		.amdhsa_exception_int_div_zero 0
	.end_amdhsa_kernel
	.section	.text._ZN7rocprim17ROCPRIM_400000_NS6detail17trampoline_kernelINS0_14default_configENS1_29binary_search_config_selectorIxbEEZNS1_14transform_implILb0ES3_S5_N6thrust23THRUST_200600_302600_NS6detail15normal_iteratorINS8_10device_ptrIxEEEENSA_INSB_IbEEEEZNS1_13binary_searchIS3_S5_SD_SD_SF_NS1_16binary_search_opENS9_16wrapped_functionINS0_4lessIvEEbEEEE10hipError_tPvRmT1_T2_T3_mmT4_T5_P12ihipStream_tbEUlRKxE_EESM_SQ_SR_mSS_SV_bEUlT_E_NS1_11comp_targetILNS1_3genE4ELNS1_11target_archE910ELNS1_3gpuE8ELNS1_3repE0EEENS1_30default_config_static_selectorELNS0_4arch9wavefront6targetE0EEEvSP_,"axG",@progbits,_ZN7rocprim17ROCPRIM_400000_NS6detail17trampoline_kernelINS0_14default_configENS1_29binary_search_config_selectorIxbEEZNS1_14transform_implILb0ES3_S5_N6thrust23THRUST_200600_302600_NS6detail15normal_iteratorINS8_10device_ptrIxEEEENSA_INSB_IbEEEEZNS1_13binary_searchIS3_S5_SD_SD_SF_NS1_16binary_search_opENS9_16wrapped_functionINS0_4lessIvEEbEEEE10hipError_tPvRmT1_T2_T3_mmT4_T5_P12ihipStream_tbEUlRKxE_EESM_SQ_SR_mSS_SV_bEUlT_E_NS1_11comp_targetILNS1_3genE4ELNS1_11target_archE910ELNS1_3gpuE8ELNS1_3repE0EEENS1_30default_config_static_selectorELNS0_4arch9wavefront6targetE0EEEvSP_,comdat
.Lfunc_end494:
	.size	_ZN7rocprim17ROCPRIM_400000_NS6detail17trampoline_kernelINS0_14default_configENS1_29binary_search_config_selectorIxbEEZNS1_14transform_implILb0ES3_S5_N6thrust23THRUST_200600_302600_NS6detail15normal_iteratorINS8_10device_ptrIxEEEENSA_INSB_IbEEEEZNS1_13binary_searchIS3_S5_SD_SD_SF_NS1_16binary_search_opENS9_16wrapped_functionINS0_4lessIvEEbEEEE10hipError_tPvRmT1_T2_T3_mmT4_T5_P12ihipStream_tbEUlRKxE_EESM_SQ_SR_mSS_SV_bEUlT_E_NS1_11comp_targetILNS1_3genE4ELNS1_11target_archE910ELNS1_3gpuE8ELNS1_3repE0EEENS1_30default_config_static_selectorELNS0_4arch9wavefront6targetE0EEEvSP_, .Lfunc_end494-_ZN7rocprim17ROCPRIM_400000_NS6detail17trampoline_kernelINS0_14default_configENS1_29binary_search_config_selectorIxbEEZNS1_14transform_implILb0ES3_S5_N6thrust23THRUST_200600_302600_NS6detail15normal_iteratorINS8_10device_ptrIxEEEENSA_INSB_IbEEEEZNS1_13binary_searchIS3_S5_SD_SD_SF_NS1_16binary_search_opENS9_16wrapped_functionINS0_4lessIvEEbEEEE10hipError_tPvRmT1_T2_T3_mmT4_T5_P12ihipStream_tbEUlRKxE_EESM_SQ_SR_mSS_SV_bEUlT_E_NS1_11comp_targetILNS1_3genE4ELNS1_11target_archE910ELNS1_3gpuE8ELNS1_3repE0EEENS1_30default_config_static_selectorELNS0_4arch9wavefront6targetE0EEEvSP_
                                        ; -- End function
	.section	.AMDGPU.csdata,"",@progbits
; Kernel info:
; codeLenInByte = 0
; NumSgprs: 0
; NumVgprs: 0
; ScratchSize: 0
; MemoryBound: 0
; FloatMode: 240
; IeeeMode: 1
; LDSByteSize: 0 bytes/workgroup (compile time only)
; SGPRBlocks: 0
; VGPRBlocks: 0
; NumSGPRsForWavesPerEU: 1
; NumVGPRsForWavesPerEU: 1
; Occupancy: 16
; WaveLimiterHint : 0
; COMPUTE_PGM_RSRC2:SCRATCH_EN: 0
; COMPUTE_PGM_RSRC2:USER_SGPR: 15
; COMPUTE_PGM_RSRC2:TRAP_HANDLER: 0
; COMPUTE_PGM_RSRC2:TGID_X_EN: 1
; COMPUTE_PGM_RSRC2:TGID_Y_EN: 0
; COMPUTE_PGM_RSRC2:TGID_Z_EN: 0
; COMPUTE_PGM_RSRC2:TIDIG_COMP_CNT: 0
	.section	.text._ZN7rocprim17ROCPRIM_400000_NS6detail17trampoline_kernelINS0_14default_configENS1_29binary_search_config_selectorIxbEEZNS1_14transform_implILb0ES3_S5_N6thrust23THRUST_200600_302600_NS6detail15normal_iteratorINS8_10device_ptrIxEEEENSA_INSB_IbEEEEZNS1_13binary_searchIS3_S5_SD_SD_SF_NS1_16binary_search_opENS9_16wrapped_functionINS0_4lessIvEEbEEEE10hipError_tPvRmT1_T2_T3_mmT4_T5_P12ihipStream_tbEUlRKxE_EESM_SQ_SR_mSS_SV_bEUlT_E_NS1_11comp_targetILNS1_3genE3ELNS1_11target_archE908ELNS1_3gpuE7ELNS1_3repE0EEENS1_30default_config_static_selectorELNS0_4arch9wavefront6targetE0EEEvSP_,"axG",@progbits,_ZN7rocprim17ROCPRIM_400000_NS6detail17trampoline_kernelINS0_14default_configENS1_29binary_search_config_selectorIxbEEZNS1_14transform_implILb0ES3_S5_N6thrust23THRUST_200600_302600_NS6detail15normal_iteratorINS8_10device_ptrIxEEEENSA_INSB_IbEEEEZNS1_13binary_searchIS3_S5_SD_SD_SF_NS1_16binary_search_opENS9_16wrapped_functionINS0_4lessIvEEbEEEE10hipError_tPvRmT1_T2_T3_mmT4_T5_P12ihipStream_tbEUlRKxE_EESM_SQ_SR_mSS_SV_bEUlT_E_NS1_11comp_targetILNS1_3genE3ELNS1_11target_archE908ELNS1_3gpuE7ELNS1_3repE0EEENS1_30default_config_static_selectorELNS0_4arch9wavefront6targetE0EEEvSP_,comdat
	.protected	_ZN7rocprim17ROCPRIM_400000_NS6detail17trampoline_kernelINS0_14default_configENS1_29binary_search_config_selectorIxbEEZNS1_14transform_implILb0ES3_S5_N6thrust23THRUST_200600_302600_NS6detail15normal_iteratorINS8_10device_ptrIxEEEENSA_INSB_IbEEEEZNS1_13binary_searchIS3_S5_SD_SD_SF_NS1_16binary_search_opENS9_16wrapped_functionINS0_4lessIvEEbEEEE10hipError_tPvRmT1_T2_T3_mmT4_T5_P12ihipStream_tbEUlRKxE_EESM_SQ_SR_mSS_SV_bEUlT_E_NS1_11comp_targetILNS1_3genE3ELNS1_11target_archE908ELNS1_3gpuE7ELNS1_3repE0EEENS1_30default_config_static_selectorELNS0_4arch9wavefront6targetE0EEEvSP_ ; -- Begin function _ZN7rocprim17ROCPRIM_400000_NS6detail17trampoline_kernelINS0_14default_configENS1_29binary_search_config_selectorIxbEEZNS1_14transform_implILb0ES3_S5_N6thrust23THRUST_200600_302600_NS6detail15normal_iteratorINS8_10device_ptrIxEEEENSA_INSB_IbEEEEZNS1_13binary_searchIS3_S5_SD_SD_SF_NS1_16binary_search_opENS9_16wrapped_functionINS0_4lessIvEEbEEEE10hipError_tPvRmT1_T2_T3_mmT4_T5_P12ihipStream_tbEUlRKxE_EESM_SQ_SR_mSS_SV_bEUlT_E_NS1_11comp_targetILNS1_3genE3ELNS1_11target_archE908ELNS1_3gpuE7ELNS1_3repE0EEENS1_30default_config_static_selectorELNS0_4arch9wavefront6targetE0EEEvSP_
	.globl	_ZN7rocprim17ROCPRIM_400000_NS6detail17trampoline_kernelINS0_14default_configENS1_29binary_search_config_selectorIxbEEZNS1_14transform_implILb0ES3_S5_N6thrust23THRUST_200600_302600_NS6detail15normal_iteratorINS8_10device_ptrIxEEEENSA_INSB_IbEEEEZNS1_13binary_searchIS3_S5_SD_SD_SF_NS1_16binary_search_opENS9_16wrapped_functionINS0_4lessIvEEbEEEE10hipError_tPvRmT1_T2_T3_mmT4_T5_P12ihipStream_tbEUlRKxE_EESM_SQ_SR_mSS_SV_bEUlT_E_NS1_11comp_targetILNS1_3genE3ELNS1_11target_archE908ELNS1_3gpuE7ELNS1_3repE0EEENS1_30default_config_static_selectorELNS0_4arch9wavefront6targetE0EEEvSP_
	.p2align	8
	.type	_ZN7rocprim17ROCPRIM_400000_NS6detail17trampoline_kernelINS0_14default_configENS1_29binary_search_config_selectorIxbEEZNS1_14transform_implILb0ES3_S5_N6thrust23THRUST_200600_302600_NS6detail15normal_iteratorINS8_10device_ptrIxEEEENSA_INSB_IbEEEEZNS1_13binary_searchIS3_S5_SD_SD_SF_NS1_16binary_search_opENS9_16wrapped_functionINS0_4lessIvEEbEEEE10hipError_tPvRmT1_T2_T3_mmT4_T5_P12ihipStream_tbEUlRKxE_EESM_SQ_SR_mSS_SV_bEUlT_E_NS1_11comp_targetILNS1_3genE3ELNS1_11target_archE908ELNS1_3gpuE7ELNS1_3repE0EEENS1_30default_config_static_selectorELNS0_4arch9wavefront6targetE0EEEvSP_,@function
_ZN7rocprim17ROCPRIM_400000_NS6detail17trampoline_kernelINS0_14default_configENS1_29binary_search_config_selectorIxbEEZNS1_14transform_implILb0ES3_S5_N6thrust23THRUST_200600_302600_NS6detail15normal_iteratorINS8_10device_ptrIxEEEENSA_INSB_IbEEEEZNS1_13binary_searchIS3_S5_SD_SD_SF_NS1_16binary_search_opENS9_16wrapped_functionINS0_4lessIvEEbEEEE10hipError_tPvRmT1_T2_T3_mmT4_T5_P12ihipStream_tbEUlRKxE_EESM_SQ_SR_mSS_SV_bEUlT_E_NS1_11comp_targetILNS1_3genE3ELNS1_11target_archE908ELNS1_3gpuE7ELNS1_3repE0EEENS1_30default_config_static_selectorELNS0_4arch9wavefront6targetE0EEEvSP_: ; @_ZN7rocprim17ROCPRIM_400000_NS6detail17trampoline_kernelINS0_14default_configENS1_29binary_search_config_selectorIxbEEZNS1_14transform_implILb0ES3_S5_N6thrust23THRUST_200600_302600_NS6detail15normal_iteratorINS8_10device_ptrIxEEEENSA_INSB_IbEEEEZNS1_13binary_searchIS3_S5_SD_SD_SF_NS1_16binary_search_opENS9_16wrapped_functionINS0_4lessIvEEbEEEE10hipError_tPvRmT1_T2_T3_mmT4_T5_P12ihipStream_tbEUlRKxE_EESM_SQ_SR_mSS_SV_bEUlT_E_NS1_11comp_targetILNS1_3genE3ELNS1_11target_archE908ELNS1_3gpuE7ELNS1_3repE0EEENS1_30default_config_static_selectorELNS0_4arch9wavefront6targetE0EEEvSP_
; %bb.0:
	.section	.rodata,"a",@progbits
	.p2align	6, 0x0
	.amdhsa_kernel _ZN7rocprim17ROCPRIM_400000_NS6detail17trampoline_kernelINS0_14default_configENS1_29binary_search_config_selectorIxbEEZNS1_14transform_implILb0ES3_S5_N6thrust23THRUST_200600_302600_NS6detail15normal_iteratorINS8_10device_ptrIxEEEENSA_INSB_IbEEEEZNS1_13binary_searchIS3_S5_SD_SD_SF_NS1_16binary_search_opENS9_16wrapped_functionINS0_4lessIvEEbEEEE10hipError_tPvRmT1_T2_T3_mmT4_T5_P12ihipStream_tbEUlRKxE_EESM_SQ_SR_mSS_SV_bEUlT_E_NS1_11comp_targetILNS1_3genE3ELNS1_11target_archE908ELNS1_3gpuE7ELNS1_3repE0EEENS1_30default_config_static_selectorELNS0_4arch9wavefront6targetE0EEEvSP_
		.amdhsa_group_segment_fixed_size 0
		.amdhsa_private_segment_fixed_size 0
		.amdhsa_kernarg_size 56
		.amdhsa_user_sgpr_count 15
		.amdhsa_user_sgpr_dispatch_ptr 0
		.amdhsa_user_sgpr_queue_ptr 0
		.amdhsa_user_sgpr_kernarg_segment_ptr 1
		.amdhsa_user_sgpr_dispatch_id 0
		.amdhsa_user_sgpr_private_segment_size 0
		.amdhsa_wavefront_size32 1
		.amdhsa_uses_dynamic_stack 0
		.amdhsa_enable_private_segment 0
		.amdhsa_system_sgpr_workgroup_id_x 1
		.amdhsa_system_sgpr_workgroup_id_y 0
		.amdhsa_system_sgpr_workgroup_id_z 0
		.amdhsa_system_sgpr_workgroup_info 0
		.amdhsa_system_vgpr_workitem_id 0
		.amdhsa_next_free_vgpr 1
		.amdhsa_next_free_sgpr 1
		.amdhsa_reserve_vcc 0
		.amdhsa_float_round_mode_32 0
		.amdhsa_float_round_mode_16_64 0
		.amdhsa_float_denorm_mode_32 3
		.amdhsa_float_denorm_mode_16_64 3
		.amdhsa_dx10_clamp 1
		.amdhsa_ieee_mode 1
		.amdhsa_fp16_overflow 0
		.amdhsa_workgroup_processor_mode 1
		.amdhsa_memory_ordered 1
		.amdhsa_forward_progress 0
		.amdhsa_shared_vgpr_count 0
		.amdhsa_exception_fp_ieee_invalid_op 0
		.amdhsa_exception_fp_denorm_src 0
		.amdhsa_exception_fp_ieee_div_zero 0
		.amdhsa_exception_fp_ieee_overflow 0
		.amdhsa_exception_fp_ieee_underflow 0
		.amdhsa_exception_fp_ieee_inexact 0
		.amdhsa_exception_int_div_zero 0
	.end_amdhsa_kernel
	.section	.text._ZN7rocprim17ROCPRIM_400000_NS6detail17trampoline_kernelINS0_14default_configENS1_29binary_search_config_selectorIxbEEZNS1_14transform_implILb0ES3_S5_N6thrust23THRUST_200600_302600_NS6detail15normal_iteratorINS8_10device_ptrIxEEEENSA_INSB_IbEEEEZNS1_13binary_searchIS3_S5_SD_SD_SF_NS1_16binary_search_opENS9_16wrapped_functionINS0_4lessIvEEbEEEE10hipError_tPvRmT1_T2_T3_mmT4_T5_P12ihipStream_tbEUlRKxE_EESM_SQ_SR_mSS_SV_bEUlT_E_NS1_11comp_targetILNS1_3genE3ELNS1_11target_archE908ELNS1_3gpuE7ELNS1_3repE0EEENS1_30default_config_static_selectorELNS0_4arch9wavefront6targetE0EEEvSP_,"axG",@progbits,_ZN7rocprim17ROCPRIM_400000_NS6detail17trampoline_kernelINS0_14default_configENS1_29binary_search_config_selectorIxbEEZNS1_14transform_implILb0ES3_S5_N6thrust23THRUST_200600_302600_NS6detail15normal_iteratorINS8_10device_ptrIxEEEENSA_INSB_IbEEEEZNS1_13binary_searchIS3_S5_SD_SD_SF_NS1_16binary_search_opENS9_16wrapped_functionINS0_4lessIvEEbEEEE10hipError_tPvRmT1_T2_T3_mmT4_T5_P12ihipStream_tbEUlRKxE_EESM_SQ_SR_mSS_SV_bEUlT_E_NS1_11comp_targetILNS1_3genE3ELNS1_11target_archE908ELNS1_3gpuE7ELNS1_3repE0EEENS1_30default_config_static_selectorELNS0_4arch9wavefront6targetE0EEEvSP_,comdat
.Lfunc_end495:
	.size	_ZN7rocprim17ROCPRIM_400000_NS6detail17trampoline_kernelINS0_14default_configENS1_29binary_search_config_selectorIxbEEZNS1_14transform_implILb0ES3_S5_N6thrust23THRUST_200600_302600_NS6detail15normal_iteratorINS8_10device_ptrIxEEEENSA_INSB_IbEEEEZNS1_13binary_searchIS3_S5_SD_SD_SF_NS1_16binary_search_opENS9_16wrapped_functionINS0_4lessIvEEbEEEE10hipError_tPvRmT1_T2_T3_mmT4_T5_P12ihipStream_tbEUlRKxE_EESM_SQ_SR_mSS_SV_bEUlT_E_NS1_11comp_targetILNS1_3genE3ELNS1_11target_archE908ELNS1_3gpuE7ELNS1_3repE0EEENS1_30default_config_static_selectorELNS0_4arch9wavefront6targetE0EEEvSP_, .Lfunc_end495-_ZN7rocprim17ROCPRIM_400000_NS6detail17trampoline_kernelINS0_14default_configENS1_29binary_search_config_selectorIxbEEZNS1_14transform_implILb0ES3_S5_N6thrust23THRUST_200600_302600_NS6detail15normal_iteratorINS8_10device_ptrIxEEEENSA_INSB_IbEEEEZNS1_13binary_searchIS3_S5_SD_SD_SF_NS1_16binary_search_opENS9_16wrapped_functionINS0_4lessIvEEbEEEE10hipError_tPvRmT1_T2_T3_mmT4_T5_P12ihipStream_tbEUlRKxE_EESM_SQ_SR_mSS_SV_bEUlT_E_NS1_11comp_targetILNS1_3genE3ELNS1_11target_archE908ELNS1_3gpuE7ELNS1_3repE0EEENS1_30default_config_static_selectorELNS0_4arch9wavefront6targetE0EEEvSP_
                                        ; -- End function
	.section	.AMDGPU.csdata,"",@progbits
; Kernel info:
; codeLenInByte = 0
; NumSgprs: 0
; NumVgprs: 0
; ScratchSize: 0
; MemoryBound: 0
; FloatMode: 240
; IeeeMode: 1
; LDSByteSize: 0 bytes/workgroup (compile time only)
; SGPRBlocks: 0
; VGPRBlocks: 0
; NumSGPRsForWavesPerEU: 1
; NumVGPRsForWavesPerEU: 1
; Occupancy: 16
; WaveLimiterHint : 0
; COMPUTE_PGM_RSRC2:SCRATCH_EN: 0
; COMPUTE_PGM_RSRC2:USER_SGPR: 15
; COMPUTE_PGM_RSRC2:TRAP_HANDLER: 0
; COMPUTE_PGM_RSRC2:TGID_X_EN: 1
; COMPUTE_PGM_RSRC2:TGID_Y_EN: 0
; COMPUTE_PGM_RSRC2:TGID_Z_EN: 0
; COMPUTE_PGM_RSRC2:TIDIG_COMP_CNT: 0
	.section	.text._ZN7rocprim17ROCPRIM_400000_NS6detail17trampoline_kernelINS0_14default_configENS1_29binary_search_config_selectorIxbEEZNS1_14transform_implILb0ES3_S5_N6thrust23THRUST_200600_302600_NS6detail15normal_iteratorINS8_10device_ptrIxEEEENSA_INSB_IbEEEEZNS1_13binary_searchIS3_S5_SD_SD_SF_NS1_16binary_search_opENS9_16wrapped_functionINS0_4lessIvEEbEEEE10hipError_tPvRmT1_T2_T3_mmT4_T5_P12ihipStream_tbEUlRKxE_EESM_SQ_SR_mSS_SV_bEUlT_E_NS1_11comp_targetILNS1_3genE2ELNS1_11target_archE906ELNS1_3gpuE6ELNS1_3repE0EEENS1_30default_config_static_selectorELNS0_4arch9wavefront6targetE0EEEvSP_,"axG",@progbits,_ZN7rocprim17ROCPRIM_400000_NS6detail17trampoline_kernelINS0_14default_configENS1_29binary_search_config_selectorIxbEEZNS1_14transform_implILb0ES3_S5_N6thrust23THRUST_200600_302600_NS6detail15normal_iteratorINS8_10device_ptrIxEEEENSA_INSB_IbEEEEZNS1_13binary_searchIS3_S5_SD_SD_SF_NS1_16binary_search_opENS9_16wrapped_functionINS0_4lessIvEEbEEEE10hipError_tPvRmT1_T2_T3_mmT4_T5_P12ihipStream_tbEUlRKxE_EESM_SQ_SR_mSS_SV_bEUlT_E_NS1_11comp_targetILNS1_3genE2ELNS1_11target_archE906ELNS1_3gpuE6ELNS1_3repE0EEENS1_30default_config_static_selectorELNS0_4arch9wavefront6targetE0EEEvSP_,comdat
	.protected	_ZN7rocprim17ROCPRIM_400000_NS6detail17trampoline_kernelINS0_14default_configENS1_29binary_search_config_selectorIxbEEZNS1_14transform_implILb0ES3_S5_N6thrust23THRUST_200600_302600_NS6detail15normal_iteratorINS8_10device_ptrIxEEEENSA_INSB_IbEEEEZNS1_13binary_searchIS3_S5_SD_SD_SF_NS1_16binary_search_opENS9_16wrapped_functionINS0_4lessIvEEbEEEE10hipError_tPvRmT1_T2_T3_mmT4_T5_P12ihipStream_tbEUlRKxE_EESM_SQ_SR_mSS_SV_bEUlT_E_NS1_11comp_targetILNS1_3genE2ELNS1_11target_archE906ELNS1_3gpuE6ELNS1_3repE0EEENS1_30default_config_static_selectorELNS0_4arch9wavefront6targetE0EEEvSP_ ; -- Begin function _ZN7rocprim17ROCPRIM_400000_NS6detail17trampoline_kernelINS0_14default_configENS1_29binary_search_config_selectorIxbEEZNS1_14transform_implILb0ES3_S5_N6thrust23THRUST_200600_302600_NS6detail15normal_iteratorINS8_10device_ptrIxEEEENSA_INSB_IbEEEEZNS1_13binary_searchIS3_S5_SD_SD_SF_NS1_16binary_search_opENS9_16wrapped_functionINS0_4lessIvEEbEEEE10hipError_tPvRmT1_T2_T3_mmT4_T5_P12ihipStream_tbEUlRKxE_EESM_SQ_SR_mSS_SV_bEUlT_E_NS1_11comp_targetILNS1_3genE2ELNS1_11target_archE906ELNS1_3gpuE6ELNS1_3repE0EEENS1_30default_config_static_selectorELNS0_4arch9wavefront6targetE0EEEvSP_
	.globl	_ZN7rocprim17ROCPRIM_400000_NS6detail17trampoline_kernelINS0_14default_configENS1_29binary_search_config_selectorIxbEEZNS1_14transform_implILb0ES3_S5_N6thrust23THRUST_200600_302600_NS6detail15normal_iteratorINS8_10device_ptrIxEEEENSA_INSB_IbEEEEZNS1_13binary_searchIS3_S5_SD_SD_SF_NS1_16binary_search_opENS9_16wrapped_functionINS0_4lessIvEEbEEEE10hipError_tPvRmT1_T2_T3_mmT4_T5_P12ihipStream_tbEUlRKxE_EESM_SQ_SR_mSS_SV_bEUlT_E_NS1_11comp_targetILNS1_3genE2ELNS1_11target_archE906ELNS1_3gpuE6ELNS1_3repE0EEENS1_30default_config_static_selectorELNS0_4arch9wavefront6targetE0EEEvSP_
	.p2align	8
	.type	_ZN7rocprim17ROCPRIM_400000_NS6detail17trampoline_kernelINS0_14default_configENS1_29binary_search_config_selectorIxbEEZNS1_14transform_implILb0ES3_S5_N6thrust23THRUST_200600_302600_NS6detail15normal_iteratorINS8_10device_ptrIxEEEENSA_INSB_IbEEEEZNS1_13binary_searchIS3_S5_SD_SD_SF_NS1_16binary_search_opENS9_16wrapped_functionINS0_4lessIvEEbEEEE10hipError_tPvRmT1_T2_T3_mmT4_T5_P12ihipStream_tbEUlRKxE_EESM_SQ_SR_mSS_SV_bEUlT_E_NS1_11comp_targetILNS1_3genE2ELNS1_11target_archE906ELNS1_3gpuE6ELNS1_3repE0EEENS1_30default_config_static_selectorELNS0_4arch9wavefront6targetE0EEEvSP_,@function
_ZN7rocprim17ROCPRIM_400000_NS6detail17trampoline_kernelINS0_14default_configENS1_29binary_search_config_selectorIxbEEZNS1_14transform_implILb0ES3_S5_N6thrust23THRUST_200600_302600_NS6detail15normal_iteratorINS8_10device_ptrIxEEEENSA_INSB_IbEEEEZNS1_13binary_searchIS3_S5_SD_SD_SF_NS1_16binary_search_opENS9_16wrapped_functionINS0_4lessIvEEbEEEE10hipError_tPvRmT1_T2_T3_mmT4_T5_P12ihipStream_tbEUlRKxE_EESM_SQ_SR_mSS_SV_bEUlT_E_NS1_11comp_targetILNS1_3genE2ELNS1_11target_archE906ELNS1_3gpuE6ELNS1_3repE0EEENS1_30default_config_static_selectorELNS0_4arch9wavefront6targetE0EEEvSP_: ; @_ZN7rocprim17ROCPRIM_400000_NS6detail17trampoline_kernelINS0_14default_configENS1_29binary_search_config_selectorIxbEEZNS1_14transform_implILb0ES3_S5_N6thrust23THRUST_200600_302600_NS6detail15normal_iteratorINS8_10device_ptrIxEEEENSA_INSB_IbEEEEZNS1_13binary_searchIS3_S5_SD_SD_SF_NS1_16binary_search_opENS9_16wrapped_functionINS0_4lessIvEEbEEEE10hipError_tPvRmT1_T2_T3_mmT4_T5_P12ihipStream_tbEUlRKxE_EESM_SQ_SR_mSS_SV_bEUlT_E_NS1_11comp_targetILNS1_3genE2ELNS1_11target_archE906ELNS1_3gpuE6ELNS1_3repE0EEENS1_30default_config_static_selectorELNS0_4arch9wavefront6targetE0EEEvSP_
; %bb.0:
	.section	.rodata,"a",@progbits
	.p2align	6, 0x0
	.amdhsa_kernel _ZN7rocprim17ROCPRIM_400000_NS6detail17trampoline_kernelINS0_14default_configENS1_29binary_search_config_selectorIxbEEZNS1_14transform_implILb0ES3_S5_N6thrust23THRUST_200600_302600_NS6detail15normal_iteratorINS8_10device_ptrIxEEEENSA_INSB_IbEEEEZNS1_13binary_searchIS3_S5_SD_SD_SF_NS1_16binary_search_opENS9_16wrapped_functionINS0_4lessIvEEbEEEE10hipError_tPvRmT1_T2_T3_mmT4_T5_P12ihipStream_tbEUlRKxE_EESM_SQ_SR_mSS_SV_bEUlT_E_NS1_11comp_targetILNS1_3genE2ELNS1_11target_archE906ELNS1_3gpuE6ELNS1_3repE0EEENS1_30default_config_static_selectorELNS0_4arch9wavefront6targetE0EEEvSP_
		.amdhsa_group_segment_fixed_size 0
		.amdhsa_private_segment_fixed_size 0
		.amdhsa_kernarg_size 56
		.amdhsa_user_sgpr_count 15
		.amdhsa_user_sgpr_dispatch_ptr 0
		.amdhsa_user_sgpr_queue_ptr 0
		.amdhsa_user_sgpr_kernarg_segment_ptr 1
		.amdhsa_user_sgpr_dispatch_id 0
		.amdhsa_user_sgpr_private_segment_size 0
		.amdhsa_wavefront_size32 1
		.amdhsa_uses_dynamic_stack 0
		.amdhsa_enable_private_segment 0
		.amdhsa_system_sgpr_workgroup_id_x 1
		.amdhsa_system_sgpr_workgroup_id_y 0
		.amdhsa_system_sgpr_workgroup_id_z 0
		.amdhsa_system_sgpr_workgroup_info 0
		.amdhsa_system_vgpr_workitem_id 0
		.amdhsa_next_free_vgpr 1
		.amdhsa_next_free_sgpr 1
		.amdhsa_reserve_vcc 0
		.amdhsa_float_round_mode_32 0
		.amdhsa_float_round_mode_16_64 0
		.amdhsa_float_denorm_mode_32 3
		.amdhsa_float_denorm_mode_16_64 3
		.amdhsa_dx10_clamp 1
		.amdhsa_ieee_mode 1
		.amdhsa_fp16_overflow 0
		.amdhsa_workgroup_processor_mode 1
		.amdhsa_memory_ordered 1
		.amdhsa_forward_progress 0
		.amdhsa_shared_vgpr_count 0
		.amdhsa_exception_fp_ieee_invalid_op 0
		.amdhsa_exception_fp_denorm_src 0
		.amdhsa_exception_fp_ieee_div_zero 0
		.amdhsa_exception_fp_ieee_overflow 0
		.amdhsa_exception_fp_ieee_underflow 0
		.amdhsa_exception_fp_ieee_inexact 0
		.amdhsa_exception_int_div_zero 0
	.end_amdhsa_kernel
	.section	.text._ZN7rocprim17ROCPRIM_400000_NS6detail17trampoline_kernelINS0_14default_configENS1_29binary_search_config_selectorIxbEEZNS1_14transform_implILb0ES3_S5_N6thrust23THRUST_200600_302600_NS6detail15normal_iteratorINS8_10device_ptrIxEEEENSA_INSB_IbEEEEZNS1_13binary_searchIS3_S5_SD_SD_SF_NS1_16binary_search_opENS9_16wrapped_functionINS0_4lessIvEEbEEEE10hipError_tPvRmT1_T2_T3_mmT4_T5_P12ihipStream_tbEUlRKxE_EESM_SQ_SR_mSS_SV_bEUlT_E_NS1_11comp_targetILNS1_3genE2ELNS1_11target_archE906ELNS1_3gpuE6ELNS1_3repE0EEENS1_30default_config_static_selectorELNS0_4arch9wavefront6targetE0EEEvSP_,"axG",@progbits,_ZN7rocprim17ROCPRIM_400000_NS6detail17trampoline_kernelINS0_14default_configENS1_29binary_search_config_selectorIxbEEZNS1_14transform_implILb0ES3_S5_N6thrust23THRUST_200600_302600_NS6detail15normal_iteratorINS8_10device_ptrIxEEEENSA_INSB_IbEEEEZNS1_13binary_searchIS3_S5_SD_SD_SF_NS1_16binary_search_opENS9_16wrapped_functionINS0_4lessIvEEbEEEE10hipError_tPvRmT1_T2_T3_mmT4_T5_P12ihipStream_tbEUlRKxE_EESM_SQ_SR_mSS_SV_bEUlT_E_NS1_11comp_targetILNS1_3genE2ELNS1_11target_archE906ELNS1_3gpuE6ELNS1_3repE0EEENS1_30default_config_static_selectorELNS0_4arch9wavefront6targetE0EEEvSP_,comdat
.Lfunc_end496:
	.size	_ZN7rocprim17ROCPRIM_400000_NS6detail17trampoline_kernelINS0_14default_configENS1_29binary_search_config_selectorIxbEEZNS1_14transform_implILb0ES3_S5_N6thrust23THRUST_200600_302600_NS6detail15normal_iteratorINS8_10device_ptrIxEEEENSA_INSB_IbEEEEZNS1_13binary_searchIS3_S5_SD_SD_SF_NS1_16binary_search_opENS9_16wrapped_functionINS0_4lessIvEEbEEEE10hipError_tPvRmT1_T2_T3_mmT4_T5_P12ihipStream_tbEUlRKxE_EESM_SQ_SR_mSS_SV_bEUlT_E_NS1_11comp_targetILNS1_3genE2ELNS1_11target_archE906ELNS1_3gpuE6ELNS1_3repE0EEENS1_30default_config_static_selectorELNS0_4arch9wavefront6targetE0EEEvSP_, .Lfunc_end496-_ZN7rocprim17ROCPRIM_400000_NS6detail17trampoline_kernelINS0_14default_configENS1_29binary_search_config_selectorIxbEEZNS1_14transform_implILb0ES3_S5_N6thrust23THRUST_200600_302600_NS6detail15normal_iteratorINS8_10device_ptrIxEEEENSA_INSB_IbEEEEZNS1_13binary_searchIS3_S5_SD_SD_SF_NS1_16binary_search_opENS9_16wrapped_functionINS0_4lessIvEEbEEEE10hipError_tPvRmT1_T2_T3_mmT4_T5_P12ihipStream_tbEUlRKxE_EESM_SQ_SR_mSS_SV_bEUlT_E_NS1_11comp_targetILNS1_3genE2ELNS1_11target_archE906ELNS1_3gpuE6ELNS1_3repE0EEENS1_30default_config_static_selectorELNS0_4arch9wavefront6targetE0EEEvSP_
                                        ; -- End function
	.section	.AMDGPU.csdata,"",@progbits
; Kernel info:
; codeLenInByte = 0
; NumSgprs: 0
; NumVgprs: 0
; ScratchSize: 0
; MemoryBound: 0
; FloatMode: 240
; IeeeMode: 1
; LDSByteSize: 0 bytes/workgroup (compile time only)
; SGPRBlocks: 0
; VGPRBlocks: 0
; NumSGPRsForWavesPerEU: 1
; NumVGPRsForWavesPerEU: 1
; Occupancy: 16
; WaveLimiterHint : 0
; COMPUTE_PGM_RSRC2:SCRATCH_EN: 0
; COMPUTE_PGM_RSRC2:USER_SGPR: 15
; COMPUTE_PGM_RSRC2:TRAP_HANDLER: 0
; COMPUTE_PGM_RSRC2:TGID_X_EN: 1
; COMPUTE_PGM_RSRC2:TGID_Y_EN: 0
; COMPUTE_PGM_RSRC2:TGID_Z_EN: 0
; COMPUTE_PGM_RSRC2:TIDIG_COMP_CNT: 0
	.section	.text._ZN7rocprim17ROCPRIM_400000_NS6detail17trampoline_kernelINS0_14default_configENS1_29binary_search_config_selectorIxbEEZNS1_14transform_implILb0ES3_S5_N6thrust23THRUST_200600_302600_NS6detail15normal_iteratorINS8_10device_ptrIxEEEENSA_INSB_IbEEEEZNS1_13binary_searchIS3_S5_SD_SD_SF_NS1_16binary_search_opENS9_16wrapped_functionINS0_4lessIvEEbEEEE10hipError_tPvRmT1_T2_T3_mmT4_T5_P12ihipStream_tbEUlRKxE_EESM_SQ_SR_mSS_SV_bEUlT_E_NS1_11comp_targetILNS1_3genE10ELNS1_11target_archE1201ELNS1_3gpuE5ELNS1_3repE0EEENS1_30default_config_static_selectorELNS0_4arch9wavefront6targetE0EEEvSP_,"axG",@progbits,_ZN7rocprim17ROCPRIM_400000_NS6detail17trampoline_kernelINS0_14default_configENS1_29binary_search_config_selectorIxbEEZNS1_14transform_implILb0ES3_S5_N6thrust23THRUST_200600_302600_NS6detail15normal_iteratorINS8_10device_ptrIxEEEENSA_INSB_IbEEEEZNS1_13binary_searchIS3_S5_SD_SD_SF_NS1_16binary_search_opENS9_16wrapped_functionINS0_4lessIvEEbEEEE10hipError_tPvRmT1_T2_T3_mmT4_T5_P12ihipStream_tbEUlRKxE_EESM_SQ_SR_mSS_SV_bEUlT_E_NS1_11comp_targetILNS1_3genE10ELNS1_11target_archE1201ELNS1_3gpuE5ELNS1_3repE0EEENS1_30default_config_static_selectorELNS0_4arch9wavefront6targetE0EEEvSP_,comdat
	.protected	_ZN7rocprim17ROCPRIM_400000_NS6detail17trampoline_kernelINS0_14default_configENS1_29binary_search_config_selectorIxbEEZNS1_14transform_implILb0ES3_S5_N6thrust23THRUST_200600_302600_NS6detail15normal_iteratorINS8_10device_ptrIxEEEENSA_INSB_IbEEEEZNS1_13binary_searchIS3_S5_SD_SD_SF_NS1_16binary_search_opENS9_16wrapped_functionINS0_4lessIvEEbEEEE10hipError_tPvRmT1_T2_T3_mmT4_T5_P12ihipStream_tbEUlRKxE_EESM_SQ_SR_mSS_SV_bEUlT_E_NS1_11comp_targetILNS1_3genE10ELNS1_11target_archE1201ELNS1_3gpuE5ELNS1_3repE0EEENS1_30default_config_static_selectorELNS0_4arch9wavefront6targetE0EEEvSP_ ; -- Begin function _ZN7rocprim17ROCPRIM_400000_NS6detail17trampoline_kernelINS0_14default_configENS1_29binary_search_config_selectorIxbEEZNS1_14transform_implILb0ES3_S5_N6thrust23THRUST_200600_302600_NS6detail15normal_iteratorINS8_10device_ptrIxEEEENSA_INSB_IbEEEEZNS1_13binary_searchIS3_S5_SD_SD_SF_NS1_16binary_search_opENS9_16wrapped_functionINS0_4lessIvEEbEEEE10hipError_tPvRmT1_T2_T3_mmT4_T5_P12ihipStream_tbEUlRKxE_EESM_SQ_SR_mSS_SV_bEUlT_E_NS1_11comp_targetILNS1_3genE10ELNS1_11target_archE1201ELNS1_3gpuE5ELNS1_3repE0EEENS1_30default_config_static_selectorELNS0_4arch9wavefront6targetE0EEEvSP_
	.globl	_ZN7rocprim17ROCPRIM_400000_NS6detail17trampoline_kernelINS0_14default_configENS1_29binary_search_config_selectorIxbEEZNS1_14transform_implILb0ES3_S5_N6thrust23THRUST_200600_302600_NS6detail15normal_iteratorINS8_10device_ptrIxEEEENSA_INSB_IbEEEEZNS1_13binary_searchIS3_S5_SD_SD_SF_NS1_16binary_search_opENS9_16wrapped_functionINS0_4lessIvEEbEEEE10hipError_tPvRmT1_T2_T3_mmT4_T5_P12ihipStream_tbEUlRKxE_EESM_SQ_SR_mSS_SV_bEUlT_E_NS1_11comp_targetILNS1_3genE10ELNS1_11target_archE1201ELNS1_3gpuE5ELNS1_3repE0EEENS1_30default_config_static_selectorELNS0_4arch9wavefront6targetE0EEEvSP_
	.p2align	8
	.type	_ZN7rocprim17ROCPRIM_400000_NS6detail17trampoline_kernelINS0_14default_configENS1_29binary_search_config_selectorIxbEEZNS1_14transform_implILb0ES3_S5_N6thrust23THRUST_200600_302600_NS6detail15normal_iteratorINS8_10device_ptrIxEEEENSA_INSB_IbEEEEZNS1_13binary_searchIS3_S5_SD_SD_SF_NS1_16binary_search_opENS9_16wrapped_functionINS0_4lessIvEEbEEEE10hipError_tPvRmT1_T2_T3_mmT4_T5_P12ihipStream_tbEUlRKxE_EESM_SQ_SR_mSS_SV_bEUlT_E_NS1_11comp_targetILNS1_3genE10ELNS1_11target_archE1201ELNS1_3gpuE5ELNS1_3repE0EEENS1_30default_config_static_selectorELNS0_4arch9wavefront6targetE0EEEvSP_,@function
_ZN7rocprim17ROCPRIM_400000_NS6detail17trampoline_kernelINS0_14default_configENS1_29binary_search_config_selectorIxbEEZNS1_14transform_implILb0ES3_S5_N6thrust23THRUST_200600_302600_NS6detail15normal_iteratorINS8_10device_ptrIxEEEENSA_INSB_IbEEEEZNS1_13binary_searchIS3_S5_SD_SD_SF_NS1_16binary_search_opENS9_16wrapped_functionINS0_4lessIvEEbEEEE10hipError_tPvRmT1_T2_T3_mmT4_T5_P12ihipStream_tbEUlRKxE_EESM_SQ_SR_mSS_SV_bEUlT_E_NS1_11comp_targetILNS1_3genE10ELNS1_11target_archE1201ELNS1_3gpuE5ELNS1_3repE0EEENS1_30default_config_static_selectorELNS0_4arch9wavefront6targetE0EEEvSP_: ; @_ZN7rocprim17ROCPRIM_400000_NS6detail17trampoline_kernelINS0_14default_configENS1_29binary_search_config_selectorIxbEEZNS1_14transform_implILb0ES3_S5_N6thrust23THRUST_200600_302600_NS6detail15normal_iteratorINS8_10device_ptrIxEEEENSA_INSB_IbEEEEZNS1_13binary_searchIS3_S5_SD_SD_SF_NS1_16binary_search_opENS9_16wrapped_functionINS0_4lessIvEEbEEEE10hipError_tPvRmT1_T2_T3_mmT4_T5_P12ihipStream_tbEUlRKxE_EESM_SQ_SR_mSS_SV_bEUlT_E_NS1_11comp_targetILNS1_3genE10ELNS1_11target_archE1201ELNS1_3gpuE5ELNS1_3repE0EEENS1_30default_config_static_selectorELNS0_4arch9wavefront6targetE0EEEvSP_
; %bb.0:
	.section	.rodata,"a",@progbits
	.p2align	6, 0x0
	.amdhsa_kernel _ZN7rocprim17ROCPRIM_400000_NS6detail17trampoline_kernelINS0_14default_configENS1_29binary_search_config_selectorIxbEEZNS1_14transform_implILb0ES3_S5_N6thrust23THRUST_200600_302600_NS6detail15normal_iteratorINS8_10device_ptrIxEEEENSA_INSB_IbEEEEZNS1_13binary_searchIS3_S5_SD_SD_SF_NS1_16binary_search_opENS9_16wrapped_functionINS0_4lessIvEEbEEEE10hipError_tPvRmT1_T2_T3_mmT4_T5_P12ihipStream_tbEUlRKxE_EESM_SQ_SR_mSS_SV_bEUlT_E_NS1_11comp_targetILNS1_3genE10ELNS1_11target_archE1201ELNS1_3gpuE5ELNS1_3repE0EEENS1_30default_config_static_selectorELNS0_4arch9wavefront6targetE0EEEvSP_
		.amdhsa_group_segment_fixed_size 0
		.amdhsa_private_segment_fixed_size 0
		.amdhsa_kernarg_size 56
		.amdhsa_user_sgpr_count 15
		.amdhsa_user_sgpr_dispatch_ptr 0
		.amdhsa_user_sgpr_queue_ptr 0
		.amdhsa_user_sgpr_kernarg_segment_ptr 1
		.amdhsa_user_sgpr_dispatch_id 0
		.amdhsa_user_sgpr_private_segment_size 0
		.amdhsa_wavefront_size32 1
		.amdhsa_uses_dynamic_stack 0
		.amdhsa_enable_private_segment 0
		.amdhsa_system_sgpr_workgroup_id_x 1
		.amdhsa_system_sgpr_workgroup_id_y 0
		.amdhsa_system_sgpr_workgroup_id_z 0
		.amdhsa_system_sgpr_workgroup_info 0
		.amdhsa_system_vgpr_workitem_id 0
		.amdhsa_next_free_vgpr 1
		.amdhsa_next_free_sgpr 1
		.amdhsa_reserve_vcc 0
		.amdhsa_float_round_mode_32 0
		.amdhsa_float_round_mode_16_64 0
		.amdhsa_float_denorm_mode_32 3
		.amdhsa_float_denorm_mode_16_64 3
		.amdhsa_dx10_clamp 1
		.amdhsa_ieee_mode 1
		.amdhsa_fp16_overflow 0
		.amdhsa_workgroup_processor_mode 1
		.amdhsa_memory_ordered 1
		.amdhsa_forward_progress 0
		.amdhsa_shared_vgpr_count 0
		.amdhsa_exception_fp_ieee_invalid_op 0
		.amdhsa_exception_fp_denorm_src 0
		.amdhsa_exception_fp_ieee_div_zero 0
		.amdhsa_exception_fp_ieee_overflow 0
		.amdhsa_exception_fp_ieee_underflow 0
		.amdhsa_exception_fp_ieee_inexact 0
		.amdhsa_exception_int_div_zero 0
	.end_amdhsa_kernel
	.section	.text._ZN7rocprim17ROCPRIM_400000_NS6detail17trampoline_kernelINS0_14default_configENS1_29binary_search_config_selectorIxbEEZNS1_14transform_implILb0ES3_S5_N6thrust23THRUST_200600_302600_NS6detail15normal_iteratorINS8_10device_ptrIxEEEENSA_INSB_IbEEEEZNS1_13binary_searchIS3_S5_SD_SD_SF_NS1_16binary_search_opENS9_16wrapped_functionINS0_4lessIvEEbEEEE10hipError_tPvRmT1_T2_T3_mmT4_T5_P12ihipStream_tbEUlRKxE_EESM_SQ_SR_mSS_SV_bEUlT_E_NS1_11comp_targetILNS1_3genE10ELNS1_11target_archE1201ELNS1_3gpuE5ELNS1_3repE0EEENS1_30default_config_static_selectorELNS0_4arch9wavefront6targetE0EEEvSP_,"axG",@progbits,_ZN7rocprim17ROCPRIM_400000_NS6detail17trampoline_kernelINS0_14default_configENS1_29binary_search_config_selectorIxbEEZNS1_14transform_implILb0ES3_S5_N6thrust23THRUST_200600_302600_NS6detail15normal_iteratorINS8_10device_ptrIxEEEENSA_INSB_IbEEEEZNS1_13binary_searchIS3_S5_SD_SD_SF_NS1_16binary_search_opENS9_16wrapped_functionINS0_4lessIvEEbEEEE10hipError_tPvRmT1_T2_T3_mmT4_T5_P12ihipStream_tbEUlRKxE_EESM_SQ_SR_mSS_SV_bEUlT_E_NS1_11comp_targetILNS1_3genE10ELNS1_11target_archE1201ELNS1_3gpuE5ELNS1_3repE0EEENS1_30default_config_static_selectorELNS0_4arch9wavefront6targetE0EEEvSP_,comdat
.Lfunc_end497:
	.size	_ZN7rocprim17ROCPRIM_400000_NS6detail17trampoline_kernelINS0_14default_configENS1_29binary_search_config_selectorIxbEEZNS1_14transform_implILb0ES3_S5_N6thrust23THRUST_200600_302600_NS6detail15normal_iteratorINS8_10device_ptrIxEEEENSA_INSB_IbEEEEZNS1_13binary_searchIS3_S5_SD_SD_SF_NS1_16binary_search_opENS9_16wrapped_functionINS0_4lessIvEEbEEEE10hipError_tPvRmT1_T2_T3_mmT4_T5_P12ihipStream_tbEUlRKxE_EESM_SQ_SR_mSS_SV_bEUlT_E_NS1_11comp_targetILNS1_3genE10ELNS1_11target_archE1201ELNS1_3gpuE5ELNS1_3repE0EEENS1_30default_config_static_selectorELNS0_4arch9wavefront6targetE0EEEvSP_, .Lfunc_end497-_ZN7rocprim17ROCPRIM_400000_NS6detail17trampoline_kernelINS0_14default_configENS1_29binary_search_config_selectorIxbEEZNS1_14transform_implILb0ES3_S5_N6thrust23THRUST_200600_302600_NS6detail15normal_iteratorINS8_10device_ptrIxEEEENSA_INSB_IbEEEEZNS1_13binary_searchIS3_S5_SD_SD_SF_NS1_16binary_search_opENS9_16wrapped_functionINS0_4lessIvEEbEEEE10hipError_tPvRmT1_T2_T3_mmT4_T5_P12ihipStream_tbEUlRKxE_EESM_SQ_SR_mSS_SV_bEUlT_E_NS1_11comp_targetILNS1_3genE10ELNS1_11target_archE1201ELNS1_3gpuE5ELNS1_3repE0EEENS1_30default_config_static_selectorELNS0_4arch9wavefront6targetE0EEEvSP_
                                        ; -- End function
	.section	.AMDGPU.csdata,"",@progbits
; Kernel info:
; codeLenInByte = 0
; NumSgprs: 0
; NumVgprs: 0
; ScratchSize: 0
; MemoryBound: 0
; FloatMode: 240
; IeeeMode: 1
; LDSByteSize: 0 bytes/workgroup (compile time only)
; SGPRBlocks: 0
; VGPRBlocks: 0
; NumSGPRsForWavesPerEU: 1
; NumVGPRsForWavesPerEU: 1
; Occupancy: 16
; WaveLimiterHint : 0
; COMPUTE_PGM_RSRC2:SCRATCH_EN: 0
; COMPUTE_PGM_RSRC2:USER_SGPR: 15
; COMPUTE_PGM_RSRC2:TRAP_HANDLER: 0
; COMPUTE_PGM_RSRC2:TGID_X_EN: 1
; COMPUTE_PGM_RSRC2:TGID_Y_EN: 0
; COMPUTE_PGM_RSRC2:TGID_Z_EN: 0
; COMPUTE_PGM_RSRC2:TIDIG_COMP_CNT: 0
	.section	.text._ZN7rocprim17ROCPRIM_400000_NS6detail17trampoline_kernelINS0_14default_configENS1_29binary_search_config_selectorIxbEEZNS1_14transform_implILb0ES3_S5_N6thrust23THRUST_200600_302600_NS6detail15normal_iteratorINS8_10device_ptrIxEEEENSA_INSB_IbEEEEZNS1_13binary_searchIS3_S5_SD_SD_SF_NS1_16binary_search_opENS9_16wrapped_functionINS0_4lessIvEEbEEEE10hipError_tPvRmT1_T2_T3_mmT4_T5_P12ihipStream_tbEUlRKxE_EESM_SQ_SR_mSS_SV_bEUlT_E_NS1_11comp_targetILNS1_3genE10ELNS1_11target_archE1200ELNS1_3gpuE4ELNS1_3repE0EEENS1_30default_config_static_selectorELNS0_4arch9wavefront6targetE0EEEvSP_,"axG",@progbits,_ZN7rocprim17ROCPRIM_400000_NS6detail17trampoline_kernelINS0_14default_configENS1_29binary_search_config_selectorIxbEEZNS1_14transform_implILb0ES3_S5_N6thrust23THRUST_200600_302600_NS6detail15normal_iteratorINS8_10device_ptrIxEEEENSA_INSB_IbEEEEZNS1_13binary_searchIS3_S5_SD_SD_SF_NS1_16binary_search_opENS9_16wrapped_functionINS0_4lessIvEEbEEEE10hipError_tPvRmT1_T2_T3_mmT4_T5_P12ihipStream_tbEUlRKxE_EESM_SQ_SR_mSS_SV_bEUlT_E_NS1_11comp_targetILNS1_3genE10ELNS1_11target_archE1200ELNS1_3gpuE4ELNS1_3repE0EEENS1_30default_config_static_selectorELNS0_4arch9wavefront6targetE0EEEvSP_,comdat
	.protected	_ZN7rocprim17ROCPRIM_400000_NS6detail17trampoline_kernelINS0_14default_configENS1_29binary_search_config_selectorIxbEEZNS1_14transform_implILb0ES3_S5_N6thrust23THRUST_200600_302600_NS6detail15normal_iteratorINS8_10device_ptrIxEEEENSA_INSB_IbEEEEZNS1_13binary_searchIS3_S5_SD_SD_SF_NS1_16binary_search_opENS9_16wrapped_functionINS0_4lessIvEEbEEEE10hipError_tPvRmT1_T2_T3_mmT4_T5_P12ihipStream_tbEUlRKxE_EESM_SQ_SR_mSS_SV_bEUlT_E_NS1_11comp_targetILNS1_3genE10ELNS1_11target_archE1200ELNS1_3gpuE4ELNS1_3repE0EEENS1_30default_config_static_selectorELNS0_4arch9wavefront6targetE0EEEvSP_ ; -- Begin function _ZN7rocprim17ROCPRIM_400000_NS6detail17trampoline_kernelINS0_14default_configENS1_29binary_search_config_selectorIxbEEZNS1_14transform_implILb0ES3_S5_N6thrust23THRUST_200600_302600_NS6detail15normal_iteratorINS8_10device_ptrIxEEEENSA_INSB_IbEEEEZNS1_13binary_searchIS3_S5_SD_SD_SF_NS1_16binary_search_opENS9_16wrapped_functionINS0_4lessIvEEbEEEE10hipError_tPvRmT1_T2_T3_mmT4_T5_P12ihipStream_tbEUlRKxE_EESM_SQ_SR_mSS_SV_bEUlT_E_NS1_11comp_targetILNS1_3genE10ELNS1_11target_archE1200ELNS1_3gpuE4ELNS1_3repE0EEENS1_30default_config_static_selectorELNS0_4arch9wavefront6targetE0EEEvSP_
	.globl	_ZN7rocprim17ROCPRIM_400000_NS6detail17trampoline_kernelINS0_14default_configENS1_29binary_search_config_selectorIxbEEZNS1_14transform_implILb0ES3_S5_N6thrust23THRUST_200600_302600_NS6detail15normal_iteratorINS8_10device_ptrIxEEEENSA_INSB_IbEEEEZNS1_13binary_searchIS3_S5_SD_SD_SF_NS1_16binary_search_opENS9_16wrapped_functionINS0_4lessIvEEbEEEE10hipError_tPvRmT1_T2_T3_mmT4_T5_P12ihipStream_tbEUlRKxE_EESM_SQ_SR_mSS_SV_bEUlT_E_NS1_11comp_targetILNS1_3genE10ELNS1_11target_archE1200ELNS1_3gpuE4ELNS1_3repE0EEENS1_30default_config_static_selectorELNS0_4arch9wavefront6targetE0EEEvSP_
	.p2align	8
	.type	_ZN7rocprim17ROCPRIM_400000_NS6detail17trampoline_kernelINS0_14default_configENS1_29binary_search_config_selectorIxbEEZNS1_14transform_implILb0ES3_S5_N6thrust23THRUST_200600_302600_NS6detail15normal_iteratorINS8_10device_ptrIxEEEENSA_INSB_IbEEEEZNS1_13binary_searchIS3_S5_SD_SD_SF_NS1_16binary_search_opENS9_16wrapped_functionINS0_4lessIvEEbEEEE10hipError_tPvRmT1_T2_T3_mmT4_T5_P12ihipStream_tbEUlRKxE_EESM_SQ_SR_mSS_SV_bEUlT_E_NS1_11comp_targetILNS1_3genE10ELNS1_11target_archE1200ELNS1_3gpuE4ELNS1_3repE0EEENS1_30default_config_static_selectorELNS0_4arch9wavefront6targetE0EEEvSP_,@function
_ZN7rocprim17ROCPRIM_400000_NS6detail17trampoline_kernelINS0_14default_configENS1_29binary_search_config_selectorIxbEEZNS1_14transform_implILb0ES3_S5_N6thrust23THRUST_200600_302600_NS6detail15normal_iteratorINS8_10device_ptrIxEEEENSA_INSB_IbEEEEZNS1_13binary_searchIS3_S5_SD_SD_SF_NS1_16binary_search_opENS9_16wrapped_functionINS0_4lessIvEEbEEEE10hipError_tPvRmT1_T2_T3_mmT4_T5_P12ihipStream_tbEUlRKxE_EESM_SQ_SR_mSS_SV_bEUlT_E_NS1_11comp_targetILNS1_3genE10ELNS1_11target_archE1200ELNS1_3gpuE4ELNS1_3repE0EEENS1_30default_config_static_selectorELNS0_4arch9wavefront6targetE0EEEvSP_: ; @_ZN7rocprim17ROCPRIM_400000_NS6detail17trampoline_kernelINS0_14default_configENS1_29binary_search_config_selectorIxbEEZNS1_14transform_implILb0ES3_S5_N6thrust23THRUST_200600_302600_NS6detail15normal_iteratorINS8_10device_ptrIxEEEENSA_INSB_IbEEEEZNS1_13binary_searchIS3_S5_SD_SD_SF_NS1_16binary_search_opENS9_16wrapped_functionINS0_4lessIvEEbEEEE10hipError_tPvRmT1_T2_T3_mmT4_T5_P12ihipStream_tbEUlRKxE_EESM_SQ_SR_mSS_SV_bEUlT_E_NS1_11comp_targetILNS1_3genE10ELNS1_11target_archE1200ELNS1_3gpuE4ELNS1_3repE0EEENS1_30default_config_static_selectorELNS0_4arch9wavefront6targetE0EEEvSP_
; %bb.0:
	.section	.rodata,"a",@progbits
	.p2align	6, 0x0
	.amdhsa_kernel _ZN7rocprim17ROCPRIM_400000_NS6detail17trampoline_kernelINS0_14default_configENS1_29binary_search_config_selectorIxbEEZNS1_14transform_implILb0ES3_S5_N6thrust23THRUST_200600_302600_NS6detail15normal_iteratorINS8_10device_ptrIxEEEENSA_INSB_IbEEEEZNS1_13binary_searchIS3_S5_SD_SD_SF_NS1_16binary_search_opENS9_16wrapped_functionINS0_4lessIvEEbEEEE10hipError_tPvRmT1_T2_T3_mmT4_T5_P12ihipStream_tbEUlRKxE_EESM_SQ_SR_mSS_SV_bEUlT_E_NS1_11comp_targetILNS1_3genE10ELNS1_11target_archE1200ELNS1_3gpuE4ELNS1_3repE0EEENS1_30default_config_static_selectorELNS0_4arch9wavefront6targetE0EEEvSP_
		.amdhsa_group_segment_fixed_size 0
		.amdhsa_private_segment_fixed_size 0
		.amdhsa_kernarg_size 56
		.amdhsa_user_sgpr_count 15
		.amdhsa_user_sgpr_dispatch_ptr 0
		.amdhsa_user_sgpr_queue_ptr 0
		.amdhsa_user_sgpr_kernarg_segment_ptr 1
		.amdhsa_user_sgpr_dispatch_id 0
		.amdhsa_user_sgpr_private_segment_size 0
		.amdhsa_wavefront_size32 1
		.amdhsa_uses_dynamic_stack 0
		.amdhsa_enable_private_segment 0
		.amdhsa_system_sgpr_workgroup_id_x 1
		.amdhsa_system_sgpr_workgroup_id_y 0
		.amdhsa_system_sgpr_workgroup_id_z 0
		.amdhsa_system_sgpr_workgroup_info 0
		.amdhsa_system_vgpr_workitem_id 0
		.amdhsa_next_free_vgpr 1
		.amdhsa_next_free_sgpr 1
		.amdhsa_reserve_vcc 0
		.amdhsa_float_round_mode_32 0
		.amdhsa_float_round_mode_16_64 0
		.amdhsa_float_denorm_mode_32 3
		.amdhsa_float_denorm_mode_16_64 3
		.amdhsa_dx10_clamp 1
		.amdhsa_ieee_mode 1
		.amdhsa_fp16_overflow 0
		.amdhsa_workgroup_processor_mode 1
		.amdhsa_memory_ordered 1
		.amdhsa_forward_progress 0
		.amdhsa_shared_vgpr_count 0
		.amdhsa_exception_fp_ieee_invalid_op 0
		.amdhsa_exception_fp_denorm_src 0
		.amdhsa_exception_fp_ieee_div_zero 0
		.amdhsa_exception_fp_ieee_overflow 0
		.amdhsa_exception_fp_ieee_underflow 0
		.amdhsa_exception_fp_ieee_inexact 0
		.amdhsa_exception_int_div_zero 0
	.end_amdhsa_kernel
	.section	.text._ZN7rocprim17ROCPRIM_400000_NS6detail17trampoline_kernelINS0_14default_configENS1_29binary_search_config_selectorIxbEEZNS1_14transform_implILb0ES3_S5_N6thrust23THRUST_200600_302600_NS6detail15normal_iteratorINS8_10device_ptrIxEEEENSA_INSB_IbEEEEZNS1_13binary_searchIS3_S5_SD_SD_SF_NS1_16binary_search_opENS9_16wrapped_functionINS0_4lessIvEEbEEEE10hipError_tPvRmT1_T2_T3_mmT4_T5_P12ihipStream_tbEUlRKxE_EESM_SQ_SR_mSS_SV_bEUlT_E_NS1_11comp_targetILNS1_3genE10ELNS1_11target_archE1200ELNS1_3gpuE4ELNS1_3repE0EEENS1_30default_config_static_selectorELNS0_4arch9wavefront6targetE0EEEvSP_,"axG",@progbits,_ZN7rocprim17ROCPRIM_400000_NS6detail17trampoline_kernelINS0_14default_configENS1_29binary_search_config_selectorIxbEEZNS1_14transform_implILb0ES3_S5_N6thrust23THRUST_200600_302600_NS6detail15normal_iteratorINS8_10device_ptrIxEEEENSA_INSB_IbEEEEZNS1_13binary_searchIS3_S5_SD_SD_SF_NS1_16binary_search_opENS9_16wrapped_functionINS0_4lessIvEEbEEEE10hipError_tPvRmT1_T2_T3_mmT4_T5_P12ihipStream_tbEUlRKxE_EESM_SQ_SR_mSS_SV_bEUlT_E_NS1_11comp_targetILNS1_3genE10ELNS1_11target_archE1200ELNS1_3gpuE4ELNS1_3repE0EEENS1_30default_config_static_selectorELNS0_4arch9wavefront6targetE0EEEvSP_,comdat
.Lfunc_end498:
	.size	_ZN7rocprim17ROCPRIM_400000_NS6detail17trampoline_kernelINS0_14default_configENS1_29binary_search_config_selectorIxbEEZNS1_14transform_implILb0ES3_S5_N6thrust23THRUST_200600_302600_NS6detail15normal_iteratorINS8_10device_ptrIxEEEENSA_INSB_IbEEEEZNS1_13binary_searchIS3_S5_SD_SD_SF_NS1_16binary_search_opENS9_16wrapped_functionINS0_4lessIvEEbEEEE10hipError_tPvRmT1_T2_T3_mmT4_T5_P12ihipStream_tbEUlRKxE_EESM_SQ_SR_mSS_SV_bEUlT_E_NS1_11comp_targetILNS1_3genE10ELNS1_11target_archE1200ELNS1_3gpuE4ELNS1_3repE0EEENS1_30default_config_static_selectorELNS0_4arch9wavefront6targetE0EEEvSP_, .Lfunc_end498-_ZN7rocprim17ROCPRIM_400000_NS6detail17trampoline_kernelINS0_14default_configENS1_29binary_search_config_selectorIxbEEZNS1_14transform_implILb0ES3_S5_N6thrust23THRUST_200600_302600_NS6detail15normal_iteratorINS8_10device_ptrIxEEEENSA_INSB_IbEEEEZNS1_13binary_searchIS3_S5_SD_SD_SF_NS1_16binary_search_opENS9_16wrapped_functionINS0_4lessIvEEbEEEE10hipError_tPvRmT1_T2_T3_mmT4_T5_P12ihipStream_tbEUlRKxE_EESM_SQ_SR_mSS_SV_bEUlT_E_NS1_11comp_targetILNS1_3genE10ELNS1_11target_archE1200ELNS1_3gpuE4ELNS1_3repE0EEENS1_30default_config_static_selectorELNS0_4arch9wavefront6targetE0EEEvSP_
                                        ; -- End function
	.section	.AMDGPU.csdata,"",@progbits
; Kernel info:
; codeLenInByte = 0
; NumSgprs: 0
; NumVgprs: 0
; ScratchSize: 0
; MemoryBound: 0
; FloatMode: 240
; IeeeMode: 1
; LDSByteSize: 0 bytes/workgroup (compile time only)
; SGPRBlocks: 0
; VGPRBlocks: 0
; NumSGPRsForWavesPerEU: 1
; NumVGPRsForWavesPerEU: 1
; Occupancy: 16
; WaveLimiterHint : 0
; COMPUTE_PGM_RSRC2:SCRATCH_EN: 0
; COMPUTE_PGM_RSRC2:USER_SGPR: 15
; COMPUTE_PGM_RSRC2:TRAP_HANDLER: 0
; COMPUTE_PGM_RSRC2:TGID_X_EN: 1
; COMPUTE_PGM_RSRC2:TGID_Y_EN: 0
; COMPUTE_PGM_RSRC2:TGID_Z_EN: 0
; COMPUTE_PGM_RSRC2:TIDIG_COMP_CNT: 0
	.section	.text._ZN7rocprim17ROCPRIM_400000_NS6detail17trampoline_kernelINS0_14default_configENS1_29binary_search_config_selectorIxbEEZNS1_14transform_implILb0ES3_S5_N6thrust23THRUST_200600_302600_NS6detail15normal_iteratorINS8_10device_ptrIxEEEENSA_INSB_IbEEEEZNS1_13binary_searchIS3_S5_SD_SD_SF_NS1_16binary_search_opENS9_16wrapped_functionINS0_4lessIvEEbEEEE10hipError_tPvRmT1_T2_T3_mmT4_T5_P12ihipStream_tbEUlRKxE_EESM_SQ_SR_mSS_SV_bEUlT_E_NS1_11comp_targetILNS1_3genE9ELNS1_11target_archE1100ELNS1_3gpuE3ELNS1_3repE0EEENS1_30default_config_static_selectorELNS0_4arch9wavefront6targetE0EEEvSP_,"axG",@progbits,_ZN7rocprim17ROCPRIM_400000_NS6detail17trampoline_kernelINS0_14default_configENS1_29binary_search_config_selectorIxbEEZNS1_14transform_implILb0ES3_S5_N6thrust23THRUST_200600_302600_NS6detail15normal_iteratorINS8_10device_ptrIxEEEENSA_INSB_IbEEEEZNS1_13binary_searchIS3_S5_SD_SD_SF_NS1_16binary_search_opENS9_16wrapped_functionINS0_4lessIvEEbEEEE10hipError_tPvRmT1_T2_T3_mmT4_T5_P12ihipStream_tbEUlRKxE_EESM_SQ_SR_mSS_SV_bEUlT_E_NS1_11comp_targetILNS1_3genE9ELNS1_11target_archE1100ELNS1_3gpuE3ELNS1_3repE0EEENS1_30default_config_static_selectorELNS0_4arch9wavefront6targetE0EEEvSP_,comdat
	.protected	_ZN7rocprim17ROCPRIM_400000_NS6detail17trampoline_kernelINS0_14default_configENS1_29binary_search_config_selectorIxbEEZNS1_14transform_implILb0ES3_S5_N6thrust23THRUST_200600_302600_NS6detail15normal_iteratorINS8_10device_ptrIxEEEENSA_INSB_IbEEEEZNS1_13binary_searchIS3_S5_SD_SD_SF_NS1_16binary_search_opENS9_16wrapped_functionINS0_4lessIvEEbEEEE10hipError_tPvRmT1_T2_T3_mmT4_T5_P12ihipStream_tbEUlRKxE_EESM_SQ_SR_mSS_SV_bEUlT_E_NS1_11comp_targetILNS1_3genE9ELNS1_11target_archE1100ELNS1_3gpuE3ELNS1_3repE0EEENS1_30default_config_static_selectorELNS0_4arch9wavefront6targetE0EEEvSP_ ; -- Begin function _ZN7rocprim17ROCPRIM_400000_NS6detail17trampoline_kernelINS0_14default_configENS1_29binary_search_config_selectorIxbEEZNS1_14transform_implILb0ES3_S5_N6thrust23THRUST_200600_302600_NS6detail15normal_iteratorINS8_10device_ptrIxEEEENSA_INSB_IbEEEEZNS1_13binary_searchIS3_S5_SD_SD_SF_NS1_16binary_search_opENS9_16wrapped_functionINS0_4lessIvEEbEEEE10hipError_tPvRmT1_T2_T3_mmT4_T5_P12ihipStream_tbEUlRKxE_EESM_SQ_SR_mSS_SV_bEUlT_E_NS1_11comp_targetILNS1_3genE9ELNS1_11target_archE1100ELNS1_3gpuE3ELNS1_3repE0EEENS1_30default_config_static_selectorELNS0_4arch9wavefront6targetE0EEEvSP_
	.globl	_ZN7rocprim17ROCPRIM_400000_NS6detail17trampoline_kernelINS0_14default_configENS1_29binary_search_config_selectorIxbEEZNS1_14transform_implILb0ES3_S5_N6thrust23THRUST_200600_302600_NS6detail15normal_iteratorINS8_10device_ptrIxEEEENSA_INSB_IbEEEEZNS1_13binary_searchIS3_S5_SD_SD_SF_NS1_16binary_search_opENS9_16wrapped_functionINS0_4lessIvEEbEEEE10hipError_tPvRmT1_T2_T3_mmT4_T5_P12ihipStream_tbEUlRKxE_EESM_SQ_SR_mSS_SV_bEUlT_E_NS1_11comp_targetILNS1_3genE9ELNS1_11target_archE1100ELNS1_3gpuE3ELNS1_3repE0EEENS1_30default_config_static_selectorELNS0_4arch9wavefront6targetE0EEEvSP_
	.p2align	8
	.type	_ZN7rocprim17ROCPRIM_400000_NS6detail17trampoline_kernelINS0_14default_configENS1_29binary_search_config_selectorIxbEEZNS1_14transform_implILb0ES3_S5_N6thrust23THRUST_200600_302600_NS6detail15normal_iteratorINS8_10device_ptrIxEEEENSA_INSB_IbEEEEZNS1_13binary_searchIS3_S5_SD_SD_SF_NS1_16binary_search_opENS9_16wrapped_functionINS0_4lessIvEEbEEEE10hipError_tPvRmT1_T2_T3_mmT4_T5_P12ihipStream_tbEUlRKxE_EESM_SQ_SR_mSS_SV_bEUlT_E_NS1_11comp_targetILNS1_3genE9ELNS1_11target_archE1100ELNS1_3gpuE3ELNS1_3repE0EEENS1_30default_config_static_selectorELNS0_4arch9wavefront6targetE0EEEvSP_,@function
_ZN7rocprim17ROCPRIM_400000_NS6detail17trampoline_kernelINS0_14default_configENS1_29binary_search_config_selectorIxbEEZNS1_14transform_implILb0ES3_S5_N6thrust23THRUST_200600_302600_NS6detail15normal_iteratorINS8_10device_ptrIxEEEENSA_INSB_IbEEEEZNS1_13binary_searchIS3_S5_SD_SD_SF_NS1_16binary_search_opENS9_16wrapped_functionINS0_4lessIvEEbEEEE10hipError_tPvRmT1_T2_T3_mmT4_T5_P12ihipStream_tbEUlRKxE_EESM_SQ_SR_mSS_SV_bEUlT_E_NS1_11comp_targetILNS1_3genE9ELNS1_11target_archE1100ELNS1_3gpuE3ELNS1_3repE0EEENS1_30default_config_static_selectorELNS0_4arch9wavefront6targetE0EEEvSP_: ; @_ZN7rocprim17ROCPRIM_400000_NS6detail17trampoline_kernelINS0_14default_configENS1_29binary_search_config_selectorIxbEEZNS1_14transform_implILb0ES3_S5_N6thrust23THRUST_200600_302600_NS6detail15normal_iteratorINS8_10device_ptrIxEEEENSA_INSB_IbEEEEZNS1_13binary_searchIS3_S5_SD_SD_SF_NS1_16binary_search_opENS9_16wrapped_functionINS0_4lessIvEEbEEEE10hipError_tPvRmT1_T2_T3_mmT4_T5_P12ihipStream_tbEUlRKxE_EESM_SQ_SR_mSS_SV_bEUlT_E_NS1_11comp_targetILNS1_3genE9ELNS1_11target_archE1100ELNS1_3gpuE3ELNS1_3repE0EEENS1_30default_config_static_selectorELNS0_4arch9wavefront6targetE0EEEvSP_
; %bb.0:
	s_clause 0x2
	s_load_b256 s[4:11], s[0:1], 0x0
	s_load_b32 s2, s[0:1], 0x38
	s_load_b128 s[20:23], s[0:1], 0x20
	s_mov_b32 s19, 0
	s_waitcnt lgkmcnt(0)
	s_lshl_b64 s[0:1], s[6:7], 3
	s_delay_alu instid0(SALU_CYCLE_1)
	s_add_u32 s3, s4, s0
	s_addc_u32 s4, s5, s1
	s_add_u32 s17, s10, s6
	s_addc_u32 s24, s11, s7
	s_lshl_b32 s18, s15, 10
	s_add_i32 s2, s2, -1
	s_lshl_b64 s[0:1], s[18:19], 3
	s_delay_alu instid0(SALU_CYCLE_1)
	s_add_u32 s16, s3, s0
	s_addc_u32 s25, s4, s1
	s_cmp_lg_u32 s15, s2
	s_mov_b32 s0, -1
	s_cbranch_scc0 .LBB499_98
; %bb.1:
	v_lshlrev_b32_e32 v1, 3, v0
	s_cmp_lg_u64 s[22:23], 0
	s_mov_b32 s1, 0
	s_cselect_b32 s2, -1, 0
	s_cmp_eq_u64 s[22:23], 0
	v_add_co_u32 v1, s0, s16, v1
	s_delay_alu instid0(VALU_DEP_1)
	v_add_co_ci_u32_e64 v2, null, s25, 0, s0
	s_clause 0x3
	flat_load_b64 v[31:32], v[1:2]
	flat_load_b64 v[29:30], v[1:2] offset:512
	flat_load_b64 v[27:28], v[1:2] offset:1024
	flat_load_b64 v[25:26], v[1:2] offset:1536
	v_add_co_u32 v33, vcc_lo, 0x1000, v1
	v_add_co_ci_u32_e32 v34, vcc_lo, 0, v2, vcc_lo
	s_clause 0xb
	flat_load_b64 v[23:24], v[1:2] offset:2048
	flat_load_b64 v[21:22], v[1:2] offset:2560
	;; [unrolled: 1-line block ×4, first 2 shown]
	flat_load_b64 v[15:16], v[33:34]
	flat_load_b64 v[13:14], v[33:34] offset:512
	flat_load_b64 v[11:12], v[33:34] offset:1024
	;; [unrolled: 1-line block ×7, first 2 shown]
	v_mov_b32_e32 v33, 0
	v_mov_b32_e32 v34, 0
	s_cbranch_scc1 .LBB499_5
; %bb.2:
	v_dual_mov_b32 v33, 0 :: v_dual_mov_b32 v36, s23
	v_dual_mov_b32 v34, 0 :: v_dual_mov_b32 v35, s22
	s_set_inst_prefetch_distance 0x1
	.p2align	6
.LBB499_3:                              ; =>This Inner Loop Header: Depth=1
	s_delay_alu instid0(VALU_DEP_1) | instskip(NEXT) | instid1(VALU_DEP_2)
	v_sub_co_u32 v37, vcc_lo, v35, v33
	v_sub_co_ci_u32_e32 v38, vcc_lo, v36, v34, vcc_lo
	s_delay_alu instid0(VALU_DEP_1) | instskip(SKIP_1) | instid1(VALU_DEP_2)
	v_lshrrev_b64 v[39:40], 1, v[37:38]
	v_lshrrev_b64 v[37:38], 6, v[37:38]
	v_add_co_u32 v39, vcc_lo, v39, v33
	s_delay_alu instid0(VALU_DEP_3) | instskip(NEXT) | instid1(VALU_DEP_2)
	v_add_co_ci_u32_e32 v40, vcc_lo, v40, v34, vcc_lo
	v_add_co_u32 v37, vcc_lo, v39, v37
	s_delay_alu instid0(VALU_DEP_2) | instskip(NEXT) | instid1(VALU_DEP_1)
	v_add_co_ci_u32_e32 v38, vcc_lo, v40, v38, vcc_lo
	v_lshlrev_b64 v[39:40], 3, v[37:38]
	s_delay_alu instid0(VALU_DEP_1) | instskip(NEXT) | instid1(VALU_DEP_2)
	v_add_co_u32 v39, vcc_lo, s20, v39
	v_add_co_ci_u32_e32 v40, vcc_lo, s21, v40, vcc_lo
	v_add_co_u32 v41, vcc_lo, v37, 1
	global_load_b64 v[39:40], v[39:40], off
	s_waitcnt vmcnt(0) lgkmcnt(15)
	v_cmp_lt_i64_e64 s0, v[39:40], v[31:32]
	v_add_co_ci_u32_e32 v39, vcc_lo, 0, v38, vcc_lo
	s_delay_alu instid0(VALU_DEP_2) | instskip(SKIP_1) | instid1(VALU_DEP_3)
	v_cndmask_b32_e64 v36, v38, v36, s0
	v_cndmask_b32_e64 v35, v37, v35, s0
	;; [unrolled: 1-line block ×4, first 2 shown]
	s_delay_alu instid0(VALU_DEP_1) | instskip(SKIP_1) | instid1(SALU_CYCLE_1)
	v_cmp_ge_u64_e32 vcc_lo, v[33:34], v[35:36]
	s_or_b32 s1, vcc_lo, s1
	s_and_not1_b32 exec_lo, exec_lo, s1
	s_cbranch_execnz .LBB499_3
; %bb.4:
	s_set_inst_prefetch_distance 0x2
	s_or_b32 exec_lo, exec_lo, s1
.LBB499_5:
	s_mov_b32 s1, 0
	s_mov_b32 s0, exec_lo
	s_delay_alu instid0(VALU_DEP_1)
	v_cmpx_ne_u64_e64 s[22:23], v[33:34]
	s_cbranch_execz .LBB499_7
; %bb.6:
	v_lshlrev_b64 v[33:34], 3, v[33:34]
	s_delay_alu instid0(VALU_DEP_1) | instskip(NEXT) | instid1(VALU_DEP_2)
	v_add_co_u32 v33, vcc_lo, s20, v33
	v_add_co_ci_u32_e32 v34, vcc_lo, s21, v34, vcc_lo
	global_load_b64 v[33:34], v[33:34], off
	s_waitcnt vmcnt(0) lgkmcnt(15)
	v_cmp_le_i64_e32 vcc_lo, v[33:34], v[31:32]
	s_and_b32 s1, vcc_lo, exec_lo
.LBB499_7:
	s_or_b32 exec_lo, exec_lo, s0
	s_waitcnt vmcnt(15) lgkmcnt(15)
	v_mov_b32_e32 v31, 0
	v_cndmask_b32_e64 v35, 0, 1, s2
	v_mov_b32_e32 v32, 0
	s_and_not1_b32 vcc_lo, exec_lo, s2
	s_cbranch_vccnz .LBB499_11
; %bb.8:
	v_dual_mov_b32 v34, s23 :: v_dual_mov_b32 v33, s22
	s_mov_b32 s2, 0
	s_set_inst_prefetch_distance 0x1
	.p2align	6
.LBB499_9:                              ; =>This Inner Loop Header: Depth=1
	s_delay_alu instid0(VALU_DEP_1) | instskip(NEXT) | instid1(VALU_DEP_2)
	v_sub_co_u32 v36, vcc_lo, v33, v31
	v_sub_co_ci_u32_e32 v37, vcc_lo, v34, v32, vcc_lo
	s_delay_alu instid0(VALU_DEP_1) | instskip(SKIP_1) | instid1(VALU_DEP_2)
	v_lshrrev_b64 v[38:39], 1, v[36:37]
	v_lshrrev_b64 v[36:37], 6, v[36:37]
	v_add_co_u32 v38, vcc_lo, v38, v31
	s_delay_alu instid0(VALU_DEP_3) | instskip(NEXT) | instid1(VALU_DEP_2)
	v_add_co_ci_u32_e32 v39, vcc_lo, v39, v32, vcc_lo
	v_add_co_u32 v36, vcc_lo, v38, v36
	s_delay_alu instid0(VALU_DEP_2) | instskip(NEXT) | instid1(VALU_DEP_1)
	v_add_co_ci_u32_e32 v37, vcc_lo, v39, v37, vcc_lo
	v_lshlrev_b64 v[38:39], 3, v[36:37]
	s_delay_alu instid0(VALU_DEP_1) | instskip(NEXT) | instid1(VALU_DEP_2)
	v_add_co_u32 v38, vcc_lo, s20, v38
	v_add_co_ci_u32_e32 v39, vcc_lo, s21, v39, vcc_lo
	v_add_co_u32 v40, vcc_lo, v36, 1
	global_load_b64 v[38:39], v[38:39], off
	s_waitcnt vmcnt(0) lgkmcnt(14)
	v_cmp_lt_i64_e64 s0, v[38:39], v[29:30]
	v_add_co_ci_u32_e32 v38, vcc_lo, 0, v37, vcc_lo
	s_delay_alu instid0(VALU_DEP_2) | instskip(SKIP_1) | instid1(VALU_DEP_3)
	v_cndmask_b32_e64 v34, v37, v34, s0
	v_cndmask_b32_e64 v33, v36, v33, s0
	;; [unrolled: 1-line block ×4, first 2 shown]
	s_delay_alu instid0(VALU_DEP_1) | instskip(SKIP_1) | instid1(SALU_CYCLE_1)
	v_cmp_ge_u64_e32 vcc_lo, v[31:32], v[33:34]
	s_or_b32 s2, vcc_lo, s2
	s_and_not1_b32 exec_lo, exec_lo, s2
	s_cbranch_execnz .LBB499_9
; %bb.10:
	s_set_inst_prefetch_distance 0x2
	s_or_b32 exec_lo, exec_lo, s2
.LBB499_11:
	s_mov_b32 s2, 0
	s_mov_b32 s0, exec_lo
	v_cmpx_ne_u64_e64 s[22:23], v[31:32]
	s_cbranch_execz .LBB499_13
; %bb.12:
	v_lshlrev_b64 v[31:32], 3, v[31:32]
	s_delay_alu instid0(VALU_DEP_1) | instskip(NEXT) | instid1(VALU_DEP_2)
	v_add_co_u32 v31, vcc_lo, s20, v31
	v_add_co_ci_u32_e32 v32, vcc_lo, s21, v32, vcc_lo
	global_load_b64 v[31:32], v[31:32], off
	s_waitcnt vmcnt(0) lgkmcnt(14)
	v_cmp_le_i64_e32 vcc_lo, v[31:32], v[29:30]
	s_and_b32 s2, vcc_lo, exec_lo
.LBB499_13:
	s_or_b32 exec_lo, exec_lo, s0
	v_cmp_ne_u32_e32 vcc_lo, 1, v35
	s_waitcnt vmcnt(14) lgkmcnt(14)
	v_mov_b32_e32 v29, 0
	v_mov_b32_e32 v30, 0
	s_cbranch_vccnz .LBB499_17
; %bb.14:
	v_dual_mov_b32 v32, s23 :: v_dual_mov_b32 v31, s22
	s_mov_b32 s3, 0
	s_set_inst_prefetch_distance 0x1
	.p2align	6
.LBB499_15:                             ; =>This Inner Loop Header: Depth=1
	s_delay_alu instid0(VALU_DEP_1) | instskip(NEXT) | instid1(VALU_DEP_2)
	v_sub_co_u32 v33, vcc_lo, v31, v29
	v_sub_co_ci_u32_e32 v34, vcc_lo, v32, v30, vcc_lo
	s_delay_alu instid0(VALU_DEP_1) | instskip(SKIP_1) | instid1(VALU_DEP_2)
	v_lshrrev_b64 v[36:37], 1, v[33:34]
	v_lshrrev_b64 v[33:34], 6, v[33:34]
	v_add_co_u32 v36, vcc_lo, v36, v29
	s_delay_alu instid0(VALU_DEP_3) | instskip(NEXT) | instid1(VALU_DEP_2)
	v_add_co_ci_u32_e32 v37, vcc_lo, v37, v30, vcc_lo
	v_add_co_u32 v33, vcc_lo, v36, v33
	s_delay_alu instid0(VALU_DEP_2) | instskip(NEXT) | instid1(VALU_DEP_1)
	v_add_co_ci_u32_e32 v34, vcc_lo, v37, v34, vcc_lo
	v_lshlrev_b64 v[36:37], 3, v[33:34]
	s_delay_alu instid0(VALU_DEP_1) | instskip(NEXT) | instid1(VALU_DEP_2)
	v_add_co_u32 v36, vcc_lo, s20, v36
	v_add_co_ci_u32_e32 v37, vcc_lo, s21, v37, vcc_lo
	v_add_co_u32 v38, vcc_lo, v33, 1
	global_load_b64 v[36:37], v[36:37], off
	s_waitcnt vmcnt(0) lgkmcnt(13)
	v_cmp_lt_i64_e64 s0, v[36:37], v[27:28]
	v_add_co_ci_u32_e32 v36, vcc_lo, 0, v34, vcc_lo
	s_delay_alu instid0(VALU_DEP_2) | instskip(SKIP_1) | instid1(VALU_DEP_3)
	v_cndmask_b32_e64 v32, v34, v32, s0
	v_cndmask_b32_e64 v31, v33, v31, s0
	;; [unrolled: 1-line block ×4, first 2 shown]
	s_delay_alu instid0(VALU_DEP_1) | instskip(SKIP_1) | instid1(SALU_CYCLE_1)
	v_cmp_ge_u64_e32 vcc_lo, v[29:30], v[31:32]
	s_or_b32 s3, vcc_lo, s3
	s_and_not1_b32 exec_lo, exec_lo, s3
	s_cbranch_execnz .LBB499_15
; %bb.16:
	s_set_inst_prefetch_distance 0x2
	s_or_b32 exec_lo, exec_lo, s3
.LBB499_17:
	s_mov_b32 s3, 0
	s_mov_b32 s0, exec_lo
	s_delay_alu instid0(VALU_DEP_1)
	v_cmpx_ne_u64_e64 s[22:23], v[29:30]
	s_cbranch_execz .LBB499_19
; %bb.18:
	v_lshlrev_b64 v[29:30], 3, v[29:30]
	s_delay_alu instid0(VALU_DEP_1) | instskip(NEXT) | instid1(VALU_DEP_2)
	v_add_co_u32 v29, vcc_lo, s20, v29
	v_add_co_ci_u32_e32 v30, vcc_lo, s21, v30, vcc_lo
	global_load_b64 v[29:30], v[29:30], off
	s_waitcnt vmcnt(0) lgkmcnt(13)
	v_cmp_le_i64_e32 vcc_lo, v[29:30], v[27:28]
	s_and_b32 s3, vcc_lo, exec_lo
.LBB499_19:
	s_or_b32 exec_lo, exec_lo, s0
	v_cmp_ne_u32_e32 vcc_lo, 1, v35
	s_waitcnt vmcnt(13) lgkmcnt(13)
	v_mov_b32_e32 v27, 0
	v_mov_b32_e32 v28, 0
	s_cbranch_vccnz .LBB499_23
; %bb.20:
	v_dual_mov_b32 v30, s23 :: v_dual_mov_b32 v29, s22
	s_mov_b32 s4, 0
	s_set_inst_prefetch_distance 0x1
	.p2align	6
.LBB499_21:                             ; =>This Inner Loop Header: Depth=1
	s_delay_alu instid0(VALU_DEP_1) | instskip(NEXT) | instid1(VALU_DEP_2)
	v_sub_co_u32 v31, vcc_lo, v29, v27
	v_sub_co_ci_u32_e32 v32, vcc_lo, v30, v28, vcc_lo
	s_delay_alu instid0(VALU_DEP_1) | instskip(SKIP_1) | instid1(VALU_DEP_2)
	v_lshrrev_b64 v[33:34], 1, v[31:32]
	v_lshrrev_b64 v[31:32], 6, v[31:32]
	v_add_co_u32 v33, vcc_lo, v33, v27
	s_delay_alu instid0(VALU_DEP_3) | instskip(NEXT) | instid1(VALU_DEP_2)
	v_add_co_ci_u32_e32 v34, vcc_lo, v34, v28, vcc_lo
	v_add_co_u32 v31, vcc_lo, v33, v31
	s_delay_alu instid0(VALU_DEP_2) | instskip(NEXT) | instid1(VALU_DEP_1)
	v_add_co_ci_u32_e32 v32, vcc_lo, v34, v32, vcc_lo
	v_lshlrev_b64 v[33:34], 3, v[31:32]
	s_delay_alu instid0(VALU_DEP_1) | instskip(NEXT) | instid1(VALU_DEP_2)
	v_add_co_u32 v33, vcc_lo, s20, v33
	v_add_co_ci_u32_e32 v34, vcc_lo, s21, v34, vcc_lo
	v_add_co_u32 v36, vcc_lo, v31, 1
	global_load_b64 v[33:34], v[33:34], off
	s_waitcnt vmcnt(0) lgkmcnt(12)
	v_cmp_lt_i64_e64 s0, v[33:34], v[25:26]
	v_add_co_ci_u32_e32 v33, vcc_lo, 0, v32, vcc_lo
	s_delay_alu instid0(VALU_DEP_2) | instskip(SKIP_1) | instid1(VALU_DEP_3)
	v_cndmask_b32_e64 v30, v32, v30, s0
	v_cndmask_b32_e64 v29, v31, v29, s0
	v_cndmask_b32_e64 v28, v28, v33, s0
	v_cndmask_b32_e64 v27, v27, v36, s0
	s_delay_alu instid0(VALU_DEP_1) | instskip(SKIP_1) | instid1(SALU_CYCLE_1)
	v_cmp_ge_u64_e32 vcc_lo, v[27:28], v[29:30]
	s_or_b32 s4, vcc_lo, s4
	s_and_not1_b32 exec_lo, exec_lo, s4
	s_cbranch_execnz .LBB499_21
; %bb.22:
	s_set_inst_prefetch_distance 0x2
	s_or_b32 exec_lo, exec_lo, s4
.LBB499_23:
	s_mov_b32 s4, 0
	s_mov_b32 s0, exec_lo
	s_delay_alu instid0(VALU_DEP_1)
	v_cmpx_ne_u64_e64 s[22:23], v[27:28]
	s_cbranch_execz .LBB499_25
; %bb.24:
	v_lshlrev_b64 v[27:28], 3, v[27:28]
	s_delay_alu instid0(VALU_DEP_1) | instskip(NEXT) | instid1(VALU_DEP_2)
	v_add_co_u32 v27, vcc_lo, s20, v27
	v_add_co_ci_u32_e32 v28, vcc_lo, s21, v28, vcc_lo
	global_load_b64 v[27:28], v[27:28], off
	s_waitcnt vmcnt(0) lgkmcnt(12)
	v_cmp_le_i64_e32 vcc_lo, v[27:28], v[25:26]
	s_and_b32 s4, vcc_lo, exec_lo
.LBB499_25:
	s_or_b32 exec_lo, exec_lo, s0
	v_cmp_ne_u32_e32 vcc_lo, 1, v35
	s_waitcnt vmcnt(12) lgkmcnt(12)
	v_mov_b32_e32 v25, 0
	v_mov_b32_e32 v26, 0
	s_cbranch_vccnz .LBB499_29
; %bb.26:
	v_dual_mov_b32 v28, s23 :: v_dual_mov_b32 v27, s22
	s_mov_b32 s5, 0
	s_set_inst_prefetch_distance 0x1
	.p2align	6
.LBB499_27:                             ; =>This Inner Loop Header: Depth=1
	s_delay_alu instid0(VALU_DEP_1) | instskip(NEXT) | instid1(VALU_DEP_2)
	v_sub_co_u32 v29, vcc_lo, v27, v25
	v_sub_co_ci_u32_e32 v30, vcc_lo, v28, v26, vcc_lo
	s_delay_alu instid0(VALU_DEP_1) | instskip(SKIP_1) | instid1(VALU_DEP_2)
	v_lshrrev_b64 v[31:32], 1, v[29:30]
	v_lshrrev_b64 v[29:30], 6, v[29:30]
	v_add_co_u32 v31, vcc_lo, v31, v25
	s_delay_alu instid0(VALU_DEP_3) | instskip(NEXT) | instid1(VALU_DEP_2)
	v_add_co_ci_u32_e32 v32, vcc_lo, v32, v26, vcc_lo
	v_add_co_u32 v29, vcc_lo, v31, v29
	s_delay_alu instid0(VALU_DEP_2) | instskip(NEXT) | instid1(VALU_DEP_1)
	v_add_co_ci_u32_e32 v30, vcc_lo, v32, v30, vcc_lo
	v_lshlrev_b64 v[31:32], 3, v[29:30]
	s_delay_alu instid0(VALU_DEP_1) | instskip(NEXT) | instid1(VALU_DEP_2)
	v_add_co_u32 v31, vcc_lo, s20, v31
	v_add_co_ci_u32_e32 v32, vcc_lo, s21, v32, vcc_lo
	v_add_co_u32 v33, vcc_lo, v29, 1
	global_load_b64 v[31:32], v[31:32], off
	s_waitcnt vmcnt(0) lgkmcnt(11)
	v_cmp_lt_i64_e64 s0, v[31:32], v[23:24]
	v_add_co_ci_u32_e32 v31, vcc_lo, 0, v30, vcc_lo
	s_delay_alu instid0(VALU_DEP_2) | instskip(SKIP_1) | instid1(VALU_DEP_3)
	v_cndmask_b32_e64 v28, v30, v28, s0
	v_cndmask_b32_e64 v27, v29, v27, s0
	;; [unrolled: 1-line block ×4, first 2 shown]
	s_delay_alu instid0(VALU_DEP_1) | instskip(SKIP_1) | instid1(SALU_CYCLE_1)
	v_cmp_ge_u64_e32 vcc_lo, v[25:26], v[27:28]
	s_or_b32 s5, vcc_lo, s5
	s_and_not1_b32 exec_lo, exec_lo, s5
	s_cbranch_execnz .LBB499_27
; %bb.28:
	s_set_inst_prefetch_distance 0x2
	s_or_b32 exec_lo, exec_lo, s5
.LBB499_29:
	s_mov_b32 s5, 0
	s_mov_b32 s0, exec_lo
	s_delay_alu instid0(VALU_DEP_1)
	v_cmpx_ne_u64_e64 s[22:23], v[25:26]
	s_cbranch_execz .LBB499_31
; %bb.30:
	v_lshlrev_b64 v[25:26], 3, v[25:26]
	s_delay_alu instid0(VALU_DEP_1) | instskip(NEXT) | instid1(VALU_DEP_2)
	v_add_co_u32 v25, vcc_lo, s20, v25
	v_add_co_ci_u32_e32 v26, vcc_lo, s21, v26, vcc_lo
	global_load_b64 v[25:26], v[25:26], off
	s_waitcnt vmcnt(0) lgkmcnt(11)
	v_cmp_le_i64_e32 vcc_lo, v[25:26], v[23:24]
	s_and_b32 s5, vcc_lo, exec_lo
.LBB499_31:
	s_or_b32 exec_lo, exec_lo, s0
	v_cmp_ne_u32_e32 vcc_lo, 1, v35
	s_waitcnt vmcnt(11) lgkmcnt(11)
	v_mov_b32_e32 v23, 0
	v_mov_b32_e32 v24, 0
	s_cbranch_vccnz .LBB499_35
; %bb.32:
	v_dual_mov_b32 v26, s23 :: v_dual_mov_b32 v25, s22
	s_mov_b32 s6, 0
	s_set_inst_prefetch_distance 0x1
	.p2align	6
.LBB499_33:                             ; =>This Inner Loop Header: Depth=1
	s_delay_alu instid0(VALU_DEP_1) | instskip(NEXT) | instid1(VALU_DEP_2)
	v_sub_co_u32 v27, vcc_lo, v25, v23
	v_sub_co_ci_u32_e32 v28, vcc_lo, v26, v24, vcc_lo
	s_delay_alu instid0(VALU_DEP_1) | instskip(SKIP_1) | instid1(VALU_DEP_2)
	v_lshrrev_b64 v[29:30], 1, v[27:28]
	v_lshrrev_b64 v[27:28], 6, v[27:28]
	v_add_co_u32 v29, vcc_lo, v29, v23
	s_delay_alu instid0(VALU_DEP_3) | instskip(NEXT) | instid1(VALU_DEP_2)
	v_add_co_ci_u32_e32 v30, vcc_lo, v30, v24, vcc_lo
	v_add_co_u32 v27, vcc_lo, v29, v27
	s_delay_alu instid0(VALU_DEP_2) | instskip(NEXT) | instid1(VALU_DEP_1)
	v_add_co_ci_u32_e32 v28, vcc_lo, v30, v28, vcc_lo
	v_lshlrev_b64 v[29:30], 3, v[27:28]
	s_delay_alu instid0(VALU_DEP_1) | instskip(NEXT) | instid1(VALU_DEP_2)
	v_add_co_u32 v29, vcc_lo, s20, v29
	v_add_co_ci_u32_e32 v30, vcc_lo, s21, v30, vcc_lo
	v_add_co_u32 v31, vcc_lo, v27, 1
	global_load_b64 v[29:30], v[29:30], off
	s_waitcnt vmcnt(0) lgkmcnt(10)
	v_cmp_lt_i64_e64 s0, v[29:30], v[21:22]
	v_add_co_ci_u32_e32 v29, vcc_lo, 0, v28, vcc_lo
	s_delay_alu instid0(VALU_DEP_2) | instskip(SKIP_1) | instid1(VALU_DEP_3)
	v_cndmask_b32_e64 v26, v28, v26, s0
	v_cndmask_b32_e64 v25, v27, v25, s0
	;; [unrolled: 1-line block ×4, first 2 shown]
	s_delay_alu instid0(VALU_DEP_1) | instskip(SKIP_1) | instid1(SALU_CYCLE_1)
	v_cmp_ge_u64_e32 vcc_lo, v[23:24], v[25:26]
	s_or_b32 s6, vcc_lo, s6
	s_and_not1_b32 exec_lo, exec_lo, s6
	s_cbranch_execnz .LBB499_33
; %bb.34:
	s_set_inst_prefetch_distance 0x2
	s_or_b32 exec_lo, exec_lo, s6
.LBB499_35:
	s_mov_b32 s6, 0
	s_mov_b32 s0, exec_lo
	s_delay_alu instid0(VALU_DEP_1)
	v_cmpx_ne_u64_e64 s[22:23], v[23:24]
	s_cbranch_execz .LBB499_37
; %bb.36:
	v_lshlrev_b64 v[23:24], 3, v[23:24]
	s_delay_alu instid0(VALU_DEP_1) | instskip(NEXT) | instid1(VALU_DEP_2)
	v_add_co_u32 v23, vcc_lo, s20, v23
	v_add_co_ci_u32_e32 v24, vcc_lo, s21, v24, vcc_lo
	global_load_b64 v[23:24], v[23:24], off
	s_waitcnt vmcnt(0) lgkmcnt(10)
	v_cmp_le_i64_e32 vcc_lo, v[23:24], v[21:22]
	s_and_b32 s6, vcc_lo, exec_lo
.LBB499_37:
	s_or_b32 exec_lo, exec_lo, s0
	v_cmp_ne_u32_e32 vcc_lo, 1, v35
	s_waitcnt vmcnt(10) lgkmcnt(10)
	v_mov_b32_e32 v21, 0
	v_mov_b32_e32 v22, 0
	s_cbranch_vccnz .LBB499_41
; %bb.38:
	v_dual_mov_b32 v24, s23 :: v_dual_mov_b32 v23, s22
	s_mov_b32 s7, 0
	s_set_inst_prefetch_distance 0x1
	.p2align	6
.LBB499_39:                             ; =>This Inner Loop Header: Depth=1
	s_delay_alu instid0(VALU_DEP_1) | instskip(NEXT) | instid1(VALU_DEP_2)
	v_sub_co_u32 v25, vcc_lo, v23, v21
	v_sub_co_ci_u32_e32 v26, vcc_lo, v24, v22, vcc_lo
	s_delay_alu instid0(VALU_DEP_1) | instskip(SKIP_1) | instid1(VALU_DEP_2)
	v_lshrrev_b64 v[27:28], 1, v[25:26]
	v_lshrrev_b64 v[25:26], 6, v[25:26]
	v_add_co_u32 v27, vcc_lo, v27, v21
	s_delay_alu instid0(VALU_DEP_3) | instskip(NEXT) | instid1(VALU_DEP_2)
	v_add_co_ci_u32_e32 v28, vcc_lo, v28, v22, vcc_lo
	v_add_co_u32 v25, vcc_lo, v27, v25
	s_delay_alu instid0(VALU_DEP_2) | instskip(NEXT) | instid1(VALU_DEP_1)
	v_add_co_ci_u32_e32 v26, vcc_lo, v28, v26, vcc_lo
	v_lshlrev_b64 v[27:28], 3, v[25:26]
	s_delay_alu instid0(VALU_DEP_1) | instskip(NEXT) | instid1(VALU_DEP_2)
	v_add_co_u32 v27, vcc_lo, s20, v27
	v_add_co_ci_u32_e32 v28, vcc_lo, s21, v28, vcc_lo
	v_add_co_u32 v29, vcc_lo, v25, 1
	global_load_b64 v[27:28], v[27:28], off
	s_waitcnt vmcnt(0) lgkmcnt(9)
	v_cmp_lt_i64_e64 s0, v[27:28], v[19:20]
	v_add_co_ci_u32_e32 v27, vcc_lo, 0, v26, vcc_lo
	s_delay_alu instid0(VALU_DEP_2) | instskip(SKIP_1) | instid1(VALU_DEP_3)
	v_cndmask_b32_e64 v24, v26, v24, s0
	v_cndmask_b32_e64 v23, v25, v23, s0
	;; [unrolled: 1-line block ×4, first 2 shown]
	s_delay_alu instid0(VALU_DEP_1) | instskip(SKIP_1) | instid1(SALU_CYCLE_1)
	v_cmp_ge_u64_e32 vcc_lo, v[21:22], v[23:24]
	s_or_b32 s7, vcc_lo, s7
	s_and_not1_b32 exec_lo, exec_lo, s7
	s_cbranch_execnz .LBB499_39
; %bb.40:
	s_set_inst_prefetch_distance 0x2
	s_or_b32 exec_lo, exec_lo, s7
.LBB499_41:
	s_mov_b32 s7, 0
	s_mov_b32 s0, exec_lo
	s_delay_alu instid0(VALU_DEP_1)
	v_cmpx_ne_u64_e64 s[22:23], v[21:22]
	s_cbranch_execz .LBB499_43
; %bb.42:
	v_lshlrev_b64 v[21:22], 3, v[21:22]
	s_delay_alu instid0(VALU_DEP_1) | instskip(NEXT) | instid1(VALU_DEP_2)
	v_add_co_u32 v21, vcc_lo, s20, v21
	v_add_co_ci_u32_e32 v22, vcc_lo, s21, v22, vcc_lo
	global_load_b64 v[21:22], v[21:22], off
	s_waitcnt vmcnt(0) lgkmcnt(9)
	v_cmp_le_i64_e32 vcc_lo, v[21:22], v[19:20]
	s_and_b32 s7, vcc_lo, exec_lo
.LBB499_43:
	s_or_b32 exec_lo, exec_lo, s0
	v_cmp_ne_u32_e32 vcc_lo, 1, v35
	s_waitcnt vmcnt(9) lgkmcnt(9)
	v_mov_b32_e32 v19, 0
	v_mov_b32_e32 v20, 0
	s_cbranch_vccnz .LBB499_47
; %bb.44:
	v_dual_mov_b32 v21, s22 :: v_dual_mov_b32 v22, s23
	s_mov_b32 s9, 0
	s_set_inst_prefetch_distance 0x1
	.p2align	6
.LBB499_45:                             ; =>This Inner Loop Header: Depth=1
	s_delay_alu instid0(VALU_DEP_1) | instskip(NEXT) | instid1(VALU_DEP_2)
	v_sub_co_u32 v23, vcc_lo, v21, v19
	v_sub_co_ci_u32_e32 v24, vcc_lo, v22, v20, vcc_lo
	s_delay_alu instid0(VALU_DEP_1) | instskip(SKIP_1) | instid1(VALU_DEP_2)
	v_lshrrev_b64 v[25:26], 1, v[23:24]
	v_lshrrev_b64 v[23:24], 6, v[23:24]
	v_add_co_u32 v25, vcc_lo, v25, v19
	s_delay_alu instid0(VALU_DEP_3) | instskip(NEXT) | instid1(VALU_DEP_2)
	v_add_co_ci_u32_e32 v26, vcc_lo, v26, v20, vcc_lo
	v_add_co_u32 v23, vcc_lo, v25, v23
	s_delay_alu instid0(VALU_DEP_2) | instskip(NEXT) | instid1(VALU_DEP_1)
	v_add_co_ci_u32_e32 v24, vcc_lo, v26, v24, vcc_lo
	v_lshlrev_b64 v[25:26], 3, v[23:24]
	s_delay_alu instid0(VALU_DEP_1) | instskip(NEXT) | instid1(VALU_DEP_2)
	v_add_co_u32 v25, vcc_lo, s20, v25
	v_add_co_ci_u32_e32 v26, vcc_lo, s21, v26, vcc_lo
	v_add_co_u32 v27, vcc_lo, v23, 1
	global_load_b64 v[25:26], v[25:26], off
	s_waitcnt vmcnt(0) lgkmcnt(8)
	v_cmp_lt_i64_e64 s0, v[25:26], v[17:18]
	v_add_co_ci_u32_e32 v25, vcc_lo, 0, v24, vcc_lo
	s_delay_alu instid0(VALU_DEP_2) | instskip(SKIP_1) | instid1(VALU_DEP_3)
	v_cndmask_b32_e64 v22, v24, v22, s0
	v_cndmask_b32_e64 v21, v23, v21, s0
	;; [unrolled: 1-line block ×4, first 2 shown]
	s_delay_alu instid0(VALU_DEP_1) | instskip(SKIP_1) | instid1(SALU_CYCLE_1)
	v_cmp_ge_u64_e32 vcc_lo, v[19:20], v[21:22]
	s_or_b32 s9, vcc_lo, s9
	s_and_not1_b32 exec_lo, exec_lo, s9
	s_cbranch_execnz .LBB499_45
; %bb.46:
	s_set_inst_prefetch_distance 0x2
	s_or_b32 exec_lo, exec_lo, s9
.LBB499_47:
	s_mov_b32 s9, 0
	s_mov_b32 s0, exec_lo
	s_delay_alu instid0(VALU_DEP_1)
	v_cmpx_ne_u64_e64 s[22:23], v[19:20]
	s_cbranch_execz .LBB499_49
; %bb.48:
	v_lshlrev_b64 v[19:20], 3, v[19:20]
	s_delay_alu instid0(VALU_DEP_1) | instskip(NEXT) | instid1(VALU_DEP_2)
	v_add_co_u32 v19, vcc_lo, s20, v19
	v_add_co_ci_u32_e32 v20, vcc_lo, s21, v20, vcc_lo
	global_load_b64 v[19:20], v[19:20], off
	s_waitcnt vmcnt(0) lgkmcnt(8)
	v_cmp_le_i64_e32 vcc_lo, v[19:20], v[17:18]
	s_and_b32 s9, vcc_lo, exec_lo
.LBB499_49:
	s_or_b32 exec_lo, exec_lo, s0
	v_cmp_ne_u32_e32 vcc_lo, 1, v35
	s_waitcnt vmcnt(8) lgkmcnt(8)
	v_mov_b32_e32 v17, 0
	v_mov_b32_e32 v18, 0
	s_cbranch_vccnz .LBB499_53
; %bb.50:
	v_dual_mov_b32 v19, s22 :: v_dual_mov_b32 v20, s23
	s_mov_b32 s10, 0
	s_set_inst_prefetch_distance 0x1
	.p2align	6
.LBB499_51:                             ; =>This Inner Loop Header: Depth=1
	s_delay_alu instid0(VALU_DEP_1) | instskip(NEXT) | instid1(VALU_DEP_2)
	v_sub_co_u32 v21, vcc_lo, v19, v17
	v_sub_co_ci_u32_e32 v22, vcc_lo, v20, v18, vcc_lo
	s_delay_alu instid0(VALU_DEP_1) | instskip(SKIP_1) | instid1(VALU_DEP_2)
	v_lshrrev_b64 v[23:24], 1, v[21:22]
	v_lshrrev_b64 v[21:22], 6, v[21:22]
	v_add_co_u32 v23, vcc_lo, v23, v17
	s_delay_alu instid0(VALU_DEP_3) | instskip(NEXT) | instid1(VALU_DEP_2)
	v_add_co_ci_u32_e32 v24, vcc_lo, v24, v18, vcc_lo
	v_add_co_u32 v21, vcc_lo, v23, v21
	s_delay_alu instid0(VALU_DEP_2) | instskip(NEXT) | instid1(VALU_DEP_1)
	v_add_co_ci_u32_e32 v22, vcc_lo, v24, v22, vcc_lo
	v_lshlrev_b64 v[23:24], 3, v[21:22]
	s_delay_alu instid0(VALU_DEP_1) | instskip(NEXT) | instid1(VALU_DEP_2)
	v_add_co_u32 v23, vcc_lo, s20, v23
	v_add_co_ci_u32_e32 v24, vcc_lo, s21, v24, vcc_lo
	v_add_co_u32 v25, vcc_lo, v21, 1
	global_load_b64 v[23:24], v[23:24], off
	s_waitcnt vmcnt(0) lgkmcnt(7)
	v_cmp_lt_i64_e64 s0, v[23:24], v[15:16]
	v_add_co_ci_u32_e32 v23, vcc_lo, 0, v22, vcc_lo
	s_delay_alu instid0(VALU_DEP_2) | instskip(SKIP_1) | instid1(VALU_DEP_3)
	v_cndmask_b32_e64 v20, v22, v20, s0
	v_cndmask_b32_e64 v19, v21, v19, s0
	;; [unrolled: 1-line block ×4, first 2 shown]
	s_delay_alu instid0(VALU_DEP_1) | instskip(SKIP_1) | instid1(SALU_CYCLE_1)
	v_cmp_ge_u64_e32 vcc_lo, v[17:18], v[19:20]
	s_or_b32 s10, vcc_lo, s10
	s_and_not1_b32 exec_lo, exec_lo, s10
	s_cbranch_execnz .LBB499_51
; %bb.52:
	s_set_inst_prefetch_distance 0x2
	s_or_b32 exec_lo, exec_lo, s10
.LBB499_53:
	s_mov_b32 s10, 0
	s_mov_b32 s0, exec_lo
	s_delay_alu instid0(VALU_DEP_1)
	v_cmpx_ne_u64_e64 s[22:23], v[17:18]
	s_cbranch_execz .LBB499_55
; %bb.54:
	v_lshlrev_b64 v[17:18], 3, v[17:18]
	s_delay_alu instid0(VALU_DEP_1) | instskip(NEXT) | instid1(VALU_DEP_2)
	v_add_co_u32 v17, vcc_lo, s20, v17
	v_add_co_ci_u32_e32 v18, vcc_lo, s21, v18, vcc_lo
	global_load_b64 v[17:18], v[17:18], off
	s_waitcnt vmcnt(0) lgkmcnt(7)
	v_cmp_le_i64_e32 vcc_lo, v[17:18], v[15:16]
	s_and_b32 s10, vcc_lo, exec_lo
.LBB499_55:
	s_or_b32 exec_lo, exec_lo, s0
	v_cmp_ne_u32_e32 vcc_lo, 1, v35
	s_waitcnt vmcnt(7) lgkmcnt(7)
	v_mov_b32_e32 v15, 0
	v_mov_b32_e32 v16, 0
	s_cbranch_vccnz .LBB499_59
; %bb.56:
	v_dual_mov_b32 v17, s22 :: v_dual_mov_b32 v18, s23
	s_mov_b32 s11, 0
	s_set_inst_prefetch_distance 0x1
	.p2align	6
.LBB499_57:                             ; =>This Inner Loop Header: Depth=1
	s_delay_alu instid0(VALU_DEP_1) | instskip(NEXT) | instid1(VALU_DEP_2)
	v_sub_co_u32 v19, vcc_lo, v17, v15
	v_sub_co_ci_u32_e32 v20, vcc_lo, v18, v16, vcc_lo
	s_delay_alu instid0(VALU_DEP_1) | instskip(SKIP_1) | instid1(VALU_DEP_2)
	v_lshrrev_b64 v[21:22], 1, v[19:20]
	v_lshrrev_b64 v[19:20], 6, v[19:20]
	v_add_co_u32 v21, vcc_lo, v21, v15
	s_delay_alu instid0(VALU_DEP_3) | instskip(NEXT) | instid1(VALU_DEP_2)
	v_add_co_ci_u32_e32 v22, vcc_lo, v22, v16, vcc_lo
	v_add_co_u32 v19, vcc_lo, v21, v19
	s_delay_alu instid0(VALU_DEP_2) | instskip(NEXT) | instid1(VALU_DEP_1)
	v_add_co_ci_u32_e32 v20, vcc_lo, v22, v20, vcc_lo
	v_lshlrev_b64 v[21:22], 3, v[19:20]
	s_delay_alu instid0(VALU_DEP_1) | instskip(NEXT) | instid1(VALU_DEP_2)
	v_add_co_u32 v21, vcc_lo, s20, v21
	v_add_co_ci_u32_e32 v22, vcc_lo, s21, v22, vcc_lo
	v_add_co_u32 v23, vcc_lo, v19, 1
	global_load_b64 v[21:22], v[21:22], off
	s_waitcnt vmcnt(0) lgkmcnt(6)
	v_cmp_lt_i64_e64 s0, v[21:22], v[13:14]
	v_add_co_ci_u32_e32 v21, vcc_lo, 0, v20, vcc_lo
	s_delay_alu instid0(VALU_DEP_2) | instskip(SKIP_1) | instid1(VALU_DEP_3)
	v_cndmask_b32_e64 v18, v20, v18, s0
	v_cndmask_b32_e64 v17, v19, v17, s0
	;; [unrolled: 1-line block ×4, first 2 shown]
	s_delay_alu instid0(VALU_DEP_1) | instskip(SKIP_1) | instid1(SALU_CYCLE_1)
	v_cmp_ge_u64_e32 vcc_lo, v[15:16], v[17:18]
	s_or_b32 s11, vcc_lo, s11
	s_and_not1_b32 exec_lo, exec_lo, s11
	s_cbranch_execnz .LBB499_57
; %bb.58:
	s_set_inst_prefetch_distance 0x2
	s_or_b32 exec_lo, exec_lo, s11
.LBB499_59:
	s_mov_b32 s11, 0
	s_mov_b32 s0, exec_lo
	s_delay_alu instid0(VALU_DEP_1)
	v_cmpx_ne_u64_e64 s[22:23], v[15:16]
	s_cbranch_execz .LBB499_61
; %bb.60:
	v_lshlrev_b64 v[15:16], 3, v[15:16]
	s_delay_alu instid0(VALU_DEP_1) | instskip(NEXT) | instid1(VALU_DEP_2)
	v_add_co_u32 v15, vcc_lo, s20, v15
	v_add_co_ci_u32_e32 v16, vcc_lo, s21, v16, vcc_lo
	global_load_b64 v[15:16], v[15:16], off
	s_waitcnt vmcnt(0) lgkmcnt(6)
	v_cmp_le_i64_e32 vcc_lo, v[15:16], v[13:14]
	s_and_b32 s11, vcc_lo, exec_lo
.LBB499_61:
	s_or_b32 exec_lo, exec_lo, s0
	v_cmp_ne_u32_e32 vcc_lo, 1, v35
	s_waitcnt vmcnt(6) lgkmcnt(6)
	v_mov_b32_e32 v13, 0
	v_mov_b32_e32 v14, 0
	s_cbranch_vccnz .LBB499_65
; %bb.62:
	v_dual_mov_b32 v15, s22 :: v_dual_mov_b32 v16, s23
	s_mov_b32 s12, 0
	s_set_inst_prefetch_distance 0x1
	.p2align	6
.LBB499_63:                             ; =>This Inner Loop Header: Depth=1
	s_delay_alu instid0(VALU_DEP_1) | instskip(NEXT) | instid1(VALU_DEP_2)
	v_sub_co_u32 v17, vcc_lo, v15, v13
	v_sub_co_ci_u32_e32 v18, vcc_lo, v16, v14, vcc_lo
	s_delay_alu instid0(VALU_DEP_1) | instskip(SKIP_1) | instid1(VALU_DEP_2)
	v_lshrrev_b64 v[19:20], 1, v[17:18]
	v_lshrrev_b64 v[17:18], 6, v[17:18]
	v_add_co_u32 v19, vcc_lo, v19, v13
	s_delay_alu instid0(VALU_DEP_3) | instskip(NEXT) | instid1(VALU_DEP_2)
	v_add_co_ci_u32_e32 v20, vcc_lo, v20, v14, vcc_lo
	v_add_co_u32 v17, vcc_lo, v19, v17
	s_delay_alu instid0(VALU_DEP_2) | instskip(NEXT) | instid1(VALU_DEP_1)
	v_add_co_ci_u32_e32 v18, vcc_lo, v20, v18, vcc_lo
	v_lshlrev_b64 v[19:20], 3, v[17:18]
	s_delay_alu instid0(VALU_DEP_1) | instskip(NEXT) | instid1(VALU_DEP_2)
	v_add_co_u32 v19, vcc_lo, s20, v19
	v_add_co_ci_u32_e32 v20, vcc_lo, s21, v20, vcc_lo
	v_add_co_u32 v21, vcc_lo, v17, 1
	global_load_b64 v[19:20], v[19:20], off
	s_waitcnt vmcnt(0) lgkmcnt(5)
	v_cmp_lt_i64_e64 s0, v[19:20], v[11:12]
	v_add_co_ci_u32_e32 v19, vcc_lo, 0, v18, vcc_lo
	s_delay_alu instid0(VALU_DEP_2) | instskip(SKIP_1) | instid1(VALU_DEP_3)
	v_cndmask_b32_e64 v16, v18, v16, s0
	v_cndmask_b32_e64 v15, v17, v15, s0
	;; [unrolled: 1-line block ×4, first 2 shown]
	s_delay_alu instid0(VALU_DEP_1) | instskip(SKIP_1) | instid1(SALU_CYCLE_1)
	v_cmp_ge_u64_e32 vcc_lo, v[13:14], v[15:16]
	s_or_b32 s12, vcc_lo, s12
	s_and_not1_b32 exec_lo, exec_lo, s12
	s_cbranch_execnz .LBB499_63
; %bb.64:
	s_set_inst_prefetch_distance 0x2
	s_or_b32 exec_lo, exec_lo, s12
.LBB499_65:
	s_mov_b32 s12, 0
	s_mov_b32 s0, exec_lo
	s_delay_alu instid0(VALU_DEP_1)
	v_cmpx_ne_u64_e64 s[22:23], v[13:14]
	s_cbranch_execz .LBB499_67
; %bb.66:
	v_lshlrev_b64 v[13:14], 3, v[13:14]
	s_delay_alu instid0(VALU_DEP_1) | instskip(NEXT) | instid1(VALU_DEP_2)
	v_add_co_u32 v13, vcc_lo, s20, v13
	v_add_co_ci_u32_e32 v14, vcc_lo, s21, v14, vcc_lo
	global_load_b64 v[13:14], v[13:14], off
	s_waitcnt vmcnt(0) lgkmcnt(5)
	v_cmp_le_i64_e32 vcc_lo, v[13:14], v[11:12]
	s_and_b32 s12, vcc_lo, exec_lo
.LBB499_67:
	s_or_b32 exec_lo, exec_lo, s0
	v_cmp_ne_u32_e32 vcc_lo, 1, v35
	s_waitcnt vmcnt(5) lgkmcnt(5)
	v_mov_b32_e32 v11, 0
	v_mov_b32_e32 v12, 0
	s_cbranch_vccnz .LBB499_71
; %bb.68:
	v_dual_mov_b32 v13, s22 :: v_dual_mov_b32 v14, s23
	s_mov_b32 s13, 0
	s_set_inst_prefetch_distance 0x1
	.p2align	6
.LBB499_69:                             ; =>This Inner Loop Header: Depth=1
	s_delay_alu instid0(VALU_DEP_1) | instskip(NEXT) | instid1(VALU_DEP_2)
	v_sub_co_u32 v15, vcc_lo, v13, v11
	v_sub_co_ci_u32_e32 v16, vcc_lo, v14, v12, vcc_lo
	s_delay_alu instid0(VALU_DEP_1) | instskip(SKIP_1) | instid1(VALU_DEP_2)
	v_lshrrev_b64 v[17:18], 1, v[15:16]
	v_lshrrev_b64 v[15:16], 6, v[15:16]
	v_add_co_u32 v17, vcc_lo, v17, v11
	s_delay_alu instid0(VALU_DEP_3) | instskip(NEXT) | instid1(VALU_DEP_2)
	v_add_co_ci_u32_e32 v18, vcc_lo, v18, v12, vcc_lo
	v_add_co_u32 v15, vcc_lo, v17, v15
	s_delay_alu instid0(VALU_DEP_2) | instskip(NEXT) | instid1(VALU_DEP_1)
	v_add_co_ci_u32_e32 v16, vcc_lo, v18, v16, vcc_lo
	v_lshlrev_b64 v[17:18], 3, v[15:16]
	s_delay_alu instid0(VALU_DEP_1) | instskip(NEXT) | instid1(VALU_DEP_2)
	v_add_co_u32 v17, vcc_lo, s20, v17
	v_add_co_ci_u32_e32 v18, vcc_lo, s21, v18, vcc_lo
	v_add_co_u32 v19, vcc_lo, v15, 1
	global_load_b64 v[17:18], v[17:18], off
	s_waitcnt vmcnt(0) lgkmcnt(4)
	v_cmp_lt_i64_e64 s0, v[17:18], v[9:10]
	v_add_co_ci_u32_e32 v17, vcc_lo, 0, v16, vcc_lo
	s_delay_alu instid0(VALU_DEP_2) | instskip(SKIP_1) | instid1(VALU_DEP_3)
	v_cndmask_b32_e64 v14, v16, v14, s0
	v_cndmask_b32_e64 v13, v15, v13, s0
	;; [unrolled: 1-line block ×4, first 2 shown]
	s_delay_alu instid0(VALU_DEP_1) | instskip(SKIP_1) | instid1(SALU_CYCLE_1)
	v_cmp_ge_u64_e32 vcc_lo, v[11:12], v[13:14]
	s_or_b32 s13, vcc_lo, s13
	s_and_not1_b32 exec_lo, exec_lo, s13
	s_cbranch_execnz .LBB499_69
; %bb.70:
	s_set_inst_prefetch_distance 0x2
	s_or_b32 exec_lo, exec_lo, s13
.LBB499_71:
	s_mov_b32 s13, 0
	s_mov_b32 s0, exec_lo
	s_delay_alu instid0(VALU_DEP_1)
	v_cmpx_ne_u64_e64 s[22:23], v[11:12]
	s_cbranch_execz .LBB499_73
; %bb.72:
	v_lshlrev_b64 v[11:12], 3, v[11:12]
	s_delay_alu instid0(VALU_DEP_1) | instskip(NEXT) | instid1(VALU_DEP_2)
	v_add_co_u32 v11, vcc_lo, s20, v11
	v_add_co_ci_u32_e32 v12, vcc_lo, s21, v12, vcc_lo
	global_load_b64 v[11:12], v[11:12], off
	s_waitcnt vmcnt(0) lgkmcnt(4)
	v_cmp_le_i64_e32 vcc_lo, v[11:12], v[9:10]
	s_and_b32 s13, vcc_lo, exec_lo
.LBB499_73:
	s_or_b32 exec_lo, exec_lo, s0
	v_cmp_ne_u32_e32 vcc_lo, 1, v35
	s_waitcnt vmcnt(4) lgkmcnt(4)
	v_mov_b32_e32 v9, 0
	v_mov_b32_e32 v10, 0
	s_cbranch_vccnz .LBB499_77
; %bb.74:
	v_dual_mov_b32 v11, s22 :: v_dual_mov_b32 v12, s23
	s_mov_b32 s14, 0
	s_set_inst_prefetch_distance 0x1
	.p2align	6
.LBB499_75:                             ; =>This Inner Loop Header: Depth=1
	s_delay_alu instid0(VALU_DEP_1) | instskip(NEXT) | instid1(VALU_DEP_2)
	v_sub_co_u32 v13, vcc_lo, v11, v9
	v_sub_co_ci_u32_e32 v14, vcc_lo, v12, v10, vcc_lo
	s_delay_alu instid0(VALU_DEP_1) | instskip(SKIP_1) | instid1(VALU_DEP_2)
	v_lshrrev_b64 v[15:16], 1, v[13:14]
	v_lshrrev_b64 v[13:14], 6, v[13:14]
	v_add_co_u32 v15, vcc_lo, v15, v9
	s_delay_alu instid0(VALU_DEP_3) | instskip(NEXT) | instid1(VALU_DEP_2)
	v_add_co_ci_u32_e32 v16, vcc_lo, v16, v10, vcc_lo
	v_add_co_u32 v13, vcc_lo, v15, v13
	s_delay_alu instid0(VALU_DEP_2) | instskip(NEXT) | instid1(VALU_DEP_1)
	v_add_co_ci_u32_e32 v14, vcc_lo, v16, v14, vcc_lo
	v_lshlrev_b64 v[15:16], 3, v[13:14]
	s_delay_alu instid0(VALU_DEP_1) | instskip(NEXT) | instid1(VALU_DEP_2)
	v_add_co_u32 v15, vcc_lo, s20, v15
	v_add_co_ci_u32_e32 v16, vcc_lo, s21, v16, vcc_lo
	v_add_co_u32 v17, vcc_lo, v13, 1
	global_load_b64 v[15:16], v[15:16], off
	s_waitcnt vmcnt(0) lgkmcnt(3)
	v_cmp_lt_i64_e64 s0, v[15:16], v[7:8]
	v_add_co_ci_u32_e32 v15, vcc_lo, 0, v14, vcc_lo
	s_delay_alu instid0(VALU_DEP_2) | instskip(SKIP_1) | instid1(VALU_DEP_3)
	v_cndmask_b32_e64 v12, v14, v12, s0
	v_cndmask_b32_e64 v11, v13, v11, s0
	v_cndmask_b32_e64 v10, v10, v15, s0
	v_cndmask_b32_e64 v9, v9, v17, s0
	s_delay_alu instid0(VALU_DEP_1) | instskip(SKIP_1) | instid1(SALU_CYCLE_1)
	v_cmp_ge_u64_e32 vcc_lo, v[9:10], v[11:12]
	s_or_b32 s14, vcc_lo, s14
	s_and_not1_b32 exec_lo, exec_lo, s14
	s_cbranch_execnz .LBB499_75
; %bb.76:
	s_set_inst_prefetch_distance 0x2
	s_or_b32 exec_lo, exec_lo, s14
.LBB499_77:
	s_mov_b32 s14, 0
	s_mov_b32 s0, exec_lo
	s_delay_alu instid0(VALU_DEP_1)
	v_cmpx_ne_u64_e64 s[22:23], v[9:10]
	s_cbranch_execz .LBB499_79
; %bb.78:
	v_lshlrev_b64 v[9:10], 3, v[9:10]
	s_delay_alu instid0(VALU_DEP_1) | instskip(NEXT) | instid1(VALU_DEP_2)
	v_add_co_u32 v9, vcc_lo, s20, v9
	v_add_co_ci_u32_e32 v10, vcc_lo, s21, v10, vcc_lo
	global_load_b64 v[9:10], v[9:10], off
	s_waitcnt vmcnt(0) lgkmcnt(3)
	v_cmp_le_i64_e32 vcc_lo, v[9:10], v[7:8]
	s_and_b32 s14, vcc_lo, exec_lo
.LBB499_79:
	s_or_b32 exec_lo, exec_lo, s0
	v_cmp_ne_u32_e32 vcc_lo, 1, v35
	s_waitcnt vmcnt(3) lgkmcnt(3)
	v_mov_b32_e32 v7, 0
	v_mov_b32_e32 v8, 0
	s_cbranch_vccnz .LBB499_83
; %bb.80:
	v_dual_mov_b32 v9, s22 :: v_dual_mov_b32 v10, s23
	s_mov_b32 s15, 0
	s_set_inst_prefetch_distance 0x1
	.p2align	6
.LBB499_81:                             ; =>This Inner Loop Header: Depth=1
	s_delay_alu instid0(VALU_DEP_1) | instskip(NEXT) | instid1(VALU_DEP_2)
	v_sub_co_u32 v11, vcc_lo, v9, v7
	v_sub_co_ci_u32_e32 v12, vcc_lo, v10, v8, vcc_lo
	s_delay_alu instid0(VALU_DEP_1) | instskip(SKIP_1) | instid1(VALU_DEP_2)
	v_lshrrev_b64 v[13:14], 1, v[11:12]
	v_lshrrev_b64 v[11:12], 6, v[11:12]
	v_add_co_u32 v13, vcc_lo, v13, v7
	s_delay_alu instid0(VALU_DEP_3) | instskip(NEXT) | instid1(VALU_DEP_2)
	v_add_co_ci_u32_e32 v14, vcc_lo, v14, v8, vcc_lo
	v_add_co_u32 v11, vcc_lo, v13, v11
	s_delay_alu instid0(VALU_DEP_2) | instskip(NEXT) | instid1(VALU_DEP_1)
	v_add_co_ci_u32_e32 v12, vcc_lo, v14, v12, vcc_lo
	v_lshlrev_b64 v[13:14], 3, v[11:12]
	s_delay_alu instid0(VALU_DEP_1) | instskip(NEXT) | instid1(VALU_DEP_2)
	v_add_co_u32 v13, vcc_lo, s20, v13
	v_add_co_ci_u32_e32 v14, vcc_lo, s21, v14, vcc_lo
	v_add_co_u32 v15, vcc_lo, v11, 1
	global_load_b64 v[13:14], v[13:14], off
	s_waitcnt vmcnt(0) lgkmcnt(2)
	v_cmp_lt_i64_e64 s0, v[13:14], v[5:6]
	v_add_co_ci_u32_e32 v13, vcc_lo, 0, v12, vcc_lo
	s_delay_alu instid0(VALU_DEP_2) | instskip(SKIP_1) | instid1(VALU_DEP_3)
	v_cndmask_b32_e64 v10, v12, v10, s0
	v_cndmask_b32_e64 v9, v11, v9, s0
	;; [unrolled: 1-line block ×4, first 2 shown]
	s_delay_alu instid0(VALU_DEP_1) | instskip(SKIP_1) | instid1(SALU_CYCLE_1)
	v_cmp_ge_u64_e32 vcc_lo, v[7:8], v[9:10]
	s_or_b32 s15, vcc_lo, s15
	s_and_not1_b32 exec_lo, exec_lo, s15
	s_cbranch_execnz .LBB499_81
; %bb.82:
	s_set_inst_prefetch_distance 0x2
	s_or_b32 exec_lo, exec_lo, s15
.LBB499_83:
	s_mov_b32 s15, 0
	s_mov_b32 s0, exec_lo
	s_delay_alu instid0(VALU_DEP_1)
	v_cmpx_ne_u64_e64 s[22:23], v[7:8]
	s_cbranch_execz .LBB499_85
; %bb.84:
	v_lshlrev_b64 v[7:8], 3, v[7:8]
	s_delay_alu instid0(VALU_DEP_1) | instskip(NEXT) | instid1(VALU_DEP_2)
	v_add_co_u32 v7, vcc_lo, s20, v7
	v_add_co_ci_u32_e32 v8, vcc_lo, s21, v8, vcc_lo
	global_load_b64 v[7:8], v[7:8], off
	s_waitcnt vmcnt(0) lgkmcnt(2)
	v_cmp_le_i64_e32 vcc_lo, v[7:8], v[5:6]
	s_and_b32 s15, vcc_lo, exec_lo
.LBB499_85:
	s_or_b32 exec_lo, exec_lo, s0
	v_cmp_ne_u32_e32 vcc_lo, 1, v35
	s_waitcnt vmcnt(2) lgkmcnt(2)
	v_mov_b32_e32 v5, 0
	v_mov_b32_e32 v6, 0
	s_cbranch_vccnz .LBB499_89
; %bb.86:
	v_dual_mov_b32 v7, s22 :: v_dual_mov_b32 v8, s23
	s_mov_b32 s19, 0
	s_set_inst_prefetch_distance 0x1
	.p2align	6
.LBB499_87:                             ; =>This Inner Loop Header: Depth=1
	s_delay_alu instid0(VALU_DEP_1) | instskip(NEXT) | instid1(VALU_DEP_2)
	v_sub_co_u32 v9, vcc_lo, v7, v5
	v_sub_co_ci_u32_e32 v10, vcc_lo, v8, v6, vcc_lo
	s_delay_alu instid0(VALU_DEP_1) | instskip(SKIP_1) | instid1(VALU_DEP_2)
	v_lshrrev_b64 v[11:12], 1, v[9:10]
	v_lshrrev_b64 v[9:10], 6, v[9:10]
	v_add_co_u32 v11, vcc_lo, v11, v5
	s_delay_alu instid0(VALU_DEP_3) | instskip(NEXT) | instid1(VALU_DEP_2)
	v_add_co_ci_u32_e32 v12, vcc_lo, v12, v6, vcc_lo
	v_add_co_u32 v9, vcc_lo, v11, v9
	s_delay_alu instid0(VALU_DEP_2) | instskip(NEXT) | instid1(VALU_DEP_1)
	v_add_co_ci_u32_e32 v10, vcc_lo, v12, v10, vcc_lo
	v_lshlrev_b64 v[11:12], 3, v[9:10]
	s_delay_alu instid0(VALU_DEP_1) | instskip(NEXT) | instid1(VALU_DEP_2)
	v_add_co_u32 v11, vcc_lo, s20, v11
	v_add_co_ci_u32_e32 v12, vcc_lo, s21, v12, vcc_lo
	v_add_co_u32 v13, vcc_lo, v9, 1
	global_load_b64 v[11:12], v[11:12], off
	s_waitcnt vmcnt(0) lgkmcnt(1)
	v_cmp_lt_i64_e64 s0, v[11:12], v[3:4]
	v_add_co_ci_u32_e32 v11, vcc_lo, 0, v10, vcc_lo
	s_delay_alu instid0(VALU_DEP_2) | instskip(SKIP_1) | instid1(VALU_DEP_3)
	v_cndmask_b32_e64 v8, v10, v8, s0
	v_cndmask_b32_e64 v7, v9, v7, s0
	;; [unrolled: 1-line block ×4, first 2 shown]
	s_delay_alu instid0(VALU_DEP_1) | instskip(SKIP_1) | instid1(SALU_CYCLE_1)
	v_cmp_ge_u64_e32 vcc_lo, v[5:6], v[7:8]
	s_or_b32 s19, vcc_lo, s19
	s_and_not1_b32 exec_lo, exec_lo, s19
	s_cbranch_execnz .LBB499_87
; %bb.88:
	s_set_inst_prefetch_distance 0x2
	s_or_b32 exec_lo, exec_lo, s19
.LBB499_89:
	s_mov_b32 s19, 0
	s_mov_b32 s0, exec_lo
	s_delay_alu instid0(VALU_DEP_1)
	v_cmpx_ne_u64_e64 s[22:23], v[5:6]
	s_cbranch_execz .LBB499_91
; %bb.90:
	v_lshlrev_b64 v[5:6], 3, v[5:6]
	s_delay_alu instid0(VALU_DEP_1) | instskip(NEXT) | instid1(VALU_DEP_2)
	v_add_co_u32 v5, vcc_lo, s20, v5
	v_add_co_ci_u32_e32 v6, vcc_lo, s21, v6, vcc_lo
	global_load_b64 v[5:6], v[5:6], off
	s_waitcnt vmcnt(0) lgkmcnt(1)
	v_cmp_le_i64_e32 vcc_lo, v[5:6], v[3:4]
	s_and_b32 s19, vcc_lo, exec_lo
.LBB499_91:
	s_or_b32 exec_lo, exec_lo, s0
	v_cmp_ne_u32_e32 vcc_lo, 1, v35
	s_waitcnt vmcnt(1) lgkmcnt(1)
	v_mov_b32_e32 v3, 0
	v_mov_b32_e32 v4, 0
	s_cbranch_vccnz .LBB499_95
; %bb.92:
	v_dual_mov_b32 v5, s22 :: v_dual_mov_b32 v6, s23
	s_mov_b32 s26, 0
	s_set_inst_prefetch_distance 0x1
	.p2align	6
.LBB499_93:                             ; =>This Inner Loop Header: Depth=1
	s_delay_alu instid0(VALU_DEP_1) | instskip(NEXT) | instid1(VALU_DEP_2)
	v_sub_co_u32 v7, vcc_lo, v5, v3
	v_sub_co_ci_u32_e32 v8, vcc_lo, v6, v4, vcc_lo
	s_delay_alu instid0(VALU_DEP_1) | instskip(SKIP_1) | instid1(VALU_DEP_2)
	v_lshrrev_b64 v[9:10], 1, v[7:8]
	v_lshrrev_b64 v[7:8], 6, v[7:8]
	v_add_co_u32 v9, vcc_lo, v9, v3
	s_delay_alu instid0(VALU_DEP_3) | instskip(NEXT) | instid1(VALU_DEP_2)
	v_add_co_ci_u32_e32 v10, vcc_lo, v10, v4, vcc_lo
	v_add_co_u32 v7, vcc_lo, v9, v7
	s_delay_alu instid0(VALU_DEP_2) | instskip(NEXT) | instid1(VALU_DEP_1)
	v_add_co_ci_u32_e32 v8, vcc_lo, v10, v8, vcc_lo
	v_lshlrev_b64 v[9:10], 3, v[7:8]
	s_delay_alu instid0(VALU_DEP_1) | instskip(NEXT) | instid1(VALU_DEP_2)
	v_add_co_u32 v9, vcc_lo, s20, v9
	v_add_co_ci_u32_e32 v10, vcc_lo, s21, v10, vcc_lo
	v_add_co_u32 v11, vcc_lo, v7, 1
	global_load_b64 v[9:10], v[9:10], off
	s_waitcnt vmcnt(0) lgkmcnt(0)
	v_cmp_lt_i64_e64 s0, v[9:10], v[1:2]
	v_add_co_ci_u32_e32 v9, vcc_lo, 0, v8, vcc_lo
	s_delay_alu instid0(VALU_DEP_2) | instskip(SKIP_1) | instid1(VALU_DEP_3)
	v_cndmask_b32_e64 v6, v8, v6, s0
	v_cndmask_b32_e64 v5, v7, v5, s0
	;; [unrolled: 1-line block ×4, first 2 shown]
	s_delay_alu instid0(VALU_DEP_1) | instskip(SKIP_1) | instid1(SALU_CYCLE_1)
	v_cmp_ge_u64_e32 vcc_lo, v[3:4], v[5:6]
	s_or_b32 s26, vcc_lo, s26
	s_and_not1_b32 exec_lo, exec_lo, s26
	s_cbranch_execnz .LBB499_93
; %bb.94:
	s_set_inst_prefetch_distance 0x2
	s_or_b32 exec_lo, exec_lo, s26
.LBB499_95:
	s_mov_b32 s0, 0
	s_mov_b32 s26, 0
	s_mov_b32 s27, exec_lo
	v_cmpx_ne_u64_e64 s[22:23], v[3:4]
	s_cbranch_execz .LBB499_97
; %bb.96:
	v_lshlrev_b64 v[3:4], 3, v[3:4]
	s_delay_alu instid0(VALU_DEP_1) | instskip(NEXT) | instid1(VALU_DEP_2)
	v_add_co_u32 v3, vcc_lo, s20, v3
	v_add_co_ci_u32_e32 v4, vcc_lo, s21, v4, vcc_lo
	global_load_b64 v[3:4], v[3:4], off
	s_waitcnt vmcnt(0) lgkmcnt(0)
	v_cmp_le_i64_e32 vcc_lo, v[3:4], v[1:2]
	s_and_b32 s26, vcc_lo, exec_lo
.LBB499_97:
	s_or_b32 exec_lo, exec_lo, s27
	v_cndmask_b32_e64 v15, 0, 1, s1
	s_add_u32 s1, s17, s18
	v_cndmask_b32_e64 v14, 0, 1, s5
	s_addc_u32 s5, s24, 0
	s_waitcnt vmcnt(0) lgkmcnt(0)
	v_add_co_u32 v1, s1, s1, v0
	v_cndmask_b32_e64 v10, 0, 1, s10
	v_add_co_ci_u32_e64 v2, null, s5, 0, s1
	v_cndmask_b32_e64 v9, 0, 1, s11
	v_cndmask_b32_e64 v16, 0, 1, s2
	;; [unrolled: 1-line block ×13, first 2 shown]
	s_clause 0x7
	flat_store_b8 v[1:2], v15
	flat_store_b8 v[1:2], v16 offset:64
	flat_store_b8 v[1:2], v17 offset:128
	;; [unrolled: 1-line block ×7, first 2 shown]
	s_mov_b32 s19, -1
	s_clause 0x6
	flat_store_b8 v[1:2], v10 offset:512
	flat_store_b8 v[1:2], v9 offset:576
	;; [unrolled: 1-line block ×7, first 2 shown]
	s_and_b32 vcc_lo, exec_lo, s0
	s_cbranch_vccnz .LBB499_99
	s_branch .LBB499_277
.LBB499_98:
                                        ; implicit-def: $vgpr3
                                        ; implicit-def: $vgpr1_vgpr2
	s_and_b32 vcc_lo, exec_lo, s0
	s_cbranch_vccz .LBB499_277
.LBB499_99:
	s_sub_i32 s15, s8, s18
                                        ; implicit-def: $vgpr31_vgpr32
	s_delay_alu instid0(SALU_CYCLE_1) | instskip(NEXT) | instid1(VALU_DEP_1)
	v_cmp_gt_u32_e64 s0, s15, v0
	s_and_saveexec_b32 s1, s0
	s_cbranch_execz .LBB499_101
; %bb.100:
	v_lshlrev_b32_e32 v1, 3, v0
	s_delay_alu instid0(VALU_DEP_1) | instskip(NEXT) | instid1(VALU_DEP_1)
	v_add_co_u32 v1, s2, s16, v1
	v_add_co_ci_u32_e64 v2, null, s25, 0, s2
	flat_load_b64 v[31:32], v[1:2]
.LBB499_101:
	s_or_b32 exec_lo, exec_lo, s1
	v_or_b32_e32 v1, 64, v0
                                        ; implicit-def: $vgpr29_vgpr30
	s_delay_alu instid0(VALU_DEP_1) | instskip(NEXT) | instid1(VALU_DEP_1)
	v_cmp_gt_u32_e64 s1, s15, v1
	s_and_saveexec_b32 s2, s1
	s_cbranch_execz .LBB499_103
; %bb.102:
	v_lshlrev_b32_e32 v1, 3, v0
	s_delay_alu instid0(VALU_DEP_1) | instskip(NEXT) | instid1(VALU_DEP_1)
	v_add_co_u32 v1, s3, s16, v1
	v_add_co_ci_u32_e64 v2, null, s25, 0, s3
	flat_load_b64 v[29:30], v[1:2] offset:512
.LBB499_103:
	s_or_b32 exec_lo, exec_lo, s2
	v_or_b32_e32 v1, 0x80, v0
                                        ; implicit-def: $vgpr27_vgpr28
	s_delay_alu instid0(VALU_DEP_1) | instskip(NEXT) | instid1(VALU_DEP_1)
	v_cmp_gt_u32_e64 s2, s15, v1
	s_and_saveexec_b32 s3, s2
	s_cbranch_execz .LBB499_105
; %bb.104:
	v_lshlrev_b32_e32 v1, 3, v0
	s_delay_alu instid0(VALU_DEP_1) | instskip(NEXT) | instid1(VALU_DEP_1)
	v_add_co_u32 v1, s4, s16, v1
	v_add_co_ci_u32_e64 v2, null, s25, 0, s4
	flat_load_b64 v[27:28], v[1:2] offset:1024
.LBB499_105:
	s_or_b32 exec_lo, exec_lo, s3
	v_or_b32_e32 v1, 0xc0, v0
                                        ; implicit-def: $vgpr25_vgpr26
	s_delay_alu instid0(VALU_DEP_1) | instskip(NEXT) | instid1(VALU_DEP_1)
	v_cmp_gt_u32_e64 s3, s15, v1
	s_and_saveexec_b32 s4, s3
	s_cbranch_execz .LBB499_107
; %bb.106:
	v_lshlrev_b32_e32 v1, 3, v0
	s_delay_alu instid0(VALU_DEP_1) | instskip(NEXT) | instid1(VALU_DEP_1)
	v_add_co_u32 v1, s5, s16, v1
	v_add_co_ci_u32_e64 v2, null, s25, 0, s5
	flat_load_b64 v[25:26], v[1:2] offset:1536
.LBB499_107:
	s_or_b32 exec_lo, exec_lo, s4
	v_or_b32_e32 v1, 0x100, v0
                                        ; implicit-def: $vgpr23_vgpr24
	s_delay_alu instid0(VALU_DEP_1) | instskip(NEXT) | instid1(VALU_DEP_1)
	v_cmp_gt_u32_e64 s4, s15, v1
	s_and_saveexec_b32 s5, s4
	s_cbranch_execz .LBB499_109
; %bb.108:
	v_lshlrev_b32_e32 v1, 3, v0
	s_delay_alu instid0(VALU_DEP_1) | instskip(NEXT) | instid1(VALU_DEP_1)
	v_add_co_u32 v1, s6, s16, v1
	v_add_co_ci_u32_e64 v2, null, s25, 0, s6
	flat_load_b64 v[23:24], v[1:2] offset:2048
.LBB499_109:
	s_or_b32 exec_lo, exec_lo, s5
	v_or_b32_e32 v1, 0x140, v0
                                        ; implicit-def: $vgpr21_vgpr22
	s_delay_alu instid0(VALU_DEP_1) | instskip(NEXT) | instid1(VALU_DEP_1)
	v_cmp_gt_u32_e64 s5, s15, v1
	s_and_saveexec_b32 s6, s5
	s_cbranch_execz .LBB499_111
; %bb.110:
	v_lshlrev_b32_e32 v1, 3, v0
	s_delay_alu instid0(VALU_DEP_1) | instskip(NEXT) | instid1(VALU_DEP_1)
	v_add_co_u32 v1, s7, s16, v1
	v_add_co_ci_u32_e64 v2, null, s25, 0, s7
	flat_load_b64 v[21:22], v[1:2] offset:2560
.LBB499_111:
	s_or_b32 exec_lo, exec_lo, s6
	v_or_b32_e32 v1, 0x180, v0
                                        ; implicit-def: $vgpr19_vgpr20
	s_delay_alu instid0(VALU_DEP_1) | instskip(NEXT) | instid1(VALU_DEP_1)
	v_cmp_gt_u32_e64 s6, s15, v1
	s_and_saveexec_b32 s7, s6
	s_cbranch_execz .LBB499_113
; %bb.112:
	v_lshlrev_b32_e32 v1, 3, v0
	s_delay_alu instid0(VALU_DEP_1) | instskip(NEXT) | instid1(VALU_DEP_1)
	v_add_co_u32 v1, s8, s16, v1
	v_add_co_ci_u32_e64 v2, null, s25, 0, s8
	flat_load_b64 v[19:20], v[1:2] offset:3072
.LBB499_113:
	s_or_b32 exec_lo, exec_lo, s7
	v_or_b32_e32 v1, 0x1c0, v0
                                        ; implicit-def: $vgpr17_vgpr18
	s_delay_alu instid0(VALU_DEP_1) | instskip(NEXT) | instid1(VALU_DEP_1)
	v_cmp_gt_u32_e64 s7, s15, v1
	s_and_saveexec_b32 s8, s7
	s_cbranch_execz .LBB499_115
; %bb.114:
	v_lshlrev_b32_e32 v1, 3, v0
	s_delay_alu instid0(VALU_DEP_1) | instskip(NEXT) | instid1(VALU_DEP_1)
	v_add_co_u32 v1, s9, s16, v1
	v_add_co_ci_u32_e64 v2, null, s25, 0, s9
	flat_load_b64 v[17:18], v[1:2] offset:3584
.LBB499_115:
	s_or_b32 exec_lo, exec_lo, s8
	v_or_b32_e32 v1, 0x200, v0
                                        ; implicit-def: $vgpr15_vgpr16
	s_delay_alu instid0(VALU_DEP_1) | instskip(NEXT) | instid1(VALU_DEP_1)
	v_cmp_gt_u32_e64 s8, s15, v1
	s_and_saveexec_b32 s9, s8
	s_cbranch_execz .LBB499_117
; %bb.116:
	v_lshlrev_b32_e32 v1, 3, v1
	s_delay_alu instid0(VALU_DEP_1) | instskip(NEXT) | instid1(VALU_DEP_1)
	v_add_co_u32 v1, s10, s16, v1
	v_add_co_ci_u32_e64 v2, null, s25, 0, s10
	flat_load_b64 v[15:16], v[1:2]
.LBB499_117:
	s_or_b32 exec_lo, exec_lo, s9
	v_or_b32_e32 v1, 0x240, v0
                                        ; implicit-def: $vgpr13_vgpr14
	s_delay_alu instid0(VALU_DEP_1) | instskip(NEXT) | instid1(VALU_DEP_1)
	v_cmp_gt_u32_e64 s9, s15, v1
	s_and_saveexec_b32 s10, s9
	s_cbranch_execz .LBB499_119
; %bb.118:
	v_lshlrev_b32_e32 v1, 3, v1
	s_delay_alu instid0(VALU_DEP_1) | instskip(NEXT) | instid1(VALU_DEP_1)
	v_add_co_u32 v1, s11, s16, v1
	v_add_co_ci_u32_e64 v2, null, s25, 0, s11
	flat_load_b64 v[13:14], v[1:2]
.LBB499_119:
	s_or_b32 exec_lo, exec_lo, s10
	v_or_b32_e32 v1, 0x280, v0
                                        ; implicit-def: $vgpr11_vgpr12
	s_delay_alu instid0(VALU_DEP_1) | instskip(NEXT) | instid1(VALU_DEP_1)
	v_cmp_gt_u32_e64 s10, s15, v1
	s_and_saveexec_b32 s11, s10
	s_cbranch_execz .LBB499_121
; %bb.120:
	v_lshlrev_b32_e32 v1, 3, v1
	s_delay_alu instid0(VALU_DEP_1) | instskip(NEXT) | instid1(VALU_DEP_1)
	v_add_co_u32 v1, s12, s16, v1
	v_add_co_ci_u32_e64 v2, null, s25, 0, s12
	flat_load_b64 v[11:12], v[1:2]
.LBB499_121:
	s_or_b32 exec_lo, exec_lo, s11
	v_or_b32_e32 v1, 0x2c0, v0
                                        ; implicit-def: $vgpr9_vgpr10
	s_delay_alu instid0(VALU_DEP_1) | instskip(NEXT) | instid1(VALU_DEP_1)
	v_cmp_gt_u32_e64 s11, s15, v1
	s_and_saveexec_b32 s12, s11
	s_cbranch_execz .LBB499_123
; %bb.122:
	v_lshlrev_b32_e32 v1, 3, v1
	s_delay_alu instid0(VALU_DEP_1) | instskip(NEXT) | instid1(VALU_DEP_1)
	v_add_co_u32 v1, s13, s16, v1
	v_add_co_ci_u32_e64 v2, null, s25, 0, s13
	flat_load_b64 v[9:10], v[1:2]
.LBB499_123:
	s_or_b32 exec_lo, exec_lo, s12
	v_or_b32_e32 v1, 0x300, v0
                                        ; implicit-def: $vgpr7_vgpr8
	s_delay_alu instid0(VALU_DEP_1) | instskip(NEXT) | instid1(VALU_DEP_1)
	v_cmp_gt_u32_e64 s12, s15, v1
	s_and_saveexec_b32 s13, s12
	s_cbranch_execz .LBB499_125
; %bb.124:
	v_lshlrev_b32_e32 v1, 3, v1
	s_delay_alu instid0(VALU_DEP_1) | instskip(NEXT) | instid1(VALU_DEP_1)
	v_add_co_u32 v1, s14, s16, v1
	v_add_co_ci_u32_e64 v2, null, s25, 0, s14
	flat_load_b64 v[7:8], v[1:2]
.LBB499_125:
	s_or_b32 exec_lo, exec_lo, s13
	v_or_b32_e32 v1, 0x340, v0
                                        ; implicit-def: $vgpr5_vgpr6
	s_delay_alu instid0(VALU_DEP_1) | instskip(NEXT) | instid1(VALU_DEP_1)
	v_cmp_gt_u32_e64 s13, s15, v1
	s_and_saveexec_b32 s14, s13
	s_cbranch_execz .LBB499_127
; %bb.126:
	v_lshlrev_b32_e32 v1, 3, v1
	s_delay_alu instid0(VALU_DEP_1) | instskip(NEXT) | instid1(VALU_DEP_1)
	v_add_co_u32 v1, s26, s16, v1
	v_add_co_ci_u32_e64 v2, null, s25, 0, s26
	flat_load_b64 v[5:6], v[1:2]
.LBB499_127:
	s_or_b32 exec_lo, exec_lo, s14
	v_or_b32_e32 v1, 0x380, v0
                                        ; implicit-def: $vgpr3_vgpr4
	s_delay_alu instid0(VALU_DEP_1) | instskip(NEXT) | instid1(VALU_DEP_1)
	v_cmp_gt_u32_e64 s14, s15, v1
	s_and_saveexec_b32 s26, s14
	s_cbranch_execz .LBB499_129
; %bb.128:
	v_lshlrev_b32_e32 v1, 3, v1
	s_delay_alu instid0(VALU_DEP_1) | instskip(NEXT) | instid1(VALU_DEP_1)
	v_add_co_u32 v1, s27, s16, v1
	v_add_co_ci_u32_e64 v2, null, s25, 0, s27
	flat_load_b64 v[3:4], v[1:2]
.LBB499_129:
	s_or_b32 exec_lo, exec_lo, s26
	v_or_b32_e32 v33, 0x3c0, v0
                                        ; implicit-def: $vgpr1_vgpr2
	s_delay_alu instid0(VALU_DEP_1) | instskip(NEXT) | instid1(VALU_DEP_1)
	v_cmp_gt_u32_e64 s15, s15, v33
	s_and_saveexec_b32 s26, s15
	s_cbranch_execz .LBB499_131
; %bb.130:
	v_lshlrev_b32_e32 v1, 3, v33
	s_delay_alu instid0(VALU_DEP_1) | instskip(NEXT) | instid1(VALU_DEP_1)
	v_add_co_u32 v1, s16, s16, v1
	v_add_co_ci_u32_e64 v2, null, s25, 0, s16
	flat_load_b64 v[1:2], v[1:2]
.LBB499_131:
	s_or_b32 exec_lo, exec_lo, s26
	s_cmp_lg_u64 s[22:23], 0
                                        ; implicit-def: $vgpr35
	s_cselect_b32 s25, -1, 0
	s_and_saveexec_b32 s26, s0
	s_cbranch_execnz .LBB499_147
; %bb.132:
	s_or_b32 exec_lo, exec_lo, s26
                                        ; implicit-def: $vgpr33
	s_and_saveexec_b32 s26, s1
	s_cbranch_execnz .LBB499_154
.LBB499_133:
	s_or_b32 exec_lo, exec_lo, s26
                                        ; implicit-def: $vgpr31
	s_and_saveexec_b32 s26, s2
	s_cbranch_execnz .LBB499_161
.LBB499_134:
	s_or_b32 exec_lo, exec_lo, s26
                                        ; implicit-def: $vgpr29
	s_and_saveexec_b32 s26, s3
	s_cbranch_execnz .LBB499_168
.LBB499_135:
	s_or_b32 exec_lo, exec_lo, s26
                                        ; implicit-def: $vgpr27
	s_and_saveexec_b32 s26, s4
	s_cbranch_execnz .LBB499_175
.LBB499_136:
	s_or_b32 exec_lo, exec_lo, s26
                                        ; implicit-def: $vgpr25
	s_and_saveexec_b32 s26, s5
	s_cbranch_execnz .LBB499_182
.LBB499_137:
	s_or_b32 exec_lo, exec_lo, s26
                                        ; implicit-def: $vgpr23
	s_and_saveexec_b32 s26, s6
	s_cbranch_execnz .LBB499_189
.LBB499_138:
	s_or_b32 exec_lo, exec_lo, s26
                                        ; implicit-def: $vgpr21
	s_and_saveexec_b32 s26, s7
	s_cbranch_execnz .LBB499_196
.LBB499_139:
	s_or_b32 exec_lo, exec_lo, s26
                                        ; implicit-def: $vgpr19
	s_and_saveexec_b32 s26, s8
	s_cbranch_execnz .LBB499_203
.LBB499_140:
	s_or_b32 exec_lo, exec_lo, s26
                                        ; implicit-def: $vgpr17
	s_and_saveexec_b32 s26, s9
	s_cbranch_execnz .LBB499_210
.LBB499_141:
	s_or_b32 exec_lo, exec_lo, s26
                                        ; implicit-def: $vgpr15
	s_and_saveexec_b32 s26, s10
	s_cbranch_execnz .LBB499_217
.LBB499_142:
	s_or_b32 exec_lo, exec_lo, s26
                                        ; implicit-def: $vgpr13
	s_and_saveexec_b32 s26, s11
	s_cbranch_execnz .LBB499_224
.LBB499_143:
	s_or_b32 exec_lo, exec_lo, s26
                                        ; implicit-def: $vgpr11
	s_and_saveexec_b32 s26, s12
	s_cbranch_execnz .LBB499_231
.LBB499_144:
	s_or_b32 exec_lo, exec_lo, s26
                                        ; implicit-def: $vgpr9
	s_and_saveexec_b32 s26, s13
	s_cbranch_execnz .LBB499_238
.LBB499_145:
	s_or_b32 exec_lo, exec_lo, s26
                                        ; implicit-def: $vgpr7
	s_and_saveexec_b32 s26, s14
	s_cbranch_execnz .LBB499_245
.LBB499_146:
	s_or_b32 exec_lo, exec_lo, s26
                                        ; implicit-def: $vgpr3
	s_and_saveexec_b32 s26, s15
	s_cbranch_execnz .LBB499_252
	s_branch .LBB499_259
.LBB499_147:
	v_mov_b32_e32 v33, 0
	v_mov_b32_e32 v34, 0
	s_and_not1_b32 vcc_lo, exec_lo, s25
	s_cbranch_vccnz .LBB499_151
; %bb.148:
	v_dual_mov_b32 v36, s23 :: v_dual_mov_b32 v35, s22
	s_mov_b32 s27, 0
	s_set_inst_prefetch_distance 0x1
	.p2align	6
.LBB499_149:                            ; =>This Inner Loop Header: Depth=1
	s_delay_alu instid0(VALU_DEP_1) | instskip(NEXT) | instid1(VALU_DEP_2)
	v_sub_co_u32 v37, vcc_lo, v35, v33
	v_sub_co_ci_u32_e32 v38, vcc_lo, v36, v34, vcc_lo
	s_delay_alu instid0(VALU_DEP_1) | instskip(SKIP_1) | instid1(VALU_DEP_2)
	v_lshrrev_b64 v[39:40], 1, v[37:38]
	v_lshrrev_b64 v[37:38], 6, v[37:38]
	v_add_co_u32 v39, vcc_lo, v39, v33
	s_delay_alu instid0(VALU_DEP_3) | instskip(NEXT) | instid1(VALU_DEP_2)
	v_add_co_ci_u32_e32 v40, vcc_lo, v40, v34, vcc_lo
	v_add_co_u32 v37, vcc_lo, v39, v37
	s_delay_alu instid0(VALU_DEP_2) | instskip(NEXT) | instid1(VALU_DEP_1)
	v_add_co_ci_u32_e32 v38, vcc_lo, v40, v38, vcc_lo
	v_lshlrev_b64 v[39:40], 3, v[37:38]
	s_delay_alu instid0(VALU_DEP_1) | instskip(NEXT) | instid1(VALU_DEP_2)
	v_add_co_u32 v39, vcc_lo, s20, v39
	v_add_co_ci_u32_e32 v40, vcc_lo, s21, v40, vcc_lo
	v_add_co_u32 v41, vcc_lo, v37, 1
	global_load_b64 v[39:40], v[39:40], off
	s_waitcnt vmcnt(0) lgkmcnt(0)
	v_cmp_lt_i64_e64 s16, v[39:40], v[31:32]
	v_add_co_ci_u32_e32 v39, vcc_lo, 0, v38, vcc_lo
	s_delay_alu instid0(VALU_DEP_2) | instskip(SKIP_1) | instid1(VALU_DEP_3)
	v_cndmask_b32_e64 v36, v38, v36, s16
	v_cndmask_b32_e64 v35, v37, v35, s16
	v_cndmask_b32_e64 v34, v34, v39, s16
	v_cndmask_b32_e64 v33, v33, v41, s16
	s_delay_alu instid0(VALU_DEP_1) | instskip(SKIP_1) | instid1(SALU_CYCLE_1)
	v_cmp_ge_u64_e32 vcc_lo, v[33:34], v[35:36]
	s_or_b32 s27, vcc_lo, s27
	s_and_not1_b32 exec_lo, exec_lo, s27
	s_cbranch_execnz .LBB499_149
; %bb.150:
	s_set_inst_prefetch_distance 0x2
	s_or_b32 exec_lo, exec_lo, s27
.LBB499_151:
	s_mov_b32 s27, 0
	s_mov_b32 s16, exec_lo
	v_cmpx_ne_u64_e64 s[22:23], v[33:34]
	s_cbranch_execz .LBB499_153
; %bb.152:
	v_lshlrev_b64 v[33:34], 3, v[33:34]
	s_delay_alu instid0(VALU_DEP_1) | instskip(NEXT) | instid1(VALU_DEP_2)
	v_add_co_u32 v33, vcc_lo, s20, v33
	v_add_co_ci_u32_e32 v34, vcc_lo, s21, v34, vcc_lo
	global_load_b64 v[33:34], v[33:34], off
	s_waitcnt vmcnt(0) lgkmcnt(0)
	v_cmp_le_i64_e32 vcc_lo, v[33:34], v[31:32]
	s_and_b32 s27, vcc_lo, exec_lo
.LBB499_153:
	s_or_b32 exec_lo, exec_lo, s16
	v_cndmask_b32_e64 v35, 0, 1, s27
	s_or_b32 exec_lo, exec_lo, s26
                                        ; implicit-def: $vgpr33
	s_and_saveexec_b32 s26, s1
	s_cbranch_execz .LBB499_133
.LBB499_154:
	s_waitcnt vmcnt(0) lgkmcnt(0)
	v_mov_b32_e32 v31, 0
	v_mov_b32_e32 v32, 0
	s_and_not1_b32 vcc_lo, exec_lo, s25
	s_cbranch_vccnz .LBB499_158
; %bb.155:
	v_dual_mov_b32 v34, s23 :: v_dual_mov_b32 v33, s22
	s_mov_b32 s27, 0
	s_set_inst_prefetch_distance 0x1
	.p2align	6
.LBB499_156:                            ; =>This Inner Loop Header: Depth=1
	s_delay_alu instid0(VALU_DEP_1) | instskip(NEXT) | instid1(VALU_DEP_2)
	v_sub_co_u32 v36, vcc_lo, v33, v31
	v_sub_co_ci_u32_e32 v37, vcc_lo, v34, v32, vcc_lo
	s_delay_alu instid0(VALU_DEP_1) | instskip(SKIP_1) | instid1(VALU_DEP_2)
	v_lshrrev_b64 v[38:39], 1, v[36:37]
	v_lshrrev_b64 v[36:37], 6, v[36:37]
	v_add_co_u32 v38, vcc_lo, v38, v31
	s_delay_alu instid0(VALU_DEP_3) | instskip(NEXT) | instid1(VALU_DEP_2)
	v_add_co_ci_u32_e32 v39, vcc_lo, v39, v32, vcc_lo
	v_add_co_u32 v36, vcc_lo, v38, v36
	s_delay_alu instid0(VALU_DEP_2) | instskip(NEXT) | instid1(VALU_DEP_1)
	v_add_co_ci_u32_e32 v37, vcc_lo, v39, v37, vcc_lo
	v_lshlrev_b64 v[38:39], 3, v[36:37]
	s_delay_alu instid0(VALU_DEP_1) | instskip(NEXT) | instid1(VALU_DEP_2)
	v_add_co_u32 v38, vcc_lo, s20, v38
	v_add_co_ci_u32_e32 v39, vcc_lo, s21, v39, vcc_lo
	v_add_co_u32 v40, vcc_lo, v36, 1
	global_load_b64 v[38:39], v[38:39], off
	s_waitcnt vmcnt(0)
	v_cmp_lt_i64_e64 s16, v[38:39], v[29:30]
	v_add_co_ci_u32_e32 v38, vcc_lo, 0, v37, vcc_lo
	s_delay_alu instid0(VALU_DEP_2) | instskip(SKIP_1) | instid1(VALU_DEP_3)
	v_cndmask_b32_e64 v34, v37, v34, s16
	v_cndmask_b32_e64 v33, v36, v33, s16
	v_cndmask_b32_e64 v32, v32, v38, s16
	v_cndmask_b32_e64 v31, v31, v40, s16
	s_delay_alu instid0(VALU_DEP_1) | instskip(SKIP_1) | instid1(SALU_CYCLE_1)
	v_cmp_ge_u64_e32 vcc_lo, v[31:32], v[33:34]
	s_or_b32 s27, vcc_lo, s27
	s_and_not1_b32 exec_lo, exec_lo, s27
	s_cbranch_execnz .LBB499_156
; %bb.157:
	s_set_inst_prefetch_distance 0x2
	s_or_b32 exec_lo, exec_lo, s27
.LBB499_158:
	s_mov_b32 s27, 0
	s_mov_b32 s16, exec_lo
	v_cmpx_ne_u64_e64 s[22:23], v[31:32]
	s_cbranch_execz .LBB499_160
; %bb.159:
	v_lshlrev_b64 v[31:32], 3, v[31:32]
	s_delay_alu instid0(VALU_DEP_1) | instskip(NEXT) | instid1(VALU_DEP_2)
	v_add_co_u32 v31, vcc_lo, s20, v31
	v_add_co_ci_u32_e32 v32, vcc_lo, s21, v32, vcc_lo
	global_load_b64 v[31:32], v[31:32], off
	s_waitcnt vmcnt(0)
	v_cmp_le_i64_e32 vcc_lo, v[31:32], v[29:30]
	s_and_b32 s27, vcc_lo, exec_lo
.LBB499_160:
	s_or_b32 exec_lo, exec_lo, s16
	v_cndmask_b32_e64 v33, 0, 1, s27
	s_or_b32 exec_lo, exec_lo, s26
                                        ; implicit-def: $vgpr31
	s_and_saveexec_b32 s26, s2
	s_cbranch_execz .LBB499_134
.LBB499_161:
	s_waitcnt vmcnt(0) lgkmcnt(0)
	v_mov_b32_e32 v29, 0
	v_mov_b32_e32 v30, 0
	s_and_not1_b32 vcc_lo, exec_lo, s25
	s_cbranch_vccnz .LBB499_165
; %bb.162:
	v_dual_mov_b32 v32, s23 :: v_dual_mov_b32 v31, s22
	s_mov_b32 s27, 0
	s_set_inst_prefetch_distance 0x1
	.p2align	6
.LBB499_163:                            ; =>This Inner Loop Header: Depth=1
	s_delay_alu instid0(VALU_DEP_1) | instskip(NEXT) | instid1(VALU_DEP_2)
	v_sub_co_u32 v36, vcc_lo, v31, v29
	v_sub_co_ci_u32_e32 v37, vcc_lo, v32, v30, vcc_lo
	s_delay_alu instid0(VALU_DEP_1) | instskip(SKIP_1) | instid1(VALU_DEP_2)
	v_lshrrev_b64 v[38:39], 1, v[36:37]
	v_lshrrev_b64 v[36:37], 6, v[36:37]
	v_add_co_u32 v34, vcc_lo, v38, v29
	s_delay_alu instid0(VALU_DEP_3) | instskip(NEXT) | instid1(VALU_DEP_2)
	v_add_co_ci_u32_e32 v38, vcc_lo, v39, v30, vcc_lo
	v_add_co_u32 v36, vcc_lo, v34, v36
	s_delay_alu instid0(VALU_DEP_2) | instskip(NEXT) | instid1(VALU_DEP_1)
	v_add_co_ci_u32_e32 v37, vcc_lo, v38, v37, vcc_lo
	v_lshlrev_b64 v[38:39], 3, v[36:37]
	s_delay_alu instid0(VALU_DEP_1) | instskip(NEXT) | instid1(VALU_DEP_2)
	v_add_co_u32 v38, vcc_lo, s20, v38
	v_add_co_ci_u32_e32 v39, vcc_lo, s21, v39, vcc_lo
	v_add_co_u32 v34, vcc_lo, v36, 1
	global_load_b64 v[38:39], v[38:39], off
	s_waitcnt vmcnt(0)
	v_cmp_lt_i64_e64 s16, v[38:39], v[27:28]
	v_add_co_ci_u32_e32 v38, vcc_lo, 0, v37, vcc_lo
	s_delay_alu instid0(VALU_DEP_2) | instskip(SKIP_1) | instid1(VALU_DEP_3)
	v_cndmask_b32_e64 v32, v37, v32, s16
	v_cndmask_b32_e64 v31, v36, v31, s16
	v_cndmask_b32_e64 v30, v30, v38, s16
	v_cndmask_b32_e64 v29, v29, v34, s16
	s_delay_alu instid0(VALU_DEP_1) | instskip(SKIP_1) | instid1(SALU_CYCLE_1)
	v_cmp_ge_u64_e32 vcc_lo, v[29:30], v[31:32]
	s_or_b32 s27, vcc_lo, s27
	s_and_not1_b32 exec_lo, exec_lo, s27
	s_cbranch_execnz .LBB499_163
; %bb.164:
	s_set_inst_prefetch_distance 0x2
	s_or_b32 exec_lo, exec_lo, s27
.LBB499_165:
	s_mov_b32 s27, 0
	s_mov_b32 s16, exec_lo
	v_cmpx_ne_u64_e64 s[22:23], v[29:30]
	s_cbranch_execz .LBB499_167
; %bb.166:
	v_lshlrev_b64 v[29:30], 3, v[29:30]
	s_delay_alu instid0(VALU_DEP_1) | instskip(NEXT) | instid1(VALU_DEP_2)
	v_add_co_u32 v29, vcc_lo, s20, v29
	v_add_co_ci_u32_e32 v30, vcc_lo, s21, v30, vcc_lo
	global_load_b64 v[29:30], v[29:30], off
	s_waitcnt vmcnt(0)
	v_cmp_le_i64_e32 vcc_lo, v[29:30], v[27:28]
	s_and_b32 s27, vcc_lo, exec_lo
.LBB499_167:
	s_or_b32 exec_lo, exec_lo, s16
	v_cndmask_b32_e64 v31, 0, 1, s27
	s_or_b32 exec_lo, exec_lo, s26
                                        ; implicit-def: $vgpr29
	s_and_saveexec_b32 s26, s3
	s_cbranch_execz .LBB499_135
.LBB499_168:
	s_waitcnt vmcnt(0) lgkmcnt(0)
	v_mov_b32_e32 v27, 0
	v_mov_b32_e32 v28, 0
	s_and_not1_b32 vcc_lo, exec_lo, s25
	s_cbranch_vccnz .LBB499_172
; %bb.169:
	v_dual_mov_b32 v30, s23 :: v_dual_mov_b32 v29, s22
	s_mov_b32 s27, 0
	s_set_inst_prefetch_distance 0x1
	.p2align	6
.LBB499_170:                            ; =>This Inner Loop Header: Depth=1
	s_delay_alu instid0(VALU_DEP_1) | instskip(NEXT) | instid1(VALU_DEP_2)
	v_sub_co_u32 v36, vcc_lo, v29, v27
	v_sub_co_ci_u32_e32 v37, vcc_lo, v30, v28, vcc_lo
	s_delay_alu instid0(VALU_DEP_1) | instskip(SKIP_1) | instid1(VALU_DEP_2)
	v_lshrrev_b64 v[38:39], 1, v[36:37]
	v_lshrrev_b64 v[36:37], 6, v[36:37]
	v_add_co_u32 v32, vcc_lo, v38, v27
	s_delay_alu instid0(VALU_DEP_3) | instskip(NEXT) | instid1(VALU_DEP_2)
	v_add_co_ci_u32_e32 v34, vcc_lo, v39, v28, vcc_lo
	v_add_co_u32 v36, vcc_lo, v32, v36
	s_delay_alu instid0(VALU_DEP_2) | instskip(NEXT) | instid1(VALU_DEP_1)
	v_add_co_ci_u32_e32 v37, vcc_lo, v34, v37, vcc_lo
	v_lshlrev_b64 v[38:39], 3, v[36:37]
	s_delay_alu instid0(VALU_DEP_1) | instskip(NEXT) | instid1(VALU_DEP_2)
	v_add_co_u32 v38, vcc_lo, s20, v38
	v_add_co_ci_u32_e32 v39, vcc_lo, s21, v39, vcc_lo
	v_add_co_u32 v32, vcc_lo, v36, 1
	v_add_co_ci_u32_e32 v34, vcc_lo, 0, v37, vcc_lo
	global_load_b64 v[38:39], v[38:39], off
	s_waitcnt vmcnt(0)
	v_cmp_lt_i64_e64 s16, v[38:39], v[25:26]
	s_delay_alu instid0(VALU_DEP_1) | instskip(SKIP_3) | instid1(VALU_DEP_1)
	v_cndmask_b32_e64 v30, v37, v30, s16
	v_cndmask_b32_e64 v29, v36, v29, s16
	;; [unrolled: 1-line block ×4, first 2 shown]
	v_cmp_ge_u64_e32 vcc_lo, v[27:28], v[29:30]
	s_or_b32 s27, vcc_lo, s27
	s_delay_alu instid0(SALU_CYCLE_1)
	s_and_not1_b32 exec_lo, exec_lo, s27
	s_cbranch_execnz .LBB499_170
; %bb.171:
	s_set_inst_prefetch_distance 0x2
	s_or_b32 exec_lo, exec_lo, s27
.LBB499_172:
	s_mov_b32 s27, 0
	s_mov_b32 s16, exec_lo
	v_cmpx_ne_u64_e64 s[22:23], v[27:28]
	s_cbranch_execz .LBB499_174
; %bb.173:
	v_lshlrev_b64 v[27:28], 3, v[27:28]
	s_delay_alu instid0(VALU_DEP_1) | instskip(NEXT) | instid1(VALU_DEP_2)
	v_add_co_u32 v27, vcc_lo, s20, v27
	v_add_co_ci_u32_e32 v28, vcc_lo, s21, v28, vcc_lo
	global_load_b64 v[27:28], v[27:28], off
	s_waitcnt vmcnt(0)
	v_cmp_le_i64_e32 vcc_lo, v[27:28], v[25:26]
	s_and_b32 s27, vcc_lo, exec_lo
.LBB499_174:
	s_or_b32 exec_lo, exec_lo, s16
	v_cndmask_b32_e64 v29, 0, 1, s27
	s_or_b32 exec_lo, exec_lo, s26
                                        ; implicit-def: $vgpr27
	s_and_saveexec_b32 s26, s4
	s_cbranch_execz .LBB499_136
.LBB499_175:
	s_waitcnt vmcnt(0) lgkmcnt(0)
	v_mov_b32_e32 v25, 0
	v_mov_b32_e32 v26, 0
	s_and_not1_b32 vcc_lo, exec_lo, s25
	s_cbranch_vccnz .LBB499_179
; %bb.176:
	v_dual_mov_b32 v28, s23 :: v_dual_mov_b32 v27, s22
	s_mov_b32 s27, 0
	s_set_inst_prefetch_distance 0x1
	.p2align	6
.LBB499_177:                            ; =>This Inner Loop Header: Depth=1
	s_delay_alu instid0(VALU_DEP_1) | instskip(NEXT) | instid1(VALU_DEP_2)
	v_sub_co_u32 v36, vcc_lo, v27, v25
	v_sub_co_ci_u32_e32 v37, vcc_lo, v28, v26, vcc_lo
	s_delay_alu instid0(VALU_DEP_1) | instskip(SKIP_1) | instid1(VALU_DEP_2)
	v_lshrrev_b64 v[38:39], 1, v[36:37]
	v_lshrrev_b64 v[36:37], 6, v[36:37]
	v_add_co_u32 v30, vcc_lo, v38, v25
	s_delay_alu instid0(VALU_DEP_3) | instskip(NEXT) | instid1(VALU_DEP_2)
	v_add_co_ci_u32_e32 v32, vcc_lo, v39, v26, vcc_lo
	v_add_co_u32 v36, vcc_lo, v30, v36
	s_delay_alu instid0(VALU_DEP_2) | instskip(NEXT) | instid1(VALU_DEP_1)
	v_add_co_ci_u32_e32 v37, vcc_lo, v32, v37, vcc_lo
	v_lshlrev_b64 v[38:39], 3, v[36:37]
	s_delay_alu instid0(VALU_DEP_1) | instskip(NEXT) | instid1(VALU_DEP_2)
	v_add_co_u32 v38, vcc_lo, s20, v38
	v_add_co_ci_u32_e32 v39, vcc_lo, s21, v39, vcc_lo
	v_add_co_u32 v30, vcc_lo, v36, 1
	v_add_co_ci_u32_e32 v32, vcc_lo, 0, v37, vcc_lo
	global_load_b64 v[38:39], v[38:39], off
	s_waitcnt vmcnt(0)
	v_cmp_lt_i64_e64 s16, v[38:39], v[23:24]
	s_delay_alu instid0(VALU_DEP_1) | instskip(SKIP_3) | instid1(VALU_DEP_1)
	v_cndmask_b32_e64 v28, v37, v28, s16
	v_cndmask_b32_e64 v27, v36, v27, s16
	;; [unrolled: 1-line block ×4, first 2 shown]
	v_cmp_ge_u64_e32 vcc_lo, v[25:26], v[27:28]
	s_or_b32 s27, vcc_lo, s27
	s_delay_alu instid0(SALU_CYCLE_1)
	s_and_not1_b32 exec_lo, exec_lo, s27
	s_cbranch_execnz .LBB499_177
; %bb.178:
	s_set_inst_prefetch_distance 0x2
	s_or_b32 exec_lo, exec_lo, s27
.LBB499_179:
	s_mov_b32 s27, 0
	s_mov_b32 s16, exec_lo
	v_cmpx_ne_u64_e64 s[22:23], v[25:26]
	s_cbranch_execz .LBB499_181
; %bb.180:
	v_lshlrev_b64 v[25:26], 3, v[25:26]
	s_delay_alu instid0(VALU_DEP_1) | instskip(NEXT) | instid1(VALU_DEP_2)
	v_add_co_u32 v25, vcc_lo, s20, v25
	v_add_co_ci_u32_e32 v26, vcc_lo, s21, v26, vcc_lo
	global_load_b64 v[25:26], v[25:26], off
	s_waitcnt vmcnt(0)
	v_cmp_le_i64_e32 vcc_lo, v[25:26], v[23:24]
	s_and_b32 s27, vcc_lo, exec_lo
.LBB499_181:
	s_or_b32 exec_lo, exec_lo, s16
	v_cndmask_b32_e64 v27, 0, 1, s27
	s_or_b32 exec_lo, exec_lo, s26
                                        ; implicit-def: $vgpr25
	s_and_saveexec_b32 s26, s5
	s_cbranch_execz .LBB499_137
.LBB499_182:
	s_waitcnt vmcnt(0) lgkmcnt(0)
	v_mov_b32_e32 v23, 0
	v_mov_b32_e32 v24, 0
	s_and_not1_b32 vcc_lo, exec_lo, s25
	s_cbranch_vccnz .LBB499_186
; %bb.183:
	v_dual_mov_b32 v26, s23 :: v_dual_mov_b32 v25, s22
	s_mov_b32 s27, 0
	s_set_inst_prefetch_distance 0x1
	.p2align	6
.LBB499_184:                            ; =>This Inner Loop Header: Depth=1
	s_delay_alu instid0(VALU_DEP_1) | instskip(NEXT) | instid1(VALU_DEP_2)
	v_sub_co_u32 v36, vcc_lo, v25, v23
	v_sub_co_ci_u32_e32 v37, vcc_lo, v26, v24, vcc_lo
	s_delay_alu instid0(VALU_DEP_1) | instskip(SKIP_1) | instid1(VALU_DEP_2)
	v_lshrrev_b64 v[38:39], 1, v[36:37]
	v_lshrrev_b64 v[36:37], 6, v[36:37]
	v_add_co_u32 v28, vcc_lo, v38, v23
	s_delay_alu instid0(VALU_DEP_3) | instskip(NEXT) | instid1(VALU_DEP_2)
	v_add_co_ci_u32_e32 v30, vcc_lo, v39, v24, vcc_lo
	v_add_co_u32 v36, vcc_lo, v28, v36
	s_delay_alu instid0(VALU_DEP_2) | instskip(NEXT) | instid1(VALU_DEP_1)
	v_add_co_ci_u32_e32 v37, vcc_lo, v30, v37, vcc_lo
	v_lshlrev_b64 v[38:39], 3, v[36:37]
	s_delay_alu instid0(VALU_DEP_1) | instskip(NEXT) | instid1(VALU_DEP_2)
	v_add_co_u32 v38, vcc_lo, s20, v38
	v_add_co_ci_u32_e32 v39, vcc_lo, s21, v39, vcc_lo
	v_add_co_u32 v28, vcc_lo, v36, 1
	v_add_co_ci_u32_e32 v30, vcc_lo, 0, v37, vcc_lo
	global_load_b64 v[38:39], v[38:39], off
	s_waitcnt vmcnt(0)
	v_cmp_lt_i64_e64 s16, v[38:39], v[21:22]
	s_delay_alu instid0(VALU_DEP_1) | instskip(SKIP_3) | instid1(VALU_DEP_1)
	v_cndmask_b32_e64 v26, v37, v26, s16
	v_cndmask_b32_e64 v25, v36, v25, s16
	v_cndmask_b32_e64 v24, v24, v30, s16
	v_cndmask_b32_e64 v23, v23, v28, s16
	v_cmp_ge_u64_e32 vcc_lo, v[23:24], v[25:26]
	s_or_b32 s27, vcc_lo, s27
	s_delay_alu instid0(SALU_CYCLE_1)
	s_and_not1_b32 exec_lo, exec_lo, s27
	s_cbranch_execnz .LBB499_184
; %bb.185:
	s_set_inst_prefetch_distance 0x2
	s_or_b32 exec_lo, exec_lo, s27
.LBB499_186:
	s_mov_b32 s27, 0
	s_mov_b32 s16, exec_lo
	v_cmpx_ne_u64_e64 s[22:23], v[23:24]
	s_cbranch_execz .LBB499_188
; %bb.187:
	v_lshlrev_b64 v[23:24], 3, v[23:24]
	s_delay_alu instid0(VALU_DEP_1) | instskip(NEXT) | instid1(VALU_DEP_2)
	v_add_co_u32 v23, vcc_lo, s20, v23
	v_add_co_ci_u32_e32 v24, vcc_lo, s21, v24, vcc_lo
	global_load_b64 v[23:24], v[23:24], off
	s_waitcnt vmcnt(0)
	v_cmp_le_i64_e32 vcc_lo, v[23:24], v[21:22]
	s_and_b32 s27, vcc_lo, exec_lo
.LBB499_188:
	s_or_b32 exec_lo, exec_lo, s16
	v_cndmask_b32_e64 v25, 0, 1, s27
	s_or_b32 exec_lo, exec_lo, s26
                                        ; implicit-def: $vgpr23
	s_and_saveexec_b32 s26, s6
	s_cbranch_execz .LBB499_138
.LBB499_189:
	s_waitcnt vmcnt(0) lgkmcnt(0)
	v_mov_b32_e32 v21, 0
	v_mov_b32_e32 v22, 0
	s_and_not1_b32 vcc_lo, exec_lo, s25
	s_cbranch_vccnz .LBB499_193
; %bb.190:
	v_dual_mov_b32 v24, s23 :: v_dual_mov_b32 v23, s22
	s_mov_b32 s27, 0
	s_set_inst_prefetch_distance 0x1
	.p2align	6
.LBB499_191:                            ; =>This Inner Loop Header: Depth=1
	s_delay_alu instid0(VALU_DEP_1) | instskip(NEXT) | instid1(VALU_DEP_2)
	v_sub_co_u32 v36, vcc_lo, v23, v21
	v_sub_co_ci_u32_e32 v37, vcc_lo, v24, v22, vcc_lo
	s_delay_alu instid0(VALU_DEP_1) | instskip(SKIP_1) | instid1(VALU_DEP_2)
	v_lshrrev_b64 v[38:39], 1, v[36:37]
	v_lshrrev_b64 v[36:37], 6, v[36:37]
	v_add_co_u32 v26, vcc_lo, v38, v21
	s_delay_alu instid0(VALU_DEP_3) | instskip(NEXT) | instid1(VALU_DEP_2)
	v_add_co_ci_u32_e32 v28, vcc_lo, v39, v22, vcc_lo
	v_add_co_u32 v36, vcc_lo, v26, v36
	s_delay_alu instid0(VALU_DEP_2) | instskip(NEXT) | instid1(VALU_DEP_1)
	v_add_co_ci_u32_e32 v37, vcc_lo, v28, v37, vcc_lo
	v_lshlrev_b64 v[38:39], 3, v[36:37]
	s_delay_alu instid0(VALU_DEP_1) | instskip(NEXT) | instid1(VALU_DEP_2)
	v_add_co_u32 v38, vcc_lo, s20, v38
	v_add_co_ci_u32_e32 v39, vcc_lo, s21, v39, vcc_lo
	v_add_co_u32 v26, vcc_lo, v36, 1
	v_add_co_ci_u32_e32 v28, vcc_lo, 0, v37, vcc_lo
	global_load_b64 v[38:39], v[38:39], off
	s_waitcnt vmcnt(0)
	v_cmp_lt_i64_e64 s16, v[38:39], v[19:20]
	s_delay_alu instid0(VALU_DEP_1) | instskip(SKIP_3) | instid1(VALU_DEP_1)
	v_cndmask_b32_e64 v24, v37, v24, s16
	v_cndmask_b32_e64 v23, v36, v23, s16
	;; [unrolled: 1-line block ×4, first 2 shown]
	v_cmp_ge_u64_e32 vcc_lo, v[21:22], v[23:24]
	s_or_b32 s27, vcc_lo, s27
	s_delay_alu instid0(SALU_CYCLE_1)
	s_and_not1_b32 exec_lo, exec_lo, s27
	s_cbranch_execnz .LBB499_191
; %bb.192:
	s_set_inst_prefetch_distance 0x2
	s_or_b32 exec_lo, exec_lo, s27
.LBB499_193:
	s_mov_b32 s27, 0
	s_mov_b32 s16, exec_lo
	v_cmpx_ne_u64_e64 s[22:23], v[21:22]
	s_cbranch_execz .LBB499_195
; %bb.194:
	v_lshlrev_b64 v[21:22], 3, v[21:22]
	s_delay_alu instid0(VALU_DEP_1) | instskip(NEXT) | instid1(VALU_DEP_2)
	v_add_co_u32 v21, vcc_lo, s20, v21
	v_add_co_ci_u32_e32 v22, vcc_lo, s21, v22, vcc_lo
	global_load_b64 v[21:22], v[21:22], off
	s_waitcnt vmcnt(0)
	v_cmp_le_i64_e32 vcc_lo, v[21:22], v[19:20]
	s_and_b32 s27, vcc_lo, exec_lo
.LBB499_195:
	s_or_b32 exec_lo, exec_lo, s16
	v_cndmask_b32_e64 v23, 0, 1, s27
	s_or_b32 exec_lo, exec_lo, s26
                                        ; implicit-def: $vgpr21
	s_and_saveexec_b32 s26, s7
	s_cbranch_execz .LBB499_139
.LBB499_196:
	s_waitcnt vmcnt(0) lgkmcnt(0)
	v_mov_b32_e32 v19, 0
	v_mov_b32_e32 v20, 0
	s_and_not1_b32 vcc_lo, exec_lo, s25
	s_cbranch_vccnz .LBB499_200
; %bb.197:
	v_dual_mov_b32 v21, s22 :: v_dual_mov_b32 v22, s23
	s_mov_b32 s27, 0
	s_set_inst_prefetch_distance 0x1
	.p2align	6
.LBB499_198:                            ; =>This Inner Loop Header: Depth=1
	s_delay_alu instid0(VALU_DEP_1) | instskip(NEXT) | instid1(VALU_DEP_2)
	v_sub_co_u32 v36, vcc_lo, v21, v19
	v_sub_co_ci_u32_e32 v37, vcc_lo, v22, v20, vcc_lo
	s_delay_alu instid0(VALU_DEP_1) | instskip(SKIP_1) | instid1(VALU_DEP_2)
	v_lshrrev_b64 v[38:39], 1, v[36:37]
	v_lshrrev_b64 v[36:37], 6, v[36:37]
	v_add_co_u32 v24, vcc_lo, v38, v19
	s_delay_alu instid0(VALU_DEP_3) | instskip(NEXT) | instid1(VALU_DEP_2)
	v_add_co_ci_u32_e32 v26, vcc_lo, v39, v20, vcc_lo
	v_add_co_u32 v36, vcc_lo, v24, v36
	s_delay_alu instid0(VALU_DEP_2) | instskip(NEXT) | instid1(VALU_DEP_1)
	v_add_co_ci_u32_e32 v37, vcc_lo, v26, v37, vcc_lo
	v_lshlrev_b64 v[38:39], 3, v[36:37]
	s_delay_alu instid0(VALU_DEP_1) | instskip(NEXT) | instid1(VALU_DEP_2)
	v_add_co_u32 v38, vcc_lo, s20, v38
	v_add_co_ci_u32_e32 v39, vcc_lo, s21, v39, vcc_lo
	v_add_co_u32 v24, vcc_lo, v36, 1
	v_add_co_ci_u32_e32 v26, vcc_lo, 0, v37, vcc_lo
	global_load_b64 v[38:39], v[38:39], off
	s_waitcnt vmcnt(0)
	v_cmp_lt_i64_e64 s16, v[38:39], v[17:18]
	s_delay_alu instid0(VALU_DEP_1) | instskip(SKIP_3) | instid1(VALU_DEP_1)
	v_cndmask_b32_e64 v22, v37, v22, s16
	v_cndmask_b32_e64 v21, v36, v21, s16
	;; [unrolled: 1-line block ×4, first 2 shown]
	v_cmp_ge_u64_e32 vcc_lo, v[19:20], v[21:22]
	s_or_b32 s27, vcc_lo, s27
	s_delay_alu instid0(SALU_CYCLE_1)
	s_and_not1_b32 exec_lo, exec_lo, s27
	s_cbranch_execnz .LBB499_198
; %bb.199:
	s_set_inst_prefetch_distance 0x2
	s_or_b32 exec_lo, exec_lo, s27
.LBB499_200:
	s_mov_b32 s27, 0
	s_mov_b32 s16, exec_lo
	v_cmpx_ne_u64_e64 s[22:23], v[19:20]
	s_cbranch_execz .LBB499_202
; %bb.201:
	v_lshlrev_b64 v[19:20], 3, v[19:20]
	s_delay_alu instid0(VALU_DEP_1) | instskip(NEXT) | instid1(VALU_DEP_2)
	v_add_co_u32 v19, vcc_lo, s20, v19
	v_add_co_ci_u32_e32 v20, vcc_lo, s21, v20, vcc_lo
	global_load_b64 v[19:20], v[19:20], off
	s_waitcnt vmcnt(0)
	v_cmp_le_i64_e32 vcc_lo, v[19:20], v[17:18]
	s_and_b32 s27, vcc_lo, exec_lo
.LBB499_202:
	s_or_b32 exec_lo, exec_lo, s16
	v_cndmask_b32_e64 v21, 0, 1, s27
	s_or_b32 exec_lo, exec_lo, s26
                                        ; implicit-def: $vgpr19
	s_and_saveexec_b32 s26, s8
	s_cbranch_execz .LBB499_140
.LBB499_203:
	s_waitcnt vmcnt(0) lgkmcnt(0)
	v_mov_b32_e32 v17, 0
	v_mov_b32_e32 v18, 0
	s_and_not1_b32 vcc_lo, exec_lo, s25
	s_cbranch_vccnz .LBB499_207
; %bb.204:
	v_dual_mov_b32 v19, s22 :: v_dual_mov_b32 v20, s23
	s_mov_b32 s27, 0
	s_set_inst_prefetch_distance 0x1
	.p2align	6
.LBB499_205:                            ; =>This Inner Loop Header: Depth=1
	s_delay_alu instid0(VALU_DEP_1) | instskip(NEXT) | instid1(VALU_DEP_2)
	v_sub_co_u32 v36, vcc_lo, v19, v17
	v_sub_co_ci_u32_e32 v37, vcc_lo, v20, v18, vcc_lo
	s_delay_alu instid0(VALU_DEP_1) | instskip(SKIP_1) | instid1(VALU_DEP_2)
	v_lshrrev_b64 v[38:39], 1, v[36:37]
	v_lshrrev_b64 v[36:37], 6, v[36:37]
	v_add_co_u32 v22, vcc_lo, v38, v17
	s_delay_alu instid0(VALU_DEP_3) | instskip(NEXT) | instid1(VALU_DEP_2)
	v_add_co_ci_u32_e32 v24, vcc_lo, v39, v18, vcc_lo
	v_add_co_u32 v36, vcc_lo, v22, v36
	s_delay_alu instid0(VALU_DEP_2) | instskip(NEXT) | instid1(VALU_DEP_1)
	v_add_co_ci_u32_e32 v37, vcc_lo, v24, v37, vcc_lo
	v_lshlrev_b64 v[38:39], 3, v[36:37]
	s_delay_alu instid0(VALU_DEP_1) | instskip(NEXT) | instid1(VALU_DEP_2)
	v_add_co_u32 v38, vcc_lo, s20, v38
	v_add_co_ci_u32_e32 v39, vcc_lo, s21, v39, vcc_lo
	v_add_co_u32 v22, vcc_lo, v36, 1
	v_add_co_ci_u32_e32 v24, vcc_lo, 0, v37, vcc_lo
	global_load_b64 v[38:39], v[38:39], off
	s_waitcnt vmcnt(0)
	v_cmp_lt_i64_e64 s16, v[38:39], v[15:16]
	s_delay_alu instid0(VALU_DEP_1) | instskip(SKIP_3) | instid1(VALU_DEP_1)
	v_cndmask_b32_e64 v20, v37, v20, s16
	v_cndmask_b32_e64 v19, v36, v19, s16
	;; [unrolled: 1-line block ×4, first 2 shown]
	v_cmp_ge_u64_e32 vcc_lo, v[17:18], v[19:20]
	s_or_b32 s27, vcc_lo, s27
	s_delay_alu instid0(SALU_CYCLE_1)
	s_and_not1_b32 exec_lo, exec_lo, s27
	s_cbranch_execnz .LBB499_205
; %bb.206:
	s_set_inst_prefetch_distance 0x2
	s_or_b32 exec_lo, exec_lo, s27
.LBB499_207:
	s_mov_b32 s27, 0
	s_mov_b32 s16, exec_lo
	v_cmpx_ne_u64_e64 s[22:23], v[17:18]
	s_cbranch_execz .LBB499_209
; %bb.208:
	v_lshlrev_b64 v[17:18], 3, v[17:18]
	s_delay_alu instid0(VALU_DEP_1) | instskip(NEXT) | instid1(VALU_DEP_2)
	v_add_co_u32 v17, vcc_lo, s20, v17
	v_add_co_ci_u32_e32 v18, vcc_lo, s21, v18, vcc_lo
	global_load_b64 v[17:18], v[17:18], off
	s_waitcnt vmcnt(0)
	v_cmp_le_i64_e32 vcc_lo, v[17:18], v[15:16]
	s_and_b32 s27, vcc_lo, exec_lo
.LBB499_209:
	s_or_b32 exec_lo, exec_lo, s16
	v_cndmask_b32_e64 v19, 0, 1, s27
	s_or_b32 exec_lo, exec_lo, s26
                                        ; implicit-def: $vgpr17
	s_and_saveexec_b32 s26, s9
	s_cbranch_execz .LBB499_141
.LBB499_210:
	s_waitcnt vmcnt(0) lgkmcnt(0)
	v_mov_b32_e32 v15, 0
	v_mov_b32_e32 v16, 0
	s_and_not1_b32 vcc_lo, exec_lo, s25
	s_cbranch_vccnz .LBB499_214
; %bb.211:
	v_dual_mov_b32 v17, s22 :: v_dual_mov_b32 v18, s23
	s_mov_b32 s27, 0
	s_set_inst_prefetch_distance 0x1
	.p2align	6
.LBB499_212:                            ; =>This Inner Loop Header: Depth=1
	s_delay_alu instid0(VALU_DEP_1) | instskip(NEXT) | instid1(VALU_DEP_2)
	v_sub_co_u32 v36, vcc_lo, v17, v15
	v_sub_co_ci_u32_e32 v37, vcc_lo, v18, v16, vcc_lo
	s_delay_alu instid0(VALU_DEP_1) | instskip(SKIP_1) | instid1(VALU_DEP_2)
	v_lshrrev_b64 v[38:39], 1, v[36:37]
	v_lshrrev_b64 v[36:37], 6, v[36:37]
	v_add_co_u32 v20, vcc_lo, v38, v15
	s_delay_alu instid0(VALU_DEP_3) | instskip(NEXT) | instid1(VALU_DEP_2)
	v_add_co_ci_u32_e32 v22, vcc_lo, v39, v16, vcc_lo
	v_add_co_u32 v36, vcc_lo, v20, v36
	s_delay_alu instid0(VALU_DEP_2) | instskip(NEXT) | instid1(VALU_DEP_1)
	v_add_co_ci_u32_e32 v37, vcc_lo, v22, v37, vcc_lo
	v_lshlrev_b64 v[38:39], 3, v[36:37]
	s_delay_alu instid0(VALU_DEP_1) | instskip(NEXT) | instid1(VALU_DEP_2)
	v_add_co_u32 v38, vcc_lo, s20, v38
	v_add_co_ci_u32_e32 v39, vcc_lo, s21, v39, vcc_lo
	v_add_co_u32 v20, vcc_lo, v36, 1
	v_add_co_ci_u32_e32 v22, vcc_lo, 0, v37, vcc_lo
	global_load_b64 v[38:39], v[38:39], off
	s_waitcnt vmcnt(0)
	v_cmp_lt_i64_e64 s16, v[38:39], v[13:14]
	s_delay_alu instid0(VALU_DEP_1) | instskip(SKIP_3) | instid1(VALU_DEP_1)
	v_cndmask_b32_e64 v18, v37, v18, s16
	v_cndmask_b32_e64 v17, v36, v17, s16
	;; [unrolled: 1-line block ×4, first 2 shown]
	v_cmp_ge_u64_e32 vcc_lo, v[15:16], v[17:18]
	s_or_b32 s27, vcc_lo, s27
	s_delay_alu instid0(SALU_CYCLE_1)
	s_and_not1_b32 exec_lo, exec_lo, s27
	s_cbranch_execnz .LBB499_212
; %bb.213:
	s_set_inst_prefetch_distance 0x2
	s_or_b32 exec_lo, exec_lo, s27
.LBB499_214:
	s_mov_b32 s27, 0
	s_mov_b32 s16, exec_lo
	v_cmpx_ne_u64_e64 s[22:23], v[15:16]
	s_cbranch_execz .LBB499_216
; %bb.215:
	v_lshlrev_b64 v[15:16], 3, v[15:16]
	s_delay_alu instid0(VALU_DEP_1) | instskip(NEXT) | instid1(VALU_DEP_2)
	v_add_co_u32 v15, vcc_lo, s20, v15
	v_add_co_ci_u32_e32 v16, vcc_lo, s21, v16, vcc_lo
	global_load_b64 v[15:16], v[15:16], off
	s_waitcnt vmcnt(0)
	v_cmp_le_i64_e32 vcc_lo, v[15:16], v[13:14]
	s_and_b32 s27, vcc_lo, exec_lo
.LBB499_216:
	s_or_b32 exec_lo, exec_lo, s16
	v_cndmask_b32_e64 v17, 0, 1, s27
	s_or_b32 exec_lo, exec_lo, s26
                                        ; implicit-def: $vgpr15
	s_and_saveexec_b32 s26, s10
	s_cbranch_execz .LBB499_142
.LBB499_217:
	s_waitcnt vmcnt(0) lgkmcnt(0)
	v_mov_b32_e32 v13, 0
	v_mov_b32_e32 v14, 0
	s_and_not1_b32 vcc_lo, exec_lo, s25
	s_cbranch_vccnz .LBB499_221
; %bb.218:
	v_dual_mov_b32 v15, s22 :: v_dual_mov_b32 v16, s23
	s_mov_b32 s27, 0
	s_set_inst_prefetch_distance 0x1
	.p2align	6
.LBB499_219:                            ; =>This Inner Loop Header: Depth=1
	s_delay_alu instid0(VALU_DEP_1) | instskip(NEXT) | instid1(VALU_DEP_2)
	v_sub_co_u32 v36, vcc_lo, v15, v13
	v_sub_co_ci_u32_e32 v37, vcc_lo, v16, v14, vcc_lo
	s_delay_alu instid0(VALU_DEP_1) | instskip(SKIP_1) | instid1(VALU_DEP_2)
	v_lshrrev_b64 v[38:39], 1, v[36:37]
	v_lshrrev_b64 v[36:37], 6, v[36:37]
	v_add_co_u32 v18, vcc_lo, v38, v13
	s_delay_alu instid0(VALU_DEP_3) | instskip(NEXT) | instid1(VALU_DEP_2)
	v_add_co_ci_u32_e32 v20, vcc_lo, v39, v14, vcc_lo
	v_add_co_u32 v36, vcc_lo, v18, v36
	s_delay_alu instid0(VALU_DEP_2) | instskip(NEXT) | instid1(VALU_DEP_1)
	v_add_co_ci_u32_e32 v37, vcc_lo, v20, v37, vcc_lo
	v_lshlrev_b64 v[38:39], 3, v[36:37]
	s_delay_alu instid0(VALU_DEP_1) | instskip(NEXT) | instid1(VALU_DEP_2)
	v_add_co_u32 v38, vcc_lo, s20, v38
	v_add_co_ci_u32_e32 v39, vcc_lo, s21, v39, vcc_lo
	v_add_co_u32 v18, vcc_lo, v36, 1
	v_add_co_ci_u32_e32 v20, vcc_lo, 0, v37, vcc_lo
	global_load_b64 v[38:39], v[38:39], off
	s_waitcnt vmcnt(0)
	v_cmp_lt_i64_e64 s16, v[38:39], v[11:12]
	s_delay_alu instid0(VALU_DEP_1) | instskip(SKIP_3) | instid1(VALU_DEP_1)
	v_cndmask_b32_e64 v16, v37, v16, s16
	v_cndmask_b32_e64 v15, v36, v15, s16
	;; [unrolled: 1-line block ×4, first 2 shown]
	v_cmp_ge_u64_e32 vcc_lo, v[13:14], v[15:16]
	s_or_b32 s27, vcc_lo, s27
	s_delay_alu instid0(SALU_CYCLE_1)
	s_and_not1_b32 exec_lo, exec_lo, s27
	s_cbranch_execnz .LBB499_219
; %bb.220:
	s_set_inst_prefetch_distance 0x2
	s_or_b32 exec_lo, exec_lo, s27
.LBB499_221:
	s_mov_b32 s27, 0
	s_mov_b32 s16, exec_lo
	v_cmpx_ne_u64_e64 s[22:23], v[13:14]
	s_cbranch_execz .LBB499_223
; %bb.222:
	v_lshlrev_b64 v[13:14], 3, v[13:14]
	s_delay_alu instid0(VALU_DEP_1) | instskip(NEXT) | instid1(VALU_DEP_2)
	v_add_co_u32 v13, vcc_lo, s20, v13
	v_add_co_ci_u32_e32 v14, vcc_lo, s21, v14, vcc_lo
	global_load_b64 v[13:14], v[13:14], off
	s_waitcnt vmcnt(0)
	v_cmp_le_i64_e32 vcc_lo, v[13:14], v[11:12]
	s_and_b32 s27, vcc_lo, exec_lo
.LBB499_223:
	s_or_b32 exec_lo, exec_lo, s16
	v_cndmask_b32_e64 v15, 0, 1, s27
	s_or_b32 exec_lo, exec_lo, s26
                                        ; implicit-def: $vgpr13
	s_and_saveexec_b32 s26, s11
	s_cbranch_execz .LBB499_143
.LBB499_224:
	s_waitcnt vmcnt(0) lgkmcnt(0)
	v_mov_b32_e32 v11, 0
	v_mov_b32_e32 v12, 0
	s_and_not1_b32 vcc_lo, exec_lo, s25
	s_cbranch_vccnz .LBB499_228
; %bb.225:
	v_dual_mov_b32 v13, s22 :: v_dual_mov_b32 v14, s23
	s_mov_b32 s27, 0
	s_set_inst_prefetch_distance 0x1
	.p2align	6
.LBB499_226:                            ; =>This Inner Loop Header: Depth=1
	s_delay_alu instid0(VALU_DEP_1) | instskip(NEXT) | instid1(VALU_DEP_2)
	v_sub_co_u32 v36, vcc_lo, v13, v11
	v_sub_co_ci_u32_e32 v37, vcc_lo, v14, v12, vcc_lo
	s_delay_alu instid0(VALU_DEP_1) | instskip(SKIP_1) | instid1(VALU_DEP_2)
	v_lshrrev_b64 v[38:39], 1, v[36:37]
	v_lshrrev_b64 v[36:37], 6, v[36:37]
	v_add_co_u32 v16, vcc_lo, v38, v11
	s_delay_alu instid0(VALU_DEP_3) | instskip(NEXT) | instid1(VALU_DEP_2)
	v_add_co_ci_u32_e32 v18, vcc_lo, v39, v12, vcc_lo
	v_add_co_u32 v36, vcc_lo, v16, v36
	s_delay_alu instid0(VALU_DEP_2) | instskip(NEXT) | instid1(VALU_DEP_1)
	v_add_co_ci_u32_e32 v37, vcc_lo, v18, v37, vcc_lo
	v_lshlrev_b64 v[38:39], 3, v[36:37]
	s_delay_alu instid0(VALU_DEP_1) | instskip(NEXT) | instid1(VALU_DEP_2)
	v_add_co_u32 v38, vcc_lo, s20, v38
	v_add_co_ci_u32_e32 v39, vcc_lo, s21, v39, vcc_lo
	v_add_co_u32 v16, vcc_lo, v36, 1
	v_add_co_ci_u32_e32 v18, vcc_lo, 0, v37, vcc_lo
	global_load_b64 v[38:39], v[38:39], off
	s_waitcnt vmcnt(0)
	v_cmp_lt_i64_e64 s16, v[38:39], v[9:10]
	s_delay_alu instid0(VALU_DEP_1) | instskip(SKIP_3) | instid1(VALU_DEP_1)
	v_cndmask_b32_e64 v14, v37, v14, s16
	v_cndmask_b32_e64 v13, v36, v13, s16
	v_cndmask_b32_e64 v12, v12, v18, s16
	v_cndmask_b32_e64 v11, v11, v16, s16
	v_cmp_ge_u64_e32 vcc_lo, v[11:12], v[13:14]
	s_or_b32 s27, vcc_lo, s27
	s_delay_alu instid0(SALU_CYCLE_1)
	s_and_not1_b32 exec_lo, exec_lo, s27
	s_cbranch_execnz .LBB499_226
; %bb.227:
	s_set_inst_prefetch_distance 0x2
	s_or_b32 exec_lo, exec_lo, s27
.LBB499_228:
	s_mov_b32 s27, 0
	s_mov_b32 s16, exec_lo
	v_cmpx_ne_u64_e64 s[22:23], v[11:12]
	s_cbranch_execz .LBB499_230
; %bb.229:
	v_lshlrev_b64 v[11:12], 3, v[11:12]
	s_delay_alu instid0(VALU_DEP_1) | instskip(NEXT) | instid1(VALU_DEP_2)
	v_add_co_u32 v11, vcc_lo, s20, v11
	v_add_co_ci_u32_e32 v12, vcc_lo, s21, v12, vcc_lo
	global_load_b64 v[11:12], v[11:12], off
	s_waitcnt vmcnt(0)
	v_cmp_le_i64_e32 vcc_lo, v[11:12], v[9:10]
	s_and_b32 s27, vcc_lo, exec_lo
.LBB499_230:
	s_or_b32 exec_lo, exec_lo, s16
	v_cndmask_b32_e64 v13, 0, 1, s27
	s_or_b32 exec_lo, exec_lo, s26
                                        ; implicit-def: $vgpr11
	s_and_saveexec_b32 s26, s12
	s_cbranch_execz .LBB499_144
.LBB499_231:
	s_waitcnt vmcnt(0) lgkmcnt(0)
	v_mov_b32_e32 v9, 0
	v_mov_b32_e32 v10, 0
	s_and_not1_b32 vcc_lo, exec_lo, s25
	s_cbranch_vccnz .LBB499_235
; %bb.232:
	v_dual_mov_b32 v11, s22 :: v_dual_mov_b32 v12, s23
	s_mov_b32 s27, 0
	s_set_inst_prefetch_distance 0x1
	.p2align	6
.LBB499_233:                            ; =>This Inner Loop Header: Depth=1
	s_delay_alu instid0(VALU_DEP_1) | instskip(NEXT) | instid1(VALU_DEP_2)
	v_sub_co_u32 v36, vcc_lo, v11, v9
	v_sub_co_ci_u32_e32 v37, vcc_lo, v12, v10, vcc_lo
	s_delay_alu instid0(VALU_DEP_1) | instskip(SKIP_1) | instid1(VALU_DEP_2)
	v_lshrrev_b64 v[38:39], 1, v[36:37]
	v_lshrrev_b64 v[36:37], 6, v[36:37]
	v_add_co_u32 v14, vcc_lo, v38, v9
	s_delay_alu instid0(VALU_DEP_3) | instskip(NEXT) | instid1(VALU_DEP_2)
	v_add_co_ci_u32_e32 v16, vcc_lo, v39, v10, vcc_lo
	v_add_co_u32 v36, vcc_lo, v14, v36
	s_delay_alu instid0(VALU_DEP_2) | instskip(NEXT) | instid1(VALU_DEP_1)
	v_add_co_ci_u32_e32 v37, vcc_lo, v16, v37, vcc_lo
	v_lshlrev_b64 v[38:39], 3, v[36:37]
	s_delay_alu instid0(VALU_DEP_1) | instskip(NEXT) | instid1(VALU_DEP_2)
	v_add_co_u32 v38, vcc_lo, s20, v38
	v_add_co_ci_u32_e32 v39, vcc_lo, s21, v39, vcc_lo
	v_add_co_u32 v14, vcc_lo, v36, 1
	v_add_co_ci_u32_e32 v16, vcc_lo, 0, v37, vcc_lo
	global_load_b64 v[38:39], v[38:39], off
	s_waitcnt vmcnt(0)
	v_cmp_lt_i64_e64 s16, v[38:39], v[7:8]
	s_delay_alu instid0(VALU_DEP_1) | instskip(SKIP_3) | instid1(VALU_DEP_1)
	v_cndmask_b32_e64 v12, v37, v12, s16
	v_cndmask_b32_e64 v11, v36, v11, s16
	;; [unrolled: 1-line block ×4, first 2 shown]
	v_cmp_ge_u64_e32 vcc_lo, v[9:10], v[11:12]
	s_or_b32 s27, vcc_lo, s27
	s_delay_alu instid0(SALU_CYCLE_1)
	s_and_not1_b32 exec_lo, exec_lo, s27
	s_cbranch_execnz .LBB499_233
; %bb.234:
	s_set_inst_prefetch_distance 0x2
	s_or_b32 exec_lo, exec_lo, s27
.LBB499_235:
	s_mov_b32 s27, 0
	s_mov_b32 s16, exec_lo
	v_cmpx_ne_u64_e64 s[22:23], v[9:10]
	s_cbranch_execz .LBB499_237
; %bb.236:
	v_lshlrev_b64 v[9:10], 3, v[9:10]
	s_delay_alu instid0(VALU_DEP_1) | instskip(NEXT) | instid1(VALU_DEP_2)
	v_add_co_u32 v9, vcc_lo, s20, v9
	v_add_co_ci_u32_e32 v10, vcc_lo, s21, v10, vcc_lo
	global_load_b64 v[9:10], v[9:10], off
	s_waitcnt vmcnt(0)
	v_cmp_le_i64_e32 vcc_lo, v[9:10], v[7:8]
	s_and_b32 s27, vcc_lo, exec_lo
.LBB499_237:
	s_or_b32 exec_lo, exec_lo, s16
	v_cndmask_b32_e64 v11, 0, 1, s27
	s_or_b32 exec_lo, exec_lo, s26
                                        ; implicit-def: $vgpr9
	s_and_saveexec_b32 s26, s13
	s_cbranch_execz .LBB499_145
.LBB499_238:
	s_waitcnt vmcnt(0) lgkmcnt(0)
	v_mov_b32_e32 v7, 0
	v_mov_b32_e32 v8, 0
	s_and_not1_b32 vcc_lo, exec_lo, s25
	s_cbranch_vccnz .LBB499_242
; %bb.239:
	v_dual_mov_b32 v9, s22 :: v_dual_mov_b32 v10, s23
	s_mov_b32 s27, 0
	s_set_inst_prefetch_distance 0x1
	.p2align	6
.LBB499_240:                            ; =>This Inner Loop Header: Depth=1
	s_delay_alu instid0(VALU_DEP_1) | instskip(NEXT) | instid1(VALU_DEP_2)
	v_sub_co_u32 v36, vcc_lo, v9, v7
	v_sub_co_ci_u32_e32 v37, vcc_lo, v10, v8, vcc_lo
	s_delay_alu instid0(VALU_DEP_1) | instskip(SKIP_1) | instid1(VALU_DEP_2)
	v_lshrrev_b64 v[38:39], 1, v[36:37]
	v_lshrrev_b64 v[36:37], 6, v[36:37]
	v_add_co_u32 v12, vcc_lo, v38, v7
	s_delay_alu instid0(VALU_DEP_3) | instskip(NEXT) | instid1(VALU_DEP_2)
	v_add_co_ci_u32_e32 v14, vcc_lo, v39, v8, vcc_lo
	v_add_co_u32 v36, vcc_lo, v12, v36
	s_delay_alu instid0(VALU_DEP_2) | instskip(NEXT) | instid1(VALU_DEP_1)
	v_add_co_ci_u32_e32 v37, vcc_lo, v14, v37, vcc_lo
	v_lshlrev_b64 v[38:39], 3, v[36:37]
	s_delay_alu instid0(VALU_DEP_1) | instskip(NEXT) | instid1(VALU_DEP_2)
	v_add_co_u32 v38, vcc_lo, s20, v38
	v_add_co_ci_u32_e32 v39, vcc_lo, s21, v39, vcc_lo
	v_add_co_u32 v12, vcc_lo, v36, 1
	v_add_co_ci_u32_e32 v14, vcc_lo, 0, v37, vcc_lo
	global_load_b64 v[38:39], v[38:39], off
	s_waitcnt vmcnt(0)
	v_cmp_lt_i64_e64 s16, v[38:39], v[5:6]
	s_delay_alu instid0(VALU_DEP_1) | instskip(SKIP_3) | instid1(VALU_DEP_1)
	v_cndmask_b32_e64 v10, v37, v10, s16
	v_cndmask_b32_e64 v9, v36, v9, s16
	;; [unrolled: 1-line block ×4, first 2 shown]
	v_cmp_ge_u64_e32 vcc_lo, v[7:8], v[9:10]
	s_or_b32 s27, vcc_lo, s27
	s_delay_alu instid0(SALU_CYCLE_1)
	s_and_not1_b32 exec_lo, exec_lo, s27
	s_cbranch_execnz .LBB499_240
; %bb.241:
	s_set_inst_prefetch_distance 0x2
	s_or_b32 exec_lo, exec_lo, s27
.LBB499_242:
	s_mov_b32 s27, 0
	s_mov_b32 s16, exec_lo
	v_cmpx_ne_u64_e64 s[22:23], v[7:8]
	s_cbranch_execz .LBB499_244
; %bb.243:
	v_lshlrev_b64 v[7:8], 3, v[7:8]
	s_delay_alu instid0(VALU_DEP_1) | instskip(NEXT) | instid1(VALU_DEP_2)
	v_add_co_u32 v7, vcc_lo, s20, v7
	v_add_co_ci_u32_e32 v8, vcc_lo, s21, v8, vcc_lo
	global_load_b64 v[7:8], v[7:8], off
	s_waitcnt vmcnt(0)
	v_cmp_le_i64_e32 vcc_lo, v[7:8], v[5:6]
	s_and_b32 s27, vcc_lo, exec_lo
.LBB499_244:
	s_or_b32 exec_lo, exec_lo, s16
	v_cndmask_b32_e64 v9, 0, 1, s27
	s_or_b32 exec_lo, exec_lo, s26
                                        ; implicit-def: $vgpr7
	s_and_saveexec_b32 s26, s14
	s_cbranch_execz .LBB499_146
.LBB499_245:
	s_waitcnt vmcnt(0) lgkmcnt(0)
	v_mov_b32_e32 v5, 0
	v_mov_b32_e32 v6, 0
	s_and_not1_b32 vcc_lo, exec_lo, s25
	s_cbranch_vccnz .LBB499_249
; %bb.246:
	v_dual_mov_b32 v7, s22 :: v_dual_mov_b32 v8, s23
	s_mov_b32 s27, 0
	s_set_inst_prefetch_distance 0x1
	.p2align	6
.LBB499_247:                            ; =>This Inner Loop Header: Depth=1
	s_delay_alu instid0(VALU_DEP_1) | instskip(NEXT) | instid1(VALU_DEP_2)
	v_sub_co_u32 v36, vcc_lo, v7, v5
	v_sub_co_ci_u32_e32 v37, vcc_lo, v8, v6, vcc_lo
	s_delay_alu instid0(VALU_DEP_1) | instskip(SKIP_1) | instid1(VALU_DEP_2)
	v_lshrrev_b64 v[38:39], 1, v[36:37]
	v_lshrrev_b64 v[36:37], 6, v[36:37]
	v_add_co_u32 v10, vcc_lo, v38, v5
	s_delay_alu instid0(VALU_DEP_3) | instskip(NEXT) | instid1(VALU_DEP_2)
	v_add_co_ci_u32_e32 v12, vcc_lo, v39, v6, vcc_lo
	v_add_co_u32 v36, vcc_lo, v10, v36
	s_delay_alu instid0(VALU_DEP_2) | instskip(NEXT) | instid1(VALU_DEP_1)
	v_add_co_ci_u32_e32 v37, vcc_lo, v12, v37, vcc_lo
	v_lshlrev_b64 v[38:39], 3, v[36:37]
	s_delay_alu instid0(VALU_DEP_1) | instskip(NEXT) | instid1(VALU_DEP_2)
	v_add_co_u32 v38, vcc_lo, s20, v38
	v_add_co_ci_u32_e32 v39, vcc_lo, s21, v39, vcc_lo
	v_add_co_u32 v10, vcc_lo, v36, 1
	v_add_co_ci_u32_e32 v12, vcc_lo, 0, v37, vcc_lo
	global_load_b64 v[38:39], v[38:39], off
	s_waitcnt vmcnt(0)
	v_cmp_lt_i64_e64 s16, v[38:39], v[3:4]
	s_delay_alu instid0(VALU_DEP_1) | instskip(SKIP_3) | instid1(VALU_DEP_1)
	v_cndmask_b32_e64 v8, v37, v8, s16
	v_cndmask_b32_e64 v7, v36, v7, s16
	;; [unrolled: 1-line block ×4, first 2 shown]
	v_cmp_ge_u64_e32 vcc_lo, v[5:6], v[7:8]
	s_or_b32 s27, vcc_lo, s27
	s_delay_alu instid0(SALU_CYCLE_1)
	s_and_not1_b32 exec_lo, exec_lo, s27
	s_cbranch_execnz .LBB499_247
; %bb.248:
	s_set_inst_prefetch_distance 0x2
	s_or_b32 exec_lo, exec_lo, s27
.LBB499_249:
	s_mov_b32 s27, 0
	s_mov_b32 s16, exec_lo
	v_cmpx_ne_u64_e64 s[22:23], v[5:6]
	s_cbranch_execz .LBB499_251
; %bb.250:
	v_lshlrev_b64 v[5:6], 3, v[5:6]
	s_delay_alu instid0(VALU_DEP_1) | instskip(NEXT) | instid1(VALU_DEP_2)
	v_add_co_u32 v5, vcc_lo, s20, v5
	v_add_co_ci_u32_e32 v6, vcc_lo, s21, v6, vcc_lo
	global_load_b64 v[5:6], v[5:6], off
	s_waitcnt vmcnt(0)
	v_cmp_le_i64_e32 vcc_lo, v[5:6], v[3:4]
	s_and_b32 s27, vcc_lo, exec_lo
.LBB499_251:
	s_or_b32 exec_lo, exec_lo, s16
	v_cndmask_b32_e64 v7, 0, 1, s27
	s_or_b32 exec_lo, exec_lo, s26
                                        ; implicit-def: $vgpr3
	s_and_saveexec_b32 s26, s15
	s_cbranch_execz .LBB499_259
.LBB499_252:
	s_waitcnt vmcnt(0) lgkmcnt(0)
	v_mov_b32_e32 v3, 0
	v_mov_b32_e32 v4, 0
	s_and_not1_b32 vcc_lo, exec_lo, s25
	s_cbranch_vccnz .LBB499_256
; %bb.253:
	v_dual_mov_b32 v5, s22 :: v_dual_mov_b32 v6, s23
	s_mov_b32 s25, 0
	s_set_inst_prefetch_distance 0x1
	.p2align	6
.LBB499_254:                            ; =>This Inner Loop Header: Depth=1
	s_delay_alu instid0(VALU_DEP_1) | instskip(NEXT) | instid1(VALU_DEP_2)
	v_sub_co_u32 v36, vcc_lo, v5, v3
	v_sub_co_ci_u32_e32 v37, vcc_lo, v6, v4, vcc_lo
	s_delay_alu instid0(VALU_DEP_1) | instskip(SKIP_1) | instid1(VALU_DEP_2)
	v_lshrrev_b64 v[38:39], 1, v[36:37]
	v_lshrrev_b64 v[36:37], 6, v[36:37]
	v_add_co_u32 v8, vcc_lo, v38, v3
	s_delay_alu instid0(VALU_DEP_3) | instskip(NEXT) | instid1(VALU_DEP_2)
	v_add_co_ci_u32_e32 v10, vcc_lo, v39, v4, vcc_lo
	v_add_co_u32 v36, vcc_lo, v8, v36
	s_delay_alu instid0(VALU_DEP_2) | instskip(NEXT) | instid1(VALU_DEP_1)
	v_add_co_ci_u32_e32 v37, vcc_lo, v10, v37, vcc_lo
	v_lshlrev_b64 v[38:39], 3, v[36:37]
	s_delay_alu instid0(VALU_DEP_1) | instskip(NEXT) | instid1(VALU_DEP_2)
	v_add_co_u32 v38, vcc_lo, s20, v38
	v_add_co_ci_u32_e32 v39, vcc_lo, s21, v39, vcc_lo
	v_add_co_u32 v8, vcc_lo, v36, 1
	v_add_co_ci_u32_e32 v10, vcc_lo, 0, v37, vcc_lo
	global_load_b64 v[38:39], v[38:39], off
	s_waitcnt vmcnt(0)
	v_cmp_lt_i64_e64 s16, v[38:39], v[1:2]
	s_delay_alu instid0(VALU_DEP_1) | instskip(SKIP_3) | instid1(VALU_DEP_1)
	v_cndmask_b32_e64 v6, v37, v6, s16
	v_cndmask_b32_e64 v5, v36, v5, s16
	;; [unrolled: 1-line block ×4, first 2 shown]
	v_cmp_ge_u64_e32 vcc_lo, v[3:4], v[5:6]
	s_or_b32 s25, vcc_lo, s25
	s_delay_alu instid0(SALU_CYCLE_1)
	s_and_not1_b32 exec_lo, exec_lo, s25
	s_cbranch_execnz .LBB499_254
; %bb.255:
	s_set_inst_prefetch_distance 0x2
	s_or_b32 exec_lo, exec_lo, s25
.LBB499_256:
	s_delay_alu instid0(VALU_DEP_1)
	v_cmp_ne_u64_e32 vcc_lo, s[22:23], v[3:4]
	s_mov_b32 s22, 0
	s_and_saveexec_b32 s16, vcc_lo
	s_cbranch_execz .LBB499_258
; %bb.257:
	v_lshlrev_b64 v[3:4], 3, v[3:4]
	s_delay_alu instid0(VALU_DEP_1) | instskip(NEXT) | instid1(VALU_DEP_2)
	v_add_co_u32 v3, vcc_lo, s20, v3
	v_add_co_ci_u32_e32 v4, vcc_lo, s21, v4, vcc_lo
	global_load_b64 v[3:4], v[3:4], off
	s_waitcnt vmcnt(0)
	v_cmp_le_i64_e32 vcc_lo, v[3:4], v[1:2]
	s_and_b32 s22, vcc_lo, exec_lo
.LBB499_258:
	s_or_b32 exec_lo, exec_lo, s16
	v_cndmask_b32_e64 v3, 0, 1, s22
.LBB499_259:
	s_or_b32 exec_lo, exec_lo, s26
	s_add_u32 s16, s17, s18
	s_addc_u32 s17, s24, 0
	s_waitcnt vmcnt(0) lgkmcnt(0)
	v_add_co_u32 v1, s16, s16, v0
	s_delay_alu instid0(VALU_DEP_1) | instskip(SKIP_1) | instid1(SALU_CYCLE_1)
	v_add_co_ci_u32_e64 v2, null, s17, 0, s16
	s_and_saveexec_b32 s16, s0
	s_xor_b32 s0, exec_lo, s16
	s_cbranch_execnz .LBB499_280
; %bb.260:
	s_or_b32 exec_lo, exec_lo, s0
	s_and_saveexec_b32 s0, s1
	s_cbranch_execnz .LBB499_281
.LBB499_261:
	s_or_b32 exec_lo, exec_lo, s0
	s_and_saveexec_b32 s0, s2
	s_cbranch_execnz .LBB499_282
.LBB499_262:
	s_or_b32 exec_lo, exec_lo, s0
	s_and_saveexec_b32 s0, s3
	s_cbranch_execnz .LBB499_283
.LBB499_263:
	s_or_b32 exec_lo, exec_lo, s0
	s_and_saveexec_b32 s0, s4
	s_cbranch_execnz .LBB499_284
.LBB499_264:
	s_or_b32 exec_lo, exec_lo, s0
	s_and_saveexec_b32 s0, s5
	s_cbranch_execnz .LBB499_285
.LBB499_265:
	s_or_b32 exec_lo, exec_lo, s0
	s_and_saveexec_b32 s0, s6
	s_cbranch_execnz .LBB499_286
.LBB499_266:
	s_or_b32 exec_lo, exec_lo, s0
	s_and_saveexec_b32 s0, s7
	s_cbranch_execnz .LBB499_287
.LBB499_267:
	s_or_b32 exec_lo, exec_lo, s0
	s_and_saveexec_b32 s0, s8
	s_cbranch_execnz .LBB499_288
.LBB499_268:
	s_or_b32 exec_lo, exec_lo, s0
	s_and_saveexec_b32 s0, s9
	s_cbranch_execnz .LBB499_289
.LBB499_269:
	s_or_b32 exec_lo, exec_lo, s0
	s_and_saveexec_b32 s0, s10
	s_cbranch_execnz .LBB499_290
.LBB499_270:
	s_or_b32 exec_lo, exec_lo, s0
	s_and_saveexec_b32 s0, s11
	s_cbranch_execnz .LBB499_291
.LBB499_271:
	s_or_b32 exec_lo, exec_lo, s0
	s_and_saveexec_b32 s0, s12
	s_cbranch_execnz .LBB499_292
.LBB499_272:
	s_or_b32 exec_lo, exec_lo, s0
	s_and_saveexec_b32 s0, s13
	s_cbranch_execnz .LBB499_293
.LBB499_273:
	s_or_b32 exec_lo, exec_lo, s0
	s_and_saveexec_b32 s0, s14
	s_cbranch_execnz .LBB499_294
.LBB499_274:
	s_or_b32 exec_lo, exec_lo, s0
	s_and_saveexec_b32 s0, s15
.LBB499_275:
	s_or_b32 s19, s19, exec_lo
.LBB499_276:
	s_or_b32 exec_lo, exec_lo, s0
.LBB499_277:
	s_and_saveexec_b32 s0, s19
	s_cbranch_execnz .LBB499_279
; %bb.278:
	s_endpgm
.LBB499_279:
	flat_store_b8 v[1:2], v3 offset:960
	s_endpgm
.LBB499_280:
	flat_store_b8 v[1:2], v35
	s_or_b32 exec_lo, exec_lo, s0
	s_and_saveexec_b32 s0, s1
	s_cbranch_execz .LBB499_261
.LBB499_281:
	flat_store_b8 v[1:2], v33 offset:64
	s_or_b32 exec_lo, exec_lo, s0
	s_and_saveexec_b32 s0, s2
	s_cbranch_execz .LBB499_262
.LBB499_282:
	flat_store_b8 v[1:2], v31 offset:128
	s_or_b32 exec_lo, exec_lo, s0
	s_and_saveexec_b32 s0, s3
	s_cbranch_execz .LBB499_263
.LBB499_283:
	flat_store_b8 v[1:2], v29 offset:192
	s_or_b32 exec_lo, exec_lo, s0
	s_and_saveexec_b32 s0, s4
	s_cbranch_execz .LBB499_264
.LBB499_284:
	flat_store_b8 v[1:2], v27 offset:256
	s_or_b32 exec_lo, exec_lo, s0
	s_and_saveexec_b32 s0, s5
	s_cbranch_execz .LBB499_265
.LBB499_285:
	flat_store_b8 v[1:2], v25 offset:320
	s_or_b32 exec_lo, exec_lo, s0
	s_and_saveexec_b32 s0, s6
	s_cbranch_execz .LBB499_266
.LBB499_286:
	flat_store_b8 v[1:2], v23 offset:384
	s_or_b32 exec_lo, exec_lo, s0
	s_and_saveexec_b32 s0, s7
	s_cbranch_execz .LBB499_267
.LBB499_287:
	flat_store_b8 v[1:2], v21 offset:448
	s_or_b32 exec_lo, exec_lo, s0
	s_and_saveexec_b32 s0, s8
	s_cbranch_execz .LBB499_268
.LBB499_288:
	flat_store_b8 v[1:2], v19 offset:512
	s_or_b32 exec_lo, exec_lo, s0
	s_and_saveexec_b32 s0, s9
	s_cbranch_execz .LBB499_269
.LBB499_289:
	flat_store_b8 v[1:2], v17 offset:576
	s_or_b32 exec_lo, exec_lo, s0
	s_and_saveexec_b32 s0, s10
	s_cbranch_execz .LBB499_270
.LBB499_290:
	flat_store_b8 v[1:2], v15 offset:640
	s_or_b32 exec_lo, exec_lo, s0
	s_and_saveexec_b32 s0, s11
	s_cbranch_execz .LBB499_271
.LBB499_291:
	flat_store_b8 v[1:2], v13 offset:704
	s_or_b32 exec_lo, exec_lo, s0
	s_and_saveexec_b32 s0, s12
	s_cbranch_execz .LBB499_272
.LBB499_292:
	flat_store_b8 v[1:2], v11 offset:768
	s_or_b32 exec_lo, exec_lo, s0
	s_and_saveexec_b32 s0, s13
	s_cbranch_execz .LBB499_273
.LBB499_293:
	flat_store_b8 v[1:2], v9 offset:832
	s_or_b32 exec_lo, exec_lo, s0
	s_and_saveexec_b32 s0, s14
	s_cbranch_execz .LBB499_274
.LBB499_294:
	flat_store_b8 v[1:2], v7 offset:896
	s_or_b32 exec_lo, exec_lo, s0
	s_and_saveexec_b32 s0, s15
	s_cbranch_execnz .LBB499_275
	s_branch .LBB499_276
	.section	.rodata,"a",@progbits
	.p2align	6, 0x0
	.amdhsa_kernel _ZN7rocprim17ROCPRIM_400000_NS6detail17trampoline_kernelINS0_14default_configENS1_29binary_search_config_selectorIxbEEZNS1_14transform_implILb0ES3_S5_N6thrust23THRUST_200600_302600_NS6detail15normal_iteratorINS8_10device_ptrIxEEEENSA_INSB_IbEEEEZNS1_13binary_searchIS3_S5_SD_SD_SF_NS1_16binary_search_opENS9_16wrapped_functionINS0_4lessIvEEbEEEE10hipError_tPvRmT1_T2_T3_mmT4_T5_P12ihipStream_tbEUlRKxE_EESM_SQ_SR_mSS_SV_bEUlT_E_NS1_11comp_targetILNS1_3genE9ELNS1_11target_archE1100ELNS1_3gpuE3ELNS1_3repE0EEENS1_30default_config_static_selectorELNS0_4arch9wavefront6targetE0EEEvSP_
		.amdhsa_group_segment_fixed_size 0
		.amdhsa_private_segment_fixed_size 0
		.amdhsa_kernarg_size 312
		.amdhsa_user_sgpr_count 15
		.amdhsa_user_sgpr_dispatch_ptr 0
		.amdhsa_user_sgpr_queue_ptr 0
		.amdhsa_user_sgpr_kernarg_segment_ptr 1
		.amdhsa_user_sgpr_dispatch_id 0
		.amdhsa_user_sgpr_private_segment_size 0
		.amdhsa_wavefront_size32 1
		.amdhsa_uses_dynamic_stack 0
		.amdhsa_enable_private_segment 0
		.amdhsa_system_sgpr_workgroup_id_x 1
		.amdhsa_system_sgpr_workgroup_id_y 0
		.amdhsa_system_sgpr_workgroup_id_z 0
		.amdhsa_system_sgpr_workgroup_info 0
		.amdhsa_system_vgpr_workitem_id 0
		.amdhsa_next_free_vgpr 42
		.amdhsa_next_free_sgpr 28
		.amdhsa_reserve_vcc 1
		.amdhsa_float_round_mode_32 0
		.amdhsa_float_round_mode_16_64 0
		.amdhsa_float_denorm_mode_32 3
		.amdhsa_float_denorm_mode_16_64 3
		.amdhsa_dx10_clamp 1
		.amdhsa_ieee_mode 1
		.amdhsa_fp16_overflow 0
		.amdhsa_workgroup_processor_mode 1
		.amdhsa_memory_ordered 1
		.amdhsa_forward_progress 0
		.amdhsa_shared_vgpr_count 0
		.amdhsa_exception_fp_ieee_invalid_op 0
		.amdhsa_exception_fp_denorm_src 0
		.amdhsa_exception_fp_ieee_div_zero 0
		.amdhsa_exception_fp_ieee_overflow 0
		.amdhsa_exception_fp_ieee_underflow 0
		.amdhsa_exception_fp_ieee_inexact 0
		.amdhsa_exception_int_div_zero 0
	.end_amdhsa_kernel
	.section	.text._ZN7rocprim17ROCPRIM_400000_NS6detail17trampoline_kernelINS0_14default_configENS1_29binary_search_config_selectorIxbEEZNS1_14transform_implILb0ES3_S5_N6thrust23THRUST_200600_302600_NS6detail15normal_iteratorINS8_10device_ptrIxEEEENSA_INSB_IbEEEEZNS1_13binary_searchIS3_S5_SD_SD_SF_NS1_16binary_search_opENS9_16wrapped_functionINS0_4lessIvEEbEEEE10hipError_tPvRmT1_T2_T3_mmT4_T5_P12ihipStream_tbEUlRKxE_EESM_SQ_SR_mSS_SV_bEUlT_E_NS1_11comp_targetILNS1_3genE9ELNS1_11target_archE1100ELNS1_3gpuE3ELNS1_3repE0EEENS1_30default_config_static_selectorELNS0_4arch9wavefront6targetE0EEEvSP_,"axG",@progbits,_ZN7rocprim17ROCPRIM_400000_NS6detail17trampoline_kernelINS0_14default_configENS1_29binary_search_config_selectorIxbEEZNS1_14transform_implILb0ES3_S5_N6thrust23THRUST_200600_302600_NS6detail15normal_iteratorINS8_10device_ptrIxEEEENSA_INSB_IbEEEEZNS1_13binary_searchIS3_S5_SD_SD_SF_NS1_16binary_search_opENS9_16wrapped_functionINS0_4lessIvEEbEEEE10hipError_tPvRmT1_T2_T3_mmT4_T5_P12ihipStream_tbEUlRKxE_EESM_SQ_SR_mSS_SV_bEUlT_E_NS1_11comp_targetILNS1_3genE9ELNS1_11target_archE1100ELNS1_3gpuE3ELNS1_3repE0EEENS1_30default_config_static_selectorELNS0_4arch9wavefront6targetE0EEEvSP_,comdat
.Lfunc_end499:
	.size	_ZN7rocprim17ROCPRIM_400000_NS6detail17trampoline_kernelINS0_14default_configENS1_29binary_search_config_selectorIxbEEZNS1_14transform_implILb0ES3_S5_N6thrust23THRUST_200600_302600_NS6detail15normal_iteratorINS8_10device_ptrIxEEEENSA_INSB_IbEEEEZNS1_13binary_searchIS3_S5_SD_SD_SF_NS1_16binary_search_opENS9_16wrapped_functionINS0_4lessIvEEbEEEE10hipError_tPvRmT1_T2_T3_mmT4_T5_P12ihipStream_tbEUlRKxE_EESM_SQ_SR_mSS_SV_bEUlT_E_NS1_11comp_targetILNS1_3genE9ELNS1_11target_archE1100ELNS1_3gpuE3ELNS1_3repE0EEENS1_30default_config_static_selectorELNS0_4arch9wavefront6targetE0EEEvSP_, .Lfunc_end499-_ZN7rocprim17ROCPRIM_400000_NS6detail17trampoline_kernelINS0_14default_configENS1_29binary_search_config_selectorIxbEEZNS1_14transform_implILb0ES3_S5_N6thrust23THRUST_200600_302600_NS6detail15normal_iteratorINS8_10device_ptrIxEEEENSA_INSB_IbEEEEZNS1_13binary_searchIS3_S5_SD_SD_SF_NS1_16binary_search_opENS9_16wrapped_functionINS0_4lessIvEEbEEEE10hipError_tPvRmT1_T2_T3_mmT4_T5_P12ihipStream_tbEUlRKxE_EESM_SQ_SR_mSS_SV_bEUlT_E_NS1_11comp_targetILNS1_3genE9ELNS1_11target_archE1100ELNS1_3gpuE3ELNS1_3repE0EEENS1_30default_config_static_selectorELNS0_4arch9wavefront6targetE0EEEvSP_
                                        ; -- End function
	.section	.AMDGPU.csdata,"",@progbits
; Kernel info:
; codeLenInByte = 12084
; NumSgprs: 30
; NumVgprs: 42
; ScratchSize: 0
; MemoryBound: 0
; FloatMode: 240
; IeeeMode: 1
; LDSByteSize: 0 bytes/workgroup (compile time only)
; SGPRBlocks: 3
; VGPRBlocks: 5
; NumSGPRsForWavesPerEU: 30
; NumVGPRsForWavesPerEU: 42
; Occupancy: 16
; WaveLimiterHint : 1
; COMPUTE_PGM_RSRC2:SCRATCH_EN: 0
; COMPUTE_PGM_RSRC2:USER_SGPR: 15
; COMPUTE_PGM_RSRC2:TRAP_HANDLER: 0
; COMPUTE_PGM_RSRC2:TGID_X_EN: 1
; COMPUTE_PGM_RSRC2:TGID_Y_EN: 0
; COMPUTE_PGM_RSRC2:TGID_Z_EN: 0
; COMPUTE_PGM_RSRC2:TIDIG_COMP_CNT: 0
	.section	.text._ZN7rocprim17ROCPRIM_400000_NS6detail17trampoline_kernelINS0_14default_configENS1_29binary_search_config_selectorIxbEEZNS1_14transform_implILb0ES3_S5_N6thrust23THRUST_200600_302600_NS6detail15normal_iteratorINS8_10device_ptrIxEEEENSA_INSB_IbEEEEZNS1_13binary_searchIS3_S5_SD_SD_SF_NS1_16binary_search_opENS9_16wrapped_functionINS0_4lessIvEEbEEEE10hipError_tPvRmT1_T2_T3_mmT4_T5_P12ihipStream_tbEUlRKxE_EESM_SQ_SR_mSS_SV_bEUlT_E_NS1_11comp_targetILNS1_3genE8ELNS1_11target_archE1030ELNS1_3gpuE2ELNS1_3repE0EEENS1_30default_config_static_selectorELNS0_4arch9wavefront6targetE0EEEvSP_,"axG",@progbits,_ZN7rocprim17ROCPRIM_400000_NS6detail17trampoline_kernelINS0_14default_configENS1_29binary_search_config_selectorIxbEEZNS1_14transform_implILb0ES3_S5_N6thrust23THRUST_200600_302600_NS6detail15normal_iteratorINS8_10device_ptrIxEEEENSA_INSB_IbEEEEZNS1_13binary_searchIS3_S5_SD_SD_SF_NS1_16binary_search_opENS9_16wrapped_functionINS0_4lessIvEEbEEEE10hipError_tPvRmT1_T2_T3_mmT4_T5_P12ihipStream_tbEUlRKxE_EESM_SQ_SR_mSS_SV_bEUlT_E_NS1_11comp_targetILNS1_3genE8ELNS1_11target_archE1030ELNS1_3gpuE2ELNS1_3repE0EEENS1_30default_config_static_selectorELNS0_4arch9wavefront6targetE0EEEvSP_,comdat
	.protected	_ZN7rocprim17ROCPRIM_400000_NS6detail17trampoline_kernelINS0_14default_configENS1_29binary_search_config_selectorIxbEEZNS1_14transform_implILb0ES3_S5_N6thrust23THRUST_200600_302600_NS6detail15normal_iteratorINS8_10device_ptrIxEEEENSA_INSB_IbEEEEZNS1_13binary_searchIS3_S5_SD_SD_SF_NS1_16binary_search_opENS9_16wrapped_functionINS0_4lessIvEEbEEEE10hipError_tPvRmT1_T2_T3_mmT4_T5_P12ihipStream_tbEUlRKxE_EESM_SQ_SR_mSS_SV_bEUlT_E_NS1_11comp_targetILNS1_3genE8ELNS1_11target_archE1030ELNS1_3gpuE2ELNS1_3repE0EEENS1_30default_config_static_selectorELNS0_4arch9wavefront6targetE0EEEvSP_ ; -- Begin function _ZN7rocprim17ROCPRIM_400000_NS6detail17trampoline_kernelINS0_14default_configENS1_29binary_search_config_selectorIxbEEZNS1_14transform_implILb0ES3_S5_N6thrust23THRUST_200600_302600_NS6detail15normal_iteratorINS8_10device_ptrIxEEEENSA_INSB_IbEEEEZNS1_13binary_searchIS3_S5_SD_SD_SF_NS1_16binary_search_opENS9_16wrapped_functionINS0_4lessIvEEbEEEE10hipError_tPvRmT1_T2_T3_mmT4_T5_P12ihipStream_tbEUlRKxE_EESM_SQ_SR_mSS_SV_bEUlT_E_NS1_11comp_targetILNS1_3genE8ELNS1_11target_archE1030ELNS1_3gpuE2ELNS1_3repE0EEENS1_30default_config_static_selectorELNS0_4arch9wavefront6targetE0EEEvSP_
	.globl	_ZN7rocprim17ROCPRIM_400000_NS6detail17trampoline_kernelINS0_14default_configENS1_29binary_search_config_selectorIxbEEZNS1_14transform_implILb0ES3_S5_N6thrust23THRUST_200600_302600_NS6detail15normal_iteratorINS8_10device_ptrIxEEEENSA_INSB_IbEEEEZNS1_13binary_searchIS3_S5_SD_SD_SF_NS1_16binary_search_opENS9_16wrapped_functionINS0_4lessIvEEbEEEE10hipError_tPvRmT1_T2_T3_mmT4_T5_P12ihipStream_tbEUlRKxE_EESM_SQ_SR_mSS_SV_bEUlT_E_NS1_11comp_targetILNS1_3genE8ELNS1_11target_archE1030ELNS1_3gpuE2ELNS1_3repE0EEENS1_30default_config_static_selectorELNS0_4arch9wavefront6targetE0EEEvSP_
	.p2align	8
	.type	_ZN7rocprim17ROCPRIM_400000_NS6detail17trampoline_kernelINS0_14default_configENS1_29binary_search_config_selectorIxbEEZNS1_14transform_implILb0ES3_S5_N6thrust23THRUST_200600_302600_NS6detail15normal_iteratorINS8_10device_ptrIxEEEENSA_INSB_IbEEEEZNS1_13binary_searchIS3_S5_SD_SD_SF_NS1_16binary_search_opENS9_16wrapped_functionINS0_4lessIvEEbEEEE10hipError_tPvRmT1_T2_T3_mmT4_T5_P12ihipStream_tbEUlRKxE_EESM_SQ_SR_mSS_SV_bEUlT_E_NS1_11comp_targetILNS1_3genE8ELNS1_11target_archE1030ELNS1_3gpuE2ELNS1_3repE0EEENS1_30default_config_static_selectorELNS0_4arch9wavefront6targetE0EEEvSP_,@function
_ZN7rocprim17ROCPRIM_400000_NS6detail17trampoline_kernelINS0_14default_configENS1_29binary_search_config_selectorIxbEEZNS1_14transform_implILb0ES3_S5_N6thrust23THRUST_200600_302600_NS6detail15normal_iteratorINS8_10device_ptrIxEEEENSA_INSB_IbEEEEZNS1_13binary_searchIS3_S5_SD_SD_SF_NS1_16binary_search_opENS9_16wrapped_functionINS0_4lessIvEEbEEEE10hipError_tPvRmT1_T2_T3_mmT4_T5_P12ihipStream_tbEUlRKxE_EESM_SQ_SR_mSS_SV_bEUlT_E_NS1_11comp_targetILNS1_3genE8ELNS1_11target_archE1030ELNS1_3gpuE2ELNS1_3repE0EEENS1_30default_config_static_selectorELNS0_4arch9wavefront6targetE0EEEvSP_: ; @_ZN7rocprim17ROCPRIM_400000_NS6detail17trampoline_kernelINS0_14default_configENS1_29binary_search_config_selectorIxbEEZNS1_14transform_implILb0ES3_S5_N6thrust23THRUST_200600_302600_NS6detail15normal_iteratorINS8_10device_ptrIxEEEENSA_INSB_IbEEEEZNS1_13binary_searchIS3_S5_SD_SD_SF_NS1_16binary_search_opENS9_16wrapped_functionINS0_4lessIvEEbEEEE10hipError_tPvRmT1_T2_T3_mmT4_T5_P12ihipStream_tbEUlRKxE_EESM_SQ_SR_mSS_SV_bEUlT_E_NS1_11comp_targetILNS1_3genE8ELNS1_11target_archE1030ELNS1_3gpuE2ELNS1_3repE0EEENS1_30default_config_static_selectorELNS0_4arch9wavefront6targetE0EEEvSP_
; %bb.0:
	.section	.rodata,"a",@progbits
	.p2align	6, 0x0
	.amdhsa_kernel _ZN7rocprim17ROCPRIM_400000_NS6detail17trampoline_kernelINS0_14default_configENS1_29binary_search_config_selectorIxbEEZNS1_14transform_implILb0ES3_S5_N6thrust23THRUST_200600_302600_NS6detail15normal_iteratorINS8_10device_ptrIxEEEENSA_INSB_IbEEEEZNS1_13binary_searchIS3_S5_SD_SD_SF_NS1_16binary_search_opENS9_16wrapped_functionINS0_4lessIvEEbEEEE10hipError_tPvRmT1_T2_T3_mmT4_T5_P12ihipStream_tbEUlRKxE_EESM_SQ_SR_mSS_SV_bEUlT_E_NS1_11comp_targetILNS1_3genE8ELNS1_11target_archE1030ELNS1_3gpuE2ELNS1_3repE0EEENS1_30default_config_static_selectorELNS0_4arch9wavefront6targetE0EEEvSP_
		.amdhsa_group_segment_fixed_size 0
		.amdhsa_private_segment_fixed_size 0
		.amdhsa_kernarg_size 56
		.amdhsa_user_sgpr_count 15
		.amdhsa_user_sgpr_dispatch_ptr 0
		.amdhsa_user_sgpr_queue_ptr 0
		.amdhsa_user_sgpr_kernarg_segment_ptr 1
		.amdhsa_user_sgpr_dispatch_id 0
		.amdhsa_user_sgpr_private_segment_size 0
		.amdhsa_wavefront_size32 1
		.amdhsa_uses_dynamic_stack 0
		.amdhsa_enable_private_segment 0
		.amdhsa_system_sgpr_workgroup_id_x 1
		.amdhsa_system_sgpr_workgroup_id_y 0
		.amdhsa_system_sgpr_workgroup_id_z 0
		.amdhsa_system_sgpr_workgroup_info 0
		.amdhsa_system_vgpr_workitem_id 0
		.amdhsa_next_free_vgpr 1
		.amdhsa_next_free_sgpr 1
		.amdhsa_reserve_vcc 0
		.amdhsa_float_round_mode_32 0
		.amdhsa_float_round_mode_16_64 0
		.amdhsa_float_denorm_mode_32 3
		.amdhsa_float_denorm_mode_16_64 3
		.amdhsa_dx10_clamp 1
		.amdhsa_ieee_mode 1
		.amdhsa_fp16_overflow 0
		.amdhsa_workgroup_processor_mode 1
		.amdhsa_memory_ordered 1
		.amdhsa_forward_progress 0
		.amdhsa_shared_vgpr_count 0
		.amdhsa_exception_fp_ieee_invalid_op 0
		.amdhsa_exception_fp_denorm_src 0
		.amdhsa_exception_fp_ieee_div_zero 0
		.amdhsa_exception_fp_ieee_overflow 0
		.amdhsa_exception_fp_ieee_underflow 0
		.amdhsa_exception_fp_ieee_inexact 0
		.amdhsa_exception_int_div_zero 0
	.end_amdhsa_kernel
	.section	.text._ZN7rocprim17ROCPRIM_400000_NS6detail17trampoline_kernelINS0_14default_configENS1_29binary_search_config_selectorIxbEEZNS1_14transform_implILb0ES3_S5_N6thrust23THRUST_200600_302600_NS6detail15normal_iteratorINS8_10device_ptrIxEEEENSA_INSB_IbEEEEZNS1_13binary_searchIS3_S5_SD_SD_SF_NS1_16binary_search_opENS9_16wrapped_functionINS0_4lessIvEEbEEEE10hipError_tPvRmT1_T2_T3_mmT4_T5_P12ihipStream_tbEUlRKxE_EESM_SQ_SR_mSS_SV_bEUlT_E_NS1_11comp_targetILNS1_3genE8ELNS1_11target_archE1030ELNS1_3gpuE2ELNS1_3repE0EEENS1_30default_config_static_selectorELNS0_4arch9wavefront6targetE0EEEvSP_,"axG",@progbits,_ZN7rocprim17ROCPRIM_400000_NS6detail17trampoline_kernelINS0_14default_configENS1_29binary_search_config_selectorIxbEEZNS1_14transform_implILb0ES3_S5_N6thrust23THRUST_200600_302600_NS6detail15normal_iteratorINS8_10device_ptrIxEEEENSA_INSB_IbEEEEZNS1_13binary_searchIS3_S5_SD_SD_SF_NS1_16binary_search_opENS9_16wrapped_functionINS0_4lessIvEEbEEEE10hipError_tPvRmT1_T2_T3_mmT4_T5_P12ihipStream_tbEUlRKxE_EESM_SQ_SR_mSS_SV_bEUlT_E_NS1_11comp_targetILNS1_3genE8ELNS1_11target_archE1030ELNS1_3gpuE2ELNS1_3repE0EEENS1_30default_config_static_selectorELNS0_4arch9wavefront6targetE0EEEvSP_,comdat
.Lfunc_end500:
	.size	_ZN7rocprim17ROCPRIM_400000_NS6detail17trampoline_kernelINS0_14default_configENS1_29binary_search_config_selectorIxbEEZNS1_14transform_implILb0ES3_S5_N6thrust23THRUST_200600_302600_NS6detail15normal_iteratorINS8_10device_ptrIxEEEENSA_INSB_IbEEEEZNS1_13binary_searchIS3_S5_SD_SD_SF_NS1_16binary_search_opENS9_16wrapped_functionINS0_4lessIvEEbEEEE10hipError_tPvRmT1_T2_T3_mmT4_T5_P12ihipStream_tbEUlRKxE_EESM_SQ_SR_mSS_SV_bEUlT_E_NS1_11comp_targetILNS1_3genE8ELNS1_11target_archE1030ELNS1_3gpuE2ELNS1_3repE0EEENS1_30default_config_static_selectorELNS0_4arch9wavefront6targetE0EEEvSP_, .Lfunc_end500-_ZN7rocprim17ROCPRIM_400000_NS6detail17trampoline_kernelINS0_14default_configENS1_29binary_search_config_selectorIxbEEZNS1_14transform_implILb0ES3_S5_N6thrust23THRUST_200600_302600_NS6detail15normal_iteratorINS8_10device_ptrIxEEEENSA_INSB_IbEEEEZNS1_13binary_searchIS3_S5_SD_SD_SF_NS1_16binary_search_opENS9_16wrapped_functionINS0_4lessIvEEbEEEE10hipError_tPvRmT1_T2_T3_mmT4_T5_P12ihipStream_tbEUlRKxE_EESM_SQ_SR_mSS_SV_bEUlT_E_NS1_11comp_targetILNS1_3genE8ELNS1_11target_archE1030ELNS1_3gpuE2ELNS1_3repE0EEENS1_30default_config_static_selectorELNS0_4arch9wavefront6targetE0EEEvSP_
                                        ; -- End function
	.section	.AMDGPU.csdata,"",@progbits
; Kernel info:
; codeLenInByte = 0
; NumSgprs: 0
; NumVgprs: 0
; ScratchSize: 0
; MemoryBound: 0
; FloatMode: 240
; IeeeMode: 1
; LDSByteSize: 0 bytes/workgroup (compile time only)
; SGPRBlocks: 0
; VGPRBlocks: 0
; NumSGPRsForWavesPerEU: 1
; NumVGPRsForWavesPerEU: 1
; Occupancy: 16
; WaveLimiterHint : 0
; COMPUTE_PGM_RSRC2:SCRATCH_EN: 0
; COMPUTE_PGM_RSRC2:USER_SGPR: 15
; COMPUTE_PGM_RSRC2:TRAP_HANDLER: 0
; COMPUTE_PGM_RSRC2:TGID_X_EN: 1
; COMPUTE_PGM_RSRC2:TGID_Y_EN: 0
; COMPUTE_PGM_RSRC2:TGID_Z_EN: 0
; COMPUTE_PGM_RSRC2:TIDIG_COMP_CNT: 0
	.section	.text._ZN7rocprim17ROCPRIM_400000_NS6detail17trampoline_kernelINS0_14default_configENS1_29binary_search_config_selectorIxiEEZNS1_14transform_implILb0ES3_S5_N6thrust23THRUST_200600_302600_NS6detail15normal_iteratorINS8_10device_ptrIxEEEENSA_INSB_IiEEEEZNS1_13binary_searchIS3_S5_SD_SD_SF_NS1_16binary_search_opENS9_16wrapped_functionINS0_4lessIvEEbEEEE10hipError_tPvRmT1_T2_T3_mmT4_T5_P12ihipStream_tbEUlRKxE_EESM_SQ_SR_mSS_SV_bEUlT_E_NS1_11comp_targetILNS1_3genE0ELNS1_11target_archE4294967295ELNS1_3gpuE0ELNS1_3repE0EEENS1_30default_config_static_selectorELNS0_4arch9wavefront6targetE0EEEvSP_,"axG",@progbits,_ZN7rocprim17ROCPRIM_400000_NS6detail17trampoline_kernelINS0_14default_configENS1_29binary_search_config_selectorIxiEEZNS1_14transform_implILb0ES3_S5_N6thrust23THRUST_200600_302600_NS6detail15normal_iteratorINS8_10device_ptrIxEEEENSA_INSB_IiEEEEZNS1_13binary_searchIS3_S5_SD_SD_SF_NS1_16binary_search_opENS9_16wrapped_functionINS0_4lessIvEEbEEEE10hipError_tPvRmT1_T2_T3_mmT4_T5_P12ihipStream_tbEUlRKxE_EESM_SQ_SR_mSS_SV_bEUlT_E_NS1_11comp_targetILNS1_3genE0ELNS1_11target_archE4294967295ELNS1_3gpuE0ELNS1_3repE0EEENS1_30default_config_static_selectorELNS0_4arch9wavefront6targetE0EEEvSP_,comdat
	.protected	_ZN7rocprim17ROCPRIM_400000_NS6detail17trampoline_kernelINS0_14default_configENS1_29binary_search_config_selectorIxiEEZNS1_14transform_implILb0ES3_S5_N6thrust23THRUST_200600_302600_NS6detail15normal_iteratorINS8_10device_ptrIxEEEENSA_INSB_IiEEEEZNS1_13binary_searchIS3_S5_SD_SD_SF_NS1_16binary_search_opENS9_16wrapped_functionINS0_4lessIvEEbEEEE10hipError_tPvRmT1_T2_T3_mmT4_T5_P12ihipStream_tbEUlRKxE_EESM_SQ_SR_mSS_SV_bEUlT_E_NS1_11comp_targetILNS1_3genE0ELNS1_11target_archE4294967295ELNS1_3gpuE0ELNS1_3repE0EEENS1_30default_config_static_selectorELNS0_4arch9wavefront6targetE0EEEvSP_ ; -- Begin function _ZN7rocprim17ROCPRIM_400000_NS6detail17trampoline_kernelINS0_14default_configENS1_29binary_search_config_selectorIxiEEZNS1_14transform_implILb0ES3_S5_N6thrust23THRUST_200600_302600_NS6detail15normal_iteratorINS8_10device_ptrIxEEEENSA_INSB_IiEEEEZNS1_13binary_searchIS3_S5_SD_SD_SF_NS1_16binary_search_opENS9_16wrapped_functionINS0_4lessIvEEbEEEE10hipError_tPvRmT1_T2_T3_mmT4_T5_P12ihipStream_tbEUlRKxE_EESM_SQ_SR_mSS_SV_bEUlT_E_NS1_11comp_targetILNS1_3genE0ELNS1_11target_archE4294967295ELNS1_3gpuE0ELNS1_3repE0EEENS1_30default_config_static_selectorELNS0_4arch9wavefront6targetE0EEEvSP_
	.globl	_ZN7rocprim17ROCPRIM_400000_NS6detail17trampoline_kernelINS0_14default_configENS1_29binary_search_config_selectorIxiEEZNS1_14transform_implILb0ES3_S5_N6thrust23THRUST_200600_302600_NS6detail15normal_iteratorINS8_10device_ptrIxEEEENSA_INSB_IiEEEEZNS1_13binary_searchIS3_S5_SD_SD_SF_NS1_16binary_search_opENS9_16wrapped_functionINS0_4lessIvEEbEEEE10hipError_tPvRmT1_T2_T3_mmT4_T5_P12ihipStream_tbEUlRKxE_EESM_SQ_SR_mSS_SV_bEUlT_E_NS1_11comp_targetILNS1_3genE0ELNS1_11target_archE4294967295ELNS1_3gpuE0ELNS1_3repE0EEENS1_30default_config_static_selectorELNS0_4arch9wavefront6targetE0EEEvSP_
	.p2align	8
	.type	_ZN7rocprim17ROCPRIM_400000_NS6detail17trampoline_kernelINS0_14default_configENS1_29binary_search_config_selectorIxiEEZNS1_14transform_implILb0ES3_S5_N6thrust23THRUST_200600_302600_NS6detail15normal_iteratorINS8_10device_ptrIxEEEENSA_INSB_IiEEEEZNS1_13binary_searchIS3_S5_SD_SD_SF_NS1_16binary_search_opENS9_16wrapped_functionINS0_4lessIvEEbEEEE10hipError_tPvRmT1_T2_T3_mmT4_T5_P12ihipStream_tbEUlRKxE_EESM_SQ_SR_mSS_SV_bEUlT_E_NS1_11comp_targetILNS1_3genE0ELNS1_11target_archE4294967295ELNS1_3gpuE0ELNS1_3repE0EEENS1_30default_config_static_selectorELNS0_4arch9wavefront6targetE0EEEvSP_,@function
_ZN7rocprim17ROCPRIM_400000_NS6detail17trampoline_kernelINS0_14default_configENS1_29binary_search_config_selectorIxiEEZNS1_14transform_implILb0ES3_S5_N6thrust23THRUST_200600_302600_NS6detail15normal_iteratorINS8_10device_ptrIxEEEENSA_INSB_IiEEEEZNS1_13binary_searchIS3_S5_SD_SD_SF_NS1_16binary_search_opENS9_16wrapped_functionINS0_4lessIvEEbEEEE10hipError_tPvRmT1_T2_T3_mmT4_T5_P12ihipStream_tbEUlRKxE_EESM_SQ_SR_mSS_SV_bEUlT_E_NS1_11comp_targetILNS1_3genE0ELNS1_11target_archE4294967295ELNS1_3gpuE0ELNS1_3repE0EEENS1_30default_config_static_selectorELNS0_4arch9wavefront6targetE0EEEvSP_: ; @_ZN7rocprim17ROCPRIM_400000_NS6detail17trampoline_kernelINS0_14default_configENS1_29binary_search_config_selectorIxiEEZNS1_14transform_implILb0ES3_S5_N6thrust23THRUST_200600_302600_NS6detail15normal_iteratorINS8_10device_ptrIxEEEENSA_INSB_IiEEEEZNS1_13binary_searchIS3_S5_SD_SD_SF_NS1_16binary_search_opENS9_16wrapped_functionINS0_4lessIvEEbEEEE10hipError_tPvRmT1_T2_T3_mmT4_T5_P12ihipStream_tbEUlRKxE_EESM_SQ_SR_mSS_SV_bEUlT_E_NS1_11comp_targetILNS1_3genE0ELNS1_11target_archE4294967295ELNS1_3gpuE0ELNS1_3repE0EEENS1_30default_config_static_selectorELNS0_4arch9wavefront6targetE0EEEvSP_
; %bb.0:
	.section	.rodata,"a",@progbits
	.p2align	6, 0x0
	.amdhsa_kernel _ZN7rocprim17ROCPRIM_400000_NS6detail17trampoline_kernelINS0_14default_configENS1_29binary_search_config_selectorIxiEEZNS1_14transform_implILb0ES3_S5_N6thrust23THRUST_200600_302600_NS6detail15normal_iteratorINS8_10device_ptrIxEEEENSA_INSB_IiEEEEZNS1_13binary_searchIS3_S5_SD_SD_SF_NS1_16binary_search_opENS9_16wrapped_functionINS0_4lessIvEEbEEEE10hipError_tPvRmT1_T2_T3_mmT4_T5_P12ihipStream_tbEUlRKxE_EESM_SQ_SR_mSS_SV_bEUlT_E_NS1_11comp_targetILNS1_3genE0ELNS1_11target_archE4294967295ELNS1_3gpuE0ELNS1_3repE0EEENS1_30default_config_static_selectorELNS0_4arch9wavefront6targetE0EEEvSP_
		.amdhsa_group_segment_fixed_size 0
		.amdhsa_private_segment_fixed_size 0
		.amdhsa_kernarg_size 56
		.amdhsa_user_sgpr_count 15
		.amdhsa_user_sgpr_dispatch_ptr 0
		.amdhsa_user_sgpr_queue_ptr 0
		.amdhsa_user_sgpr_kernarg_segment_ptr 1
		.amdhsa_user_sgpr_dispatch_id 0
		.amdhsa_user_sgpr_private_segment_size 0
		.amdhsa_wavefront_size32 1
		.amdhsa_uses_dynamic_stack 0
		.amdhsa_enable_private_segment 0
		.amdhsa_system_sgpr_workgroup_id_x 1
		.amdhsa_system_sgpr_workgroup_id_y 0
		.amdhsa_system_sgpr_workgroup_id_z 0
		.amdhsa_system_sgpr_workgroup_info 0
		.amdhsa_system_vgpr_workitem_id 0
		.amdhsa_next_free_vgpr 1
		.amdhsa_next_free_sgpr 1
		.amdhsa_reserve_vcc 0
		.amdhsa_float_round_mode_32 0
		.amdhsa_float_round_mode_16_64 0
		.amdhsa_float_denorm_mode_32 3
		.amdhsa_float_denorm_mode_16_64 3
		.amdhsa_dx10_clamp 1
		.amdhsa_ieee_mode 1
		.amdhsa_fp16_overflow 0
		.amdhsa_workgroup_processor_mode 1
		.amdhsa_memory_ordered 1
		.amdhsa_forward_progress 0
		.amdhsa_shared_vgpr_count 0
		.amdhsa_exception_fp_ieee_invalid_op 0
		.amdhsa_exception_fp_denorm_src 0
		.amdhsa_exception_fp_ieee_div_zero 0
		.amdhsa_exception_fp_ieee_overflow 0
		.amdhsa_exception_fp_ieee_underflow 0
		.amdhsa_exception_fp_ieee_inexact 0
		.amdhsa_exception_int_div_zero 0
	.end_amdhsa_kernel
	.section	.text._ZN7rocprim17ROCPRIM_400000_NS6detail17trampoline_kernelINS0_14default_configENS1_29binary_search_config_selectorIxiEEZNS1_14transform_implILb0ES3_S5_N6thrust23THRUST_200600_302600_NS6detail15normal_iteratorINS8_10device_ptrIxEEEENSA_INSB_IiEEEEZNS1_13binary_searchIS3_S5_SD_SD_SF_NS1_16binary_search_opENS9_16wrapped_functionINS0_4lessIvEEbEEEE10hipError_tPvRmT1_T2_T3_mmT4_T5_P12ihipStream_tbEUlRKxE_EESM_SQ_SR_mSS_SV_bEUlT_E_NS1_11comp_targetILNS1_3genE0ELNS1_11target_archE4294967295ELNS1_3gpuE0ELNS1_3repE0EEENS1_30default_config_static_selectorELNS0_4arch9wavefront6targetE0EEEvSP_,"axG",@progbits,_ZN7rocprim17ROCPRIM_400000_NS6detail17trampoline_kernelINS0_14default_configENS1_29binary_search_config_selectorIxiEEZNS1_14transform_implILb0ES3_S5_N6thrust23THRUST_200600_302600_NS6detail15normal_iteratorINS8_10device_ptrIxEEEENSA_INSB_IiEEEEZNS1_13binary_searchIS3_S5_SD_SD_SF_NS1_16binary_search_opENS9_16wrapped_functionINS0_4lessIvEEbEEEE10hipError_tPvRmT1_T2_T3_mmT4_T5_P12ihipStream_tbEUlRKxE_EESM_SQ_SR_mSS_SV_bEUlT_E_NS1_11comp_targetILNS1_3genE0ELNS1_11target_archE4294967295ELNS1_3gpuE0ELNS1_3repE0EEENS1_30default_config_static_selectorELNS0_4arch9wavefront6targetE0EEEvSP_,comdat
.Lfunc_end501:
	.size	_ZN7rocprim17ROCPRIM_400000_NS6detail17trampoline_kernelINS0_14default_configENS1_29binary_search_config_selectorIxiEEZNS1_14transform_implILb0ES3_S5_N6thrust23THRUST_200600_302600_NS6detail15normal_iteratorINS8_10device_ptrIxEEEENSA_INSB_IiEEEEZNS1_13binary_searchIS3_S5_SD_SD_SF_NS1_16binary_search_opENS9_16wrapped_functionINS0_4lessIvEEbEEEE10hipError_tPvRmT1_T2_T3_mmT4_T5_P12ihipStream_tbEUlRKxE_EESM_SQ_SR_mSS_SV_bEUlT_E_NS1_11comp_targetILNS1_3genE0ELNS1_11target_archE4294967295ELNS1_3gpuE0ELNS1_3repE0EEENS1_30default_config_static_selectorELNS0_4arch9wavefront6targetE0EEEvSP_, .Lfunc_end501-_ZN7rocprim17ROCPRIM_400000_NS6detail17trampoline_kernelINS0_14default_configENS1_29binary_search_config_selectorIxiEEZNS1_14transform_implILb0ES3_S5_N6thrust23THRUST_200600_302600_NS6detail15normal_iteratorINS8_10device_ptrIxEEEENSA_INSB_IiEEEEZNS1_13binary_searchIS3_S5_SD_SD_SF_NS1_16binary_search_opENS9_16wrapped_functionINS0_4lessIvEEbEEEE10hipError_tPvRmT1_T2_T3_mmT4_T5_P12ihipStream_tbEUlRKxE_EESM_SQ_SR_mSS_SV_bEUlT_E_NS1_11comp_targetILNS1_3genE0ELNS1_11target_archE4294967295ELNS1_3gpuE0ELNS1_3repE0EEENS1_30default_config_static_selectorELNS0_4arch9wavefront6targetE0EEEvSP_
                                        ; -- End function
	.section	.AMDGPU.csdata,"",@progbits
; Kernel info:
; codeLenInByte = 0
; NumSgprs: 0
; NumVgprs: 0
; ScratchSize: 0
; MemoryBound: 0
; FloatMode: 240
; IeeeMode: 1
; LDSByteSize: 0 bytes/workgroup (compile time only)
; SGPRBlocks: 0
; VGPRBlocks: 0
; NumSGPRsForWavesPerEU: 1
; NumVGPRsForWavesPerEU: 1
; Occupancy: 16
; WaveLimiterHint : 0
; COMPUTE_PGM_RSRC2:SCRATCH_EN: 0
; COMPUTE_PGM_RSRC2:USER_SGPR: 15
; COMPUTE_PGM_RSRC2:TRAP_HANDLER: 0
; COMPUTE_PGM_RSRC2:TGID_X_EN: 1
; COMPUTE_PGM_RSRC2:TGID_Y_EN: 0
; COMPUTE_PGM_RSRC2:TGID_Z_EN: 0
; COMPUTE_PGM_RSRC2:TIDIG_COMP_CNT: 0
	.section	.text._ZN7rocprim17ROCPRIM_400000_NS6detail17trampoline_kernelINS0_14default_configENS1_29binary_search_config_selectorIxiEEZNS1_14transform_implILb0ES3_S5_N6thrust23THRUST_200600_302600_NS6detail15normal_iteratorINS8_10device_ptrIxEEEENSA_INSB_IiEEEEZNS1_13binary_searchIS3_S5_SD_SD_SF_NS1_16binary_search_opENS9_16wrapped_functionINS0_4lessIvEEbEEEE10hipError_tPvRmT1_T2_T3_mmT4_T5_P12ihipStream_tbEUlRKxE_EESM_SQ_SR_mSS_SV_bEUlT_E_NS1_11comp_targetILNS1_3genE5ELNS1_11target_archE942ELNS1_3gpuE9ELNS1_3repE0EEENS1_30default_config_static_selectorELNS0_4arch9wavefront6targetE0EEEvSP_,"axG",@progbits,_ZN7rocprim17ROCPRIM_400000_NS6detail17trampoline_kernelINS0_14default_configENS1_29binary_search_config_selectorIxiEEZNS1_14transform_implILb0ES3_S5_N6thrust23THRUST_200600_302600_NS6detail15normal_iteratorINS8_10device_ptrIxEEEENSA_INSB_IiEEEEZNS1_13binary_searchIS3_S5_SD_SD_SF_NS1_16binary_search_opENS9_16wrapped_functionINS0_4lessIvEEbEEEE10hipError_tPvRmT1_T2_T3_mmT4_T5_P12ihipStream_tbEUlRKxE_EESM_SQ_SR_mSS_SV_bEUlT_E_NS1_11comp_targetILNS1_3genE5ELNS1_11target_archE942ELNS1_3gpuE9ELNS1_3repE0EEENS1_30default_config_static_selectorELNS0_4arch9wavefront6targetE0EEEvSP_,comdat
	.protected	_ZN7rocprim17ROCPRIM_400000_NS6detail17trampoline_kernelINS0_14default_configENS1_29binary_search_config_selectorIxiEEZNS1_14transform_implILb0ES3_S5_N6thrust23THRUST_200600_302600_NS6detail15normal_iteratorINS8_10device_ptrIxEEEENSA_INSB_IiEEEEZNS1_13binary_searchIS3_S5_SD_SD_SF_NS1_16binary_search_opENS9_16wrapped_functionINS0_4lessIvEEbEEEE10hipError_tPvRmT1_T2_T3_mmT4_T5_P12ihipStream_tbEUlRKxE_EESM_SQ_SR_mSS_SV_bEUlT_E_NS1_11comp_targetILNS1_3genE5ELNS1_11target_archE942ELNS1_3gpuE9ELNS1_3repE0EEENS1_30default_config_static_selectorELNS0_4arch9wavefront6targetE0EEEvSP_ ; -- Begin function _ZN7rocprim17ROCPRIM_400000_NS6detail17trampoline_kernelINS0_14default_configENS1_29binary_search_config_selectorIxiEEZNS1_14transform_implILb0ES3_S5_N6thrust23THRUST_200600_302600_NS6detail15normal_iteratorINS8_10device_ptrIxEEEENSA_INSB_IiEEEEZNS1_13binary_searchIS3_S5_SD_SD_SF_NS1_16binary_search_opENS9_16wrapped_functionINS0_4lessIvEEbEEEE10hipError_tPvRmT1_T2_T3_mmT4_T5_P12ihipStream_tbEUlRKxE_EESM_SQ_SR_mSS_SV_bEUlT_E_NS1_11comp_targetILNS1_3genE5ELNS1_11target_archE942ELNS1_3gpuE9ELNS1_3repE0EEENS1_30default_config_static_selectorELNS0_4arch9wavefront6targetE0EEEvSP_
	.globl	_ZN7rocprim17ROCPRIM_400000_NS6detail17trampoline_kernelINS0_14default_configENS1_29binary_search_config_selectorIxiEEZNS1_14transform_implILb0ES3_S5_N6thrust23THRUST_200600_302600_NS6detail15normal_iteratorINS8_10device_ptrIxEEEENSA_INSB_IiEEEEZNS1_13binary_searchIS3_S5_SD_SD_SF_NS1_16binary_search_opENS9_16wrapped_functionINS0_4lessIvEEbEEEE10hipError_tPvRmT1_T2_T3_mmT4_T5_P12ihipStream_tbEUlRKxE_EESM_SQ_SR_mSS_SV_bEUlT_E_NS1_11comp_targetILNS1_3genE5ELNS1_11target_archE942ELNS1_3gpuE9ELNS1_3repE0EEENS1_30default_config_static_selectorELNS0_4arch9wavefront6targetE0EEEvSP_
	.p2align	8
	.type	_ZN7rocprim17ROCPRIM_400000_NS6detail17trampoline_kernelINS0_14default_configENS1_29binary_search_config_selectorIxiEEZNS1_14transform_implILb0ES3_S5_N6thrust23THRUST_200600_302600_NS6detail15normal_iteratorINS8_10device_ptrIxEEEENSA_INSB_IiEEEEZNS1_13binary_searchIS3_S5_SD_SD_SF_NS1_16binary_search_opENS9_16wrapped_functionINS0_4lessIvEEbEEEE10hipError_tPvRmT1_T2_T3_mmT4_T5_P12ihipStream_tbEUlRKxE_EESM_SQ_SR_mSS_SV_bEUlT_E_NS1_11comp_targetILNS1_3genE5ELNS1_11target_archE942ELNS1_3gpuE9ELNS1_3repE0EEENS1_30default_config_static_selectorELNS0_4arch9wavefront6targetE0EEEvSP_,@function
_ZN7rocprim17ROCPRIM_400000_NS6detail17trampoline_kernelINS0_14default_configENS1_29binary_search_config_selectorIxiEEZNS1_14transform_implILb0ES3_S5_N6thrust23THRUST_200600_302600_NS6detail15normal_iteratorINS8_10device_ptrIxEEEENSA_INSB_IiEEEEZNS1_13binary_searchIS3_S5_SD_SD_SF_NS1_16binary_search_opENS9_16wrapped_functionINS0_4lessIvEEbEEEE10hipError_tPvRmT1_T2_T3_mmT4_T5_P12ihipStream_tbEUlRKxE_EESM_SQ_SR_mSS_SV_bEUlT_E_NS1_11comp_targetILNS1_3genE5ELNS1_11target_archE942ELNS1_3gpuE9ELNS1_3repE0EEENS1_30default_config_static_selectorELNS0_4arch9wavefront6targetE0EEEvSP_: ; @_ZN7rocprim17ROCPRIM_400000_NS6detail17trampoline_kernelINS0_14default_configENS1_29binary_search_config_selectorIxiEEZNS1_14transform_implILb0ES3_S5_N6thrust23THRUST_200600_302600_NS6detail15normal_iteratorINS8_10device_ptrIxEEEENSA_INSB_IiEEEEZNS1_13binary_searchIS3_S5_SD_SD_SF_NS1_16binary_search_opENS9_16wrapped_functionINS0_4lessIvEEbEEEE10hipError_tPvRmT1_T2_T3_mmT4_T5_P12ihipStream_tbEUlRKxE_EESM_SQ_SR_mSS_SV_bEUlT_E_NS1_11comp_targetILNS1_3genE5ELNS1_11target_archE942ELNS1_3gpuE9ELNS1_3repE0EEENS1_30default_config_static_selectorELNS0_4arch9wavefront6targetE0EEEvSP_
; %bb.0:
	.section	.rodata,"a",@progbits
	.p2align	6, 0x0
	.amdhsa_kernel _ZN7rocprim17ROCPRIM_400000_NS6detail17trampoline_kernelINS0_14default_configENS1_29binary_search_config_selectorIxiEEZNS1_14transform_implILb0ES3_S5_N6thrust23THRUST_200600_302600_NS6detail15normal_iteratorINS8_10device_ptrIxEEEENSA_INSB_IiEEEEZNS1_13binary_searchIS3_S5_SD_SD_SF_NS1_16binary_search_opENS9_16wrapped_functionINS0_4lessIvEEbEEEE10hipError_tPvRmT1_T2_T3_mmT4_T5_P12ihipStream_tbEUlRKxE_EESM_SQ_SR_mSS_SV_bEUlT_E_NS1_11comp_targetILNS1_3genE5ELNS1_11target_archE942ELNS1_3gpuE9ELNS1_3repE0EEENS1_30default_config_static_selectorELNS0_4arch9wavefront6targetE0EEEvSP_
		.amdhsa_group_segment_fixed_size 0
		.amdhsa_private_segment_fixed_size 0
		.amdhsa_kernarg_size 56
		.amdhsa_user_sgpr_count 15
		.amdhsa_user_sgpr_dispatch_ptr 0
		.amdhsa_user_sgpr_queue_ptr 0
		.amdhsa_user_sgpr_kernarg_segment_ptr 1
		.amdhsa_user_sgpr_dispatch_id 0
		.amdhsa_user_sgpr_private_segment_size 0
		.amdhsa_wavefront_size32 1
		.amdhsa_uses_dynamic_stack 0
		.amdhsa_enable_private_segment 0
		.amdhsa_system_sgpr_workgroup_id_x 1
		.amdhsa_system_sgpr_workgroup_id_y 0
		.amdhsa_system_sgpr_workgroup_id_z 0
		.amdhsa_system_sgpr_workgroup_info 0
		.amdhsa_system_vgpr_workitem_id 0
		.amdhsa_next_free_vgpr 1
		.amdhsa_next_free_sgpr 1
		.amdhsa_reserve_vcc 0
		.amdhsa_float_round_mode_32 0
		.amdhsa_float_round_mode_16_64 0
		.amdhsa_float_denorm_mode_32 3
		.amdhsa_float_denorm_mode_16_64 3
		.amdhsa_dx10_clamp 1
		.amdhsa_ieee_mode 1
		.amdhsa_fp16_overflow 0
		.amdhsa_workgroup_processor_mode 1
		.amdhsa_memory_ordered 1
		.amdhsa_forward_progress 0
		.amdhsa_shared_vgpr_count 0
		.amdhsa_exception_fp_ieee_invalid_op 0
		.amdhsa_exception_fp_denorm_src 0
		.amdhsa_exception_fp_ieee_div_zero 0
		.amdhsa_exception_fp_ieee_overflow 0
		.amdhsa_exception_fp_ieee_underflow 0
		.amdhsa_exception_fp_ieee_inexact 0
		.amdhsa_exception_int_div_zero 0
	.end_amdhsa_kernel
	.section	.text._ZN7rocprim17ROCPRIM_400000_NS6detail17trampoline_kernelINS0_14default_configENS1_29binary_search_config_selectorIxiEEZNS1_14transform_implILb0ES3_S5_N6thrust23THRUST_200600_302600_NS6detail15normal_iteratorINS8_10device_ptrIxEEEENSA_INSB_IiEEEEZNS1_13binary_searchIS3_S5_SD_SD_SF_NS1_16binary_search_opENS9_16wrapped_functionINS0_4lessIvEEbEEEE10hipError_tPvRmT1_T2_T3_mmT4_T5_P12ihipStream_tbEUlRKxE_EESM_SQ_SR_mSS_SV_bEUlT_E_NS1_11comp_targetILNS1_3genE5ELNS1_11target_archE942ELNS1_3gpuE9ELNS1_3repE0EEENS1_30default_config_static_selectorELNS0_4arch9wavefront6targetE0EEEvSP_,"axG",@progbits,_ZN7rocprim17ROCPRIM_400000_NS6detail17trampoline_kernelINS0_14default_configENS1_29binary_search_config_selectorIxiEEZNS1_14transform_implILb0ES3_S5_N6thrust23THRUST_200600_302600_NS6detail15normal_iteratorINS8_10device_ptrIxEEEENSA_INSB_IiEEEEZNS1_13binary_searchIS3_S5_SD_SD_SF_NS1_16binary_search_opENS9_16wrapped_functionINS0_4lessIvEEbEEEE10hipError_tPvRmT1_T2_T3_mmT4_T5_P12ihipStream_tbEUlRKxE_EESM_SQ_SR_mSS_SV_bEUlT_E_NS1_11comp_targetILNS1_3genE5ELNS1_11target_archE942ELNS1_3gpuE9ELNS1_3repE0EEENS1_30default_config_static_selectorELNS0_4arch9wavefront6targetE0EEEvSP_,comdat
.Lfunc_end502:
	.size	_ZN7rocprim17ROCPRIM_400000_NS6detail17trampoline_kernelINS0_14default_configENS1_29binary_search_config_selectorIxiEEZNS1_14transform_implILb0ES3_S5_N6thrust23THRUST_200600_302600_NS6detail15normal_iteratorINS8_10device_ptrIxEEEENSA_INSB_IiEEEEZNS1_13binary_searchIS3_S5_SD_SD_SF_NS1_16binary_search_opENS9_16wrapped_functionINS0_4lessIvEEbEEEE10hipError_tPvRmT1_T2_T3_mmT4_T5_P12ihipStream_tbEUlRKxE_EESM_SQ_SR_mSS_SV_bEUlT_E_NS1_11comp_targetILNS1_3genE5ELNS1_11target_archE942ELNS1_3gpuE9ELNS1_3repE0EEENS1_30default_config_static_selectorELNS0_4arch9wavefront6targetE0EEEvSP_, .Lfunc_end502-_ZN7rocprim17ROCPRIM_400000_NS6detail17trampoline_kernelINS0_14default_configENS1_29binary_search_config_selectorIxiEEZNS1_14transform_implILb0ES3_S5_N6thrust23THRUST_200600_302600_NS6detail15normal_iteratorINS8_10device_ptrIxEEEENSA_INSB_IiEEEEZNS1_13binary_searchIS3_S5_SD_SD_SF_NS1_16binary_search_opENS9_16wrapped_functionINS0_4lessIvEEbEEEE10hipError_tPvRmT1_T2_T3_mmT4_T5_P12ihipStream_tbEUlRKxE_EESM_SQ_SR_mSS_SV_bEUlT_E_NS1_11comp_targetILNS1_3genE5ELNS1_11target_archE942ELNS1_3gpuE9ELNS1_3repE0EEENS1_30default_config_static_selectorELNS0_4arch9wavefront6targetE0EEEvSP_
                                        ; -- End function
	.section	.AMDGPU.csdata,"",@progbits
; Kernel info:
; codeLenInByte = 0
; NumSgprs: 0
; NumVgprs: 0
; ScratchSize: 0
; MemoryBound: 0
; FloatMode: 240
; IeeeMode: 1
; LDSByteSize: 0 bytes/workgroup (compile time only)
; SGPRBlocks: 0
; VGPRBlocks: 0
; NumSGPRsForWavesPerEU: 1
; NumVGPRsForWavesPerEU: 1
; Occupancy: 16
; WaveLimiterHint : 0
; COMPUTE_PGM_RSRC2:SCRATCH_EN: 0
; COMPUTE_PGM_RSRC2:USER_SGPR: 15
; COMPUTE_PGM_RSRC2:TRAP_HANDLER: 0
; COMPUTE_PGM_RSRC2:TGID_X_EN: 1
; COMPUTE_PGM_RSRC2:TGID_Y_EN: 0
; COMPUTE_PGM_RSRC2:TGID_Z_EN: 0
; COMPUTE_PGM_RSRC2:TIDIG_COMP_CNT: 0
	.section	.text._ZN7rocprim17ROCPRIM_400000_NS6detail17trampoline_kernelINS0_14default_configENS1_29binary_search_config_selectorIxiEEZNS1_14transform_implILb0ES3_S5_N6thrust23THRUST_200600_302600_NS6detail15normal_iteratorINS8_10device_ptrIxEEEENSA_INSB_IiEEEEZNS1_13binary_searchIS3_S5_SD_SD_SF_NS1_16binary_search_opENS9_16wrapped_functionINS0_4lessIvEEbEEEE10hipError_tPvRmT1_T2_T3_mmT4_T5_P12ihipStream_tbEUlRKxE_EESM_SQ_SR_mSS_SV_bEUlT_E_NS1_11comp_targetILNS1_3genE4ELNS1_11target_archE910ELNS1_3gpuE8ELNS1_3repE0EEENS1_30default_config_static_selectorELNS0_4arch9wavefront6targetE0EEEvSP_,"axG",@progbits,_ZN7rocprim17ROCPRIM_400000_NS6detail17trampoline_kernelINS0_14default_configENS1_29binary_search_config_selectorIxiEEZNS1_14transform_implILb0ES3_S5_N6thrust23THRUST_200600_302600_NS6detail15normal_iteratorINS8_10device_ptrIxEEEENSA_INSB_IiEEEEZNS1_13binary_searchIS3_S5_SD_SD_SF_NS1_16binary_search_opENS9_16wrapped_functionINS0_4lessIvEEbEEEE10hipError_tPvRmT1_T2_T3_mmT4_T5_P12ihipStream_tbEUlRKxE_EESM_SQ_SR_mSS_SV_bEUlT_E_NS1_11comp_targetILNS1_3genE4ELNS1_11target_archE910ELNS1_3gpuE8ELNS1_3repE0EEENS1_30default_config_static_selectorELNS0_4arch9wavefront6targetE0EEEvSP_,comdat
	.protected	_ZN7rocprim17ROCPRIM_400000_NS6detail17trampoline_kernelINS0_14default_configENS1_29binary_search_config_selectorIxiEEZNS1_14transform_implILb0ES3_S5_N6thrust23THRUST_200600_302600_NS6detail15normal_iteratorINS8_10device_ptrIxEEEENSA_INSB_IiEEEEZNS1_13binary_searchIS3_S5_SD_SD_SF_NS1_16binary_search_opENS9_16wrapped_functionINS0_4lessIvEEbEEEE10hipError_tPvRmT1_T2_T3_mmT4_T5_P12ihipStream_tbEUlRKxE_EESM_SQ_SR_mSS_SV_bEUlT_E_NS1_11comp_targetILNS1_3genE4ELNS1_11target_archE910ELNS1_3gpuE8ELNS1_3repE0EEENS1_30default_config_static_selectorELNS0_4arch9wavefront6targetE0EEEvSP_ ; -- Begin function _ZN7rocprim17ROCPRIM_400000_NS6detail17trampoline_kernelINS0_14default_configENS1_29binary_search_config_selectorIxiEEZNS1_14transform_implILb0ES3_S5_N6thrust23THRUST_200600_302600_NS6detail15normal_iteratorINS8_10device_ptrIxEEEENSA_INSB_IiEEEEZNS1_13binary_searchIS3_S5_SD_SD_SF_NS1_16binary_search_opENS9_16wrapped_functionINS0_4lessIvEEbEEEE10hipError_tPvRmT1_T2_T3_mmT4_T5_P12ihipStream_tbEUlRKxE_EESM_SQ_SR_mSS_SV_bEUlT_E_NS1_11comp_targetILNS1_3genE4ELNS1_11target_archE910ELNS1_3gpuE8ELNS1_3repE0EEENS1_30default_config_static_selectorELNS0_4arch9wavefront6targetE0EEEvSP_
	.globl	_ZN7rocprim17ROCPRIM_400000_NS6detail17trampoline_kernelINS0_14default_configENS1_29binary_search_config_selectorIxiEEZNS1_14transform_implILb0ES3_S5_N6thrust23THRUST_200600_302600_NS6detail15normal_iteratorINS8_10device_ptrIxEEEENSA_INSB_IiEEEEZNS1_13binary_searchIS3_S5_SD_SD_SF_NS1_16binary_search_opENS9_16wrapped_functionINS0_4lessIvEEbEEEE10hipError_tPvRmT1_T2_T3_mmT4_T5_P12ihipStream_tbEUlRKxE_EESM_SQ_SR_mSS_SV_bEUlT_E_NS1_11comp_targetILNS1_3genE4ELNS1_11target_archE910ELNS1_3gpuE8ELNS1_3repE0EEENS1_30default_config_static_selectorELNS0_4arch9wavefront6targetE0EEEvSP_
	.p2align	8
	.type	_ZN7rocprim17ROCPRIM_400000_NS6detail17trampoline_kernelINS0_14default_configENS1_29binary_search_config_selectorIxiEEZNS1_14transform_implILb0ES3_S5_N6thrust23THRUST_200600_302600_NS6detail15normal_iteratorINS8_10device_ptrIxEEEENSA_INSB_IiEEEEZNS1_13binary_searchIS3_S5_SD_SD_SF_NS1_16binary_search_opENS9_16wrapped_functionINS0_4lessIvEEbEEEE10hipError_tPvRmT1_T2_T3_mmT4_T5_P12ihipStream_tbEUlRKxE_EESM_SQ_SR_mSS_SV_bEUlT_E_NS1_11comp_targetILNS1_3genE4ELNS1_11target_archE910ELNS1_3gpuE8ELNS1_3repE0EEENS1_30default_config_static_selectorELNS0_4arch9wavefront6targetE0EEEvSP_,@function
_ZN7rocprim17ROCPRIM_400000_NS6detail17trampoline_kernelINS0_14default_configENS1_29binary_search_config_selectorIxiEEZNS1_14transform_implILb0ES3_S5_N6thrust23THRUST_200600_302600_NS6detail15normal_iteratorINS8_10device_ptrIxEEEENSA_INSB_IiEEEEZNS1_13binary_searchIS3_S5_SD_SD_SF_NS1_16binary_search_opENS9_16wrapped_functionINS0_4lessIvEEbEEEE10hipError_tPvRmT1_T2_T3_mmT4_T5_P12ihipStream_tbEUlRKxE_EESM_SQ_SR_mSS_SV_bEUlT_E_NS1_11comp_targetILNS1_3genE4ELNS1_11target_archE910ELNS1_3gpuE8ELNS1_3repE0EEENS1_30default_config_static_selectorELNS0_4arch9wavefront6targetE0EEEvSP_: ; @_ZN7rocprim17ROCPRIM_400000_NS6detail17trampoline_kernelINS0_14default_configENS1_29binary_search_config_selectorIxiEEZNS1_14transform_implILb0ES3_S5_N6thrust23THRUST_200600_302600_NS6detail15normal_iteratorINS8_10device_ptrIxEEEENSA_INSB_IiEEEEZNS1_13binary_searchIS3_S5_SD_SD_SF_NS1_16binary_search_opENS9_16wrapped_functionINS0_4lessIvEEbEEEE10hipError_tPvRmT1_T2_T3_mmT4_T5_P12ihipStream_tbEUlRKxE_EESM_SQ_SR_mSS_SV_bEUlT_E_NS1_11comp_targetILNS1_3genE4ELNS1_11target_archE910ELNS1_3gpuE8ELNS1_3repE0EEENS1_30default_config_static_selectorELNS0_4arch9wavefront6targetE0EEEvSP_
; %bb.0:
	.section	.rodata,"a",@progbits
	.p2align	6, 0x0
	.amdhsa_kernel _ZN7rocprim17ROCPRIM_400000_NS6detail17trampoline_kernelINS0_14default_configENS1_29binary_search_config_selectorIxiEEZNS1_14transform_implILb0ES3_S5_N6thrust23THRUST_200600_302600_NS6detail15normal_iteratorINS8_10device_ptrIxEEEENSA_INSB_IiEEEEZNS1_13binary_searchIS3_S5_SD_SD_SF_NS1_16binary_search_opENS9_16wrapped_functionINS0_4lessIvEEbEEEE10hipError_tPvRmT1_T2_T3_mmT4_T5_P12ihipStream_tbEUlRKxE_EESM_SQ_SR_mSS_SV_bEUlT_E_NS1_11comp_targetILNS1_3genE4ELNS1_11target_archE910ELNS1_3gpuE8ELNS1_3repE0EEENS1_30default_config_static_selectorELNS0_4arch9wavefront6targetE0EEEvSP_
		.amdhsa_group_segment_fixed_size 0
		.amdhsa_private_segment_fixed_size 0
		.amdhsa_kernarg_size 56
		.amdhsa_user_sgpr_count 15
		.amdhsa_user_sgpr_dispatch_ptr 0
		.amdhsa_user_sgpr_queue_ptr 0
		.amdhsa_user_sgpr_kernarg_segment_ptr 1
		.amdhsa_user_sgpr_dispatch_id 0
		.amdhsa_user_sgpr_private_segment_size 0
		.amdhsa_wavefront_size32 1
		.amdhsa_uses_dynamic_stack 0
		.amdhsa_enable_private_segment 0
		.amdhsa_system_sgpr_workgroup_id_x 1
		.amdhsa_system_sgpr_workgroup_id_y 0
		.amdhsa_system_sgpr_workgroup_id_z 0
		.amdhsa_system_sgpr_workgroup_info 0
		.amdhsa_system_vgpr_workitem_id 0
		.amdhsa_next_free_vgpr 1
		.amdhsa_next_free_sgpr 1
		.amdhsa_reserve_vcc 0
		.amdhsa_float_round_mode_32 0
		.amdhsa_float_round_mode_16_64 0
		.amdhsa_float_denorm_mode_32 3
		.amdhsa_float_denorm_mode_16_64 3
		.amdhsa_dx10_clamp 1
		.amdhsa_ieee_mode 1
		.amdhsa_fp16_overflow 0
		.amdhsa_workgroup_processor_mode 1
		.amdhsa_memory_ordered 1
		.amdhsa_forward_progress 0
		.amdhsa_shared_vgpr_count 0
		.amdhsa_exception_fp_ieee_invalid_op 0
		.amdhsa_exception_fp_denorm_src 0
		.amdhsa_exception_fp_ieee_div_zero 0
		.amdhsa_exception_fp_ieee_overflow 0
		.amdhsa_exception_fp_ieee_underflow 0
		.amdhsa_exception_fp_ieee_inexact 0
		.amdhsa_exception_int_div_zero 0
	.end_amdhsa_kernel
	.section	.text._ZN7rocprim17ROCPRIM_400000_NS6detail17trampoline_kernelINS0_14default_configENS1_29binary_search_config_selectorIxiEEZNS1_14transform_implILb0ES3_S5_N6thrust23THRUST_200600_302600_NS6detail15normal_iteratorINS8_10device_ptrIxEEEENSA_INSB_IiEEEEZNS1_13binary_searchIS3_S5_SD_SD_SF_NS1_16binary_search_opENS9_16wrapped_functionINS0_4lessIvEEbEEEE10hipError_tPvRmT1_T2_T3_mmT4_T5_P12ihipStream_tbEUlRKxE_EESM_SQ_SR_mSS_SV_bEUlT_E_NS1_11comp_targetILNS1_3genE4ELNS1_11target_archE910ELNS1_3gpuE8ELNS1_3repE0EEENS1_30default_config_static_selectorELNS0_4arch9wavefront6targetE0EEEvSP_,"axG",@progbits,_ZN7rocprim17ROCPRIM_400000_NS6detail17trampoline_kernelINS0_14default_configENS1_29binary_search_config_selectorIxiEEZNS1_14transform_implILb0ES3_S5_N6thrust23THRUST_200600_302600_NS6detail15normal_iteratorINS8_10device_ptrIxEEEENSA_INSB_IiEEEEZNS1_13binary_searchIS3_S5_SD_SD_SF_NS1_16binary_search_opENS9_16wrapped_functionINS0_4lessIvEEbEEEE10hipError_tPvRmT1_T2_T3_mmT4_T5_P12ihipStream_tbEUlRKxE_EESM_SQ_SR_mSS_SV_bEUlT_E_NS1_11comp_targetILNS1_3genE4ELNS1_11target_archE910ELNS1_3gpuE8ELNS1_3repE0EEENS1_30default_config_static_selectorELNS0_4arch9wavefront6targetE0EEEvSP_,comdat
.Lfunc_end503:
	.size	_ZN7rocprim17ROCPRIM_400000_NS6detail17trampoline_kernelINS0_14default_configENS1_29binary_search_config_selectorIxiEEZNS1_14transform_implILb0ES3_S5_N6thrust23THRUST_200600_302600_NS6detail15normal_iteratorINS8_10device_ptrIxEEEENSA_INSB_IiEEEEZNS1_13binary_searchIS3_S5_SD_SD_SF_NS1_16binary_search_opENS9_16wrapped_functionINS0_4lessIvEEbEEEE10hipError_tPvRmT1_T2_T3_mmT4_T5_P12ihipStream_tbEUlRKxE_EESM_SQ_SR_mSS_SV_bEUlT_E_NS1_11comp_targetILNS1_3genE4ELNS1_11target_archE910ELNS1_3gpuE8ELNS1_3repE0EEENS1_30default_config_static_selectorELNS0_4arch9wavefront6targetE0EEEvSP_, .Lfunc_end503-_ZN7rocprim17ROCPRIM_400000_NS6detail17trampoline_kernelINS0_14default_configENS1_29binary_search_config_selectorIxiEEZNS1_14transform_implILb0ES3_S5_N6thrust23THRUST_200600_302600_NS6detail15normal_iteratorINS8_10device_ptrIxEEEENSA_INSB_IiEEEEZNS1_13binary_searchIS3_S5_SD_SD_SF_NS1_16binary_search_opENS9_16wrapped_functionINS0_4lessIvEEbEEEE10hipError_tPvRmT1_T2_T3_mmT4_T5_P12ihipStream_tbEUlRKxE_EESM_SQ_SR_mSS_SV_bEUlT_E_NS1_11comp_targetILNS1_3genE4ELNS1_11target_archE910ELNS1_3gpuE8ELNS1_3repE0EEENS1_30default_config_static_selectorELNS0_4arch9wavefront6targetE0EEEvSP_
                                        ; -- End function
	.section	.AMDGPU.csdata,"",@progbits
; Kernel info:
; codeLenInByte = 0
; NumSgprs: 0
; NumVgprs: 0
; ScratchSize: 0
; MemoryBound: 0
; FloatMode: 240
; IeeeMode: 1
; LDSByteSize: 0 bytes/workgroup (compile time only)
; SGPRBlocks: 0
; VGPRBlocks: 0
; NumSGPRsForWavesPerEU: 1
; NumVGPRsForWavesPerEU: 1
; Occupancy: 16
; WaveLimiterHint : 0
; COMPUTE_PGM_RSRC2:SCRATCH_EN: 0
; COMPUTE_PGM_RSRC2:USER_SGPR: 15
; COMPUTE_PGM_RSRC2:TRAP_HANDLER: 0
; COMPUTE_PGM_RSRC2:TGID_X_EN: 1
; COMPUTE_PGM_RSRC2:TGID_Y_EN: 0
; COMPUTE_PGM_RSRC2:TGID_Z_EN: 0
; COMPUTE_PGM_RSRC2:TIDIG_COMP_CNT: 0
	.section	.text._ZN7rocprim17ROCPRIM_400000_NS6detail17trampoline_kernelINS0_14default_configENS1_29binary_search_config_selectorIxiEEZNS1_14transform_implILb0ES3_S5_N6thrust23THRUST_200600_302600_NS6detail15normal_iteratorINS8_10device_ptrIxEEEENSA_INSB_IiEEEEZNS1_13binary_searchIS3_S5_SD_SD_SF_NS1_16binary_search_opENS9_16wrapped_functionINS0_4lessIvEEbEEEE10hipError_tPvRmT1_T2_T3_mmT4_T5_P12ihipStream_tbEUlRKxE_EESM_SQ_SR_mSS_SV_bEUlT_E_NS1_11comp_targetILNS1_3genE3ELNS1_11target_archE908ELNS1_3gpuE7ELNS1_3repE0EEENS1_30default_config_static_selectorELNS0_4arch9wavefront6targetE0EEEvSP_,"axG",@progbits,_ZN7rocprim17ROCPRIM_400000_NS6detail17trampoline_kernelINS0_14default_configENS1_29binary_search_config_selectorIxiEEZNS1_14transform_implILb0ES3_S5_N6thrust23THRUST_200600_302600_NS6detail15normal_iteratorINS8_10device_ptrIxEEEENSA_INSB_IiEEEEZNS1_13binary_searchIS3_S5_SD_SD_SF_NS1_16binary_search_opENS9_16wrapped_functionINS0_4lessIvEEbEEEE10hipError_tPvRmT1_T2_T3_mmT4_T5_P12ihipStream_tbEUlRKxE_EESM_SQ_SR_mSS_SV_bEUlT_E_NS1_11comp_targetILNS1_3genE3ELNS1_11target_archE908ELNS1_3gpuE7ELNS1_3repE0EEENS1_30default_config_static_selectorELNS0_4arch9wavefront6targetE0EEEvSP_,comdat
	.protected	_ZN7rocprim17ROCPRIM_400000_NS6detail17trampoline_kernelINS0_14default_configENS1_29binary_search_config_selectorIxiEEZNS1_14transform_implILb0ES3_S5_N6thrust23THRUST_200600_302600_NS6detail15normal_iteratorINS8_10device_ptrIxEEEENSA_INSB_IiEEEEZNS1_13binary_searchIS3_S5_SD_SD_SF_NS1_16binary_search_opENS9_16wrapped_functionINS0_4lessIvEEbEEEE10hipError_tPvRmT1_T2_T3_mmT4_T5_P12ihipStream_tbEUlRKxE_EESM_SQ_SR_mSS_SV_bEUlT_E_NS1_11comp_targetILNS1_3genE3ELNS1_11target_archE908ELNS1_3gpuE7ELNS1_3repE0EEENS1_30default_config_static_selectorELNS0_4arch9wavefront6targetE0EEEvSP_ ; -- Begin function _ZN7rocprim17ROCPRIM_400000_NS6detail17trampoline_kernelINS0_14default_configENS1_29binary_search_config_selectorIxiEEZNS1_14transform_implILb0ES3_S5_N6thrust23THRUST_200600_302600_NS6detail15normal_iteratorINS8_10device_ptrIxEEEENSA_INSB_IiEEEEZNS1_13binary_searchIS3_S5_SD_SD_SF_NS1_16binary_search_opENS9_16wrapped_functionINS0_4lessIvEEbEEEE10hipError_tPvRmT1_T2_T3_mmT4_T5_P12ihipStream_tbEUlRKxE_EESM_SQ_SR_mSS_SV_bEUlT_E_NS1_11comp_targetILNS1_3genE3ELNS1_11target_archE908ELNS1_3gpuE7ELNS1_3repE0EEENS1_30default_config_static_selectorELNS0_4arch9wavefront6targetE0EEEvSP_
	.globl	_ZN7rocprim17ROCPRIM_400000_NS6detail17trampoline_kernelINS0_14default_configENS1_29binary_search_config_selectorIxiEEZNS1_14transform_implILb0ES3_S5_N6thrust23THRUST_200600_302600_NS6detail15normal_iteratorINS8_10device_ptrIxEEEENSA_INSB_IiEEEEZNS1_13binary_searchIS3_S5_SD_SD_SF_NS1_16binary_search_opENS9_16wrapped_functionINS0_4lessIvEEbEEEE10hipError_tPvRmT1_T2_T3_mmT4_T5_P12ihipStream_tbEUlRKxE_EESM_SQ_SR_mSS_SV_bEUlT_E_NS1_11comp_targetILNS1_3genE3ELNS1_11target_archE908ELNS1_3gpuE7ELNS1_3repE0EEENS1_30default_config_static_selectorELNS0_4arch9wavefront6targetE0EEEvSP_
	.p2align	8
	.type	_ZN7rocprim17ROCPRIM_400000_NS6detail17trampoline_kernelINS0_14default_configENS1_29binary_search_config_selectorIxiEEZNS1_14transform_implILb0ES3_S5_N6thrust23THRUST_200600_302600_NS6detail15normal_iteratorINS8_10device_ptrIxEEEENSA_INSB_IiEEEEZNS1_13binary_searchIS3_S5_SD_SD_SF_NS1_16binary_search_opENS9_16wrapped_functionINS0_4lessIvEEbEEEE10hipError_tPvRmT1_T2_T3_mmT4_T5_P12ihipStream_tbEUlRKxE_EESM_SQ_SR_mSS_SV_bEUlT_E_NS1_11comp_targetILNS1_3genE3ELNS1_11target_archE908ELNS1_3gpuE7ELNS1_3repE0EEENS1_30default_config_static_selectorELNS0_4arch9wavefront6targetE0EEEvSP_,@function
_ZN7rocprim17ROCPRIM_400000_NS6detail17trampoline_kernelINS0_14default_configENS1_29binary_search_config_selectorIxiEEZNS1_14transform_implILb0ES3_S5_N6thrust23THRUST_200600_302600_NS6detail15normal_iteratorINS8_10device_ptrIxEEEENSA_INSB_IiEEEEZNS1_13binary_searchIS3_S5_SD_SD_SF_NS1_16binary_search_opENS9_16wrapped_functionINS0_4lessIvEEbEEEE10hipError_tPvRmT1_T2_T3_mmT4_T5_P12ihipStream_tbEUlRKxE_EESM_SQ_SR_mSS_SV_bEUlT_E_NS1_11comp_targetILNS1_3genE3ELNS1_11target_archE908ELNS1_3gpuE7ELNS1_3repE0EEENS1_30default_config_static_selectorELNS0_4arch9wavefront6targetE0EEEvSP_: ; @_ZN7rocprim17ROCPRIM_400000_NS6detail17trampoline_kernelINS0_14default_configENS1_29binary_search_config_selectorIxiEEZNS1_14transform_implILb0ES3_S5_N6thrust23THRUST_200600_302600_NS6detail15normal_iteratorINS8_10device_ptrIxEEEENSA_INSB_IiEEEEZNS1_13binary_searchIS3_S5_SD_SD_SF_NS1_16binary_search_opENS9_16wrapped_functionINS0_4lessIvEEbEEEE10hipError_tPvRmT1_T2_T3_mmT4_T5_P12ihipStream_tbEUlRKxE_EESM_SQ_SR_mSS_SV_bEUlT_E_NS1_11comp_targetILNS1_3genE3ELNS1_11target_archE908ELNS1_3gpuE7ELNS1_3repE0EEENS1_30default_config_static_selectorELNS0_4arch9wavefront6targetE0EEEvSP_
; %bb.0:
	.section	.rodata,"a",@progbits
	.p2align	6, 0x0
	.amdhsa_kernel _ZN7rocprim17ROCPRIM_400000_NS6detail17trampoline_kernelINS0_14default_configENS1_29binary_search_config_selectorIxiEEZNS1_14transform_implILb0ES3_S5_N6thrust23THRUST_200600_302600_NS6detail15normal_iteratorINS8_10device_ptrIxEEEENSA_INSB_IiEEEEZNS1_13binary_searchIS3_S5_SD_SD_SF_NS1_16binary_search_opENS9_16wrapped_functionINS0_4lessIvEEbEEEE10hipError_tPvRmT1_T2_T3_mmT4_T5_P12ihipStream_tbEUlRKxE_EESM_SQ_SR_mSS_SV_bEUlT_E_NS1_11comp_targetILNS1_3genE3ELNS1_11target_archE908ELNS1_3gpuE7ELNS1_3repE0EEENS1_30default_config_static_selectorELNS0_4arch9wavefront6targetE0EEEvSP_
		.amdhsa_group_segment_fixed_size 0
		.amdhsa_private_segment_fixed_size 0
		.amdhsa_kernarg_size 56
		.amdhsa_user_sgpr_count 15
		.amdhsa_user_sgpr_dispatch_ptr 0
		.amdhsa_user_sgpr_queue_ptr 0
		.amdhsa_user_sgpr_kernarg_segment_ptr 1
		.amdhsa_user_sgpr_dispatch_id 0
		.amdhsa_user_sgpr_private_segment_size 0
		.amdhsa_wavefront_size32 1
		.amdhsa_uses_dynamic_stack 0
		.amdhsa_enable_private_segment 0
		.amdhsa_system_sgpr_workgroup_id_x 1
		.amdhsa_system_sgpr_workgroup_id_y 0
		.amdhsa_system_sgpr_workgroup_id_z 0
		.amdhsa_system_sgpr_workgroup_info 0
		.amdhsa_system_vgpr_workitem_id 0
		.amdhsa_next_free_vgpr 1
		.amdhsa_next_free_sgpr 1
		.amdhsa_reserve_vcc 0
		.amdhsa_float_round_mode_32 0
		.amdhsa_float_round_mode_16_64 0
		.amdhsa_float_denorm_mode_32 3
		.amdhsa_float_denorm_mode_16_64 3
		.amdhsa_dx10_clamp 1
		.amdhsa_ieee_mode 1
		.amdhsa_fp16_overflow 0
		.amdhsa_workgroup_processor_mode 1
		.amdhsa_memory_ordered 1
		.amdhsa_forward_progress 0
		.amdhsa_shared_vgpr_count 0
		.amdhsa_exception_fp_ieee_invalid_op 0
		.amdhsa_exception_fp_denorm_src 0
		.amdhsa_exception_fp_ieee_div_zero 0
		.amdhsa_exception_fp_ieee_overflow 0
		.amdhsa_exception_fp_ieee_underflow 0
		.amdhsa_exception_fp_ieee_inexact 0
		.amdhsa_exception_int_div_zero 0
	.end_amdhsa_kernel
	.section	.text._ZN7rocprim17ROCPRIM_400000_NS6detail17trampoline_kernelINS0_14default_configENS1_29binary_search_config_selectorIxiEEZNS1_14transform_implILb0ES3_S5_N6thrust23THRUST_200600_302600_NS6detail15normal_iteratorINS8_10device_ptrIxEEEENSA_INSB_IiEEEEZNS1_13binary_searchIS3_S5_SD_SD_SF_NS1_16binary_search_opENS9_16wrapped_functionINS0_4lessIvEEbEEEE10hipError_tPvRmT1_T2_T3_mmT4_T5_P12ihipStream_tbEUlRKxE_EESM_SQ_SR_mSS_SV_bEUlT_E_NS1_11comp_targetILNS1_3genE3ELNS1_11target_archE908ELNS1_3gpuE7ELNS1_3repE0EEENS1_30default_config_static_selectorELNS0_4arch9wavefront6targetE0EEEvSP_,"axG",@progbits,_ZN7rocprim17ROCPRIM_400000_NS6detail17trampoline_kernelINS0_14default_configENS1_29binary_search_config_selectorIxiEEZNS1_14transform_implILb0ES3_S5_N6thrust23THRUST_200600_302600_NS6detail15normal_iteratorINS8_10device_ptrIxEEEENSA_INSB_IiEEEEZNS1_13binary_searchIS3_S5_SD_SD_SF_NS1_16binary_search_opENS9_16wrapped_functionINS0_4lessIvEEbEEEE10hipError_tPvRmT1_T2_T3_mmT4_T5_P12ihipStream_tbEUlRKxE_EESM_SQ_SR_mSS_SV_bEUlT_E_NS1_11comp_targetILNS1_3genE3ELNS1_11target_archE908ELNS1_3gpuE7ELNS1_3repE0EEENS1_30default_config_static_selectorELNS0_4arch9wavefront6targetE0EEEvSP_,comdat
.Lfunc_end504:
	.size	_ZN7rocprim17ROCPRIM_400000_NS6detail17trampoline_kernelINS0_14default_configENS1_29binary_search_config_selectorIxiEEZNS1_14transform_implILb0ES3_S5_N6thrust23THRUST_200600_302600_NS6detail15normal_iteratorINS8_10device_ptrIxEEEENSA_INSB_IiEEEEZNS1_13binary_searchIS3_S5_SD_SD_SF_NS1_16binary_search_opENS9_16wrapped_functionINS0_4lessIvEEbEEEE10hipError_tPvRmT1_T2_T3_mmT4_T5_P12ihipStream_tbEUlRKxE_EESM_SQ_SR_mSS_SV_bEUlT_E_NS1_11comp_targetILNS1_3genE3ELNS1_11target_archE908ELNS1_3gpuE7ELNS1_3repE0EEENS1_30default_config_static_selectorELNS0_4arch9wavefront6targetE0EEEvSP_, .Lfunc_end504-_ZN7rocprim17ROCPRIM_400000_NS6detail17trampoline_kernelINS0_14default_configENS1_29binary_search_config_selectorIxiEEZNS1_14transform_implILb0ES3_S5_N6thrust23THRUST_200600_302600_NS6detail15normal_iteratorINS8_10device_ptrIxEEEENSA_INSB_IiEEEEZNS1_13binary_searchIS3_S5_SD_SD_SF_NS1_16binary_search_opENS9_16wrapped_functionINS0_4lessIvEEbEEEE10hipError_tPvRmT1_T2_T3_mmT4_T5_P12ihipStream_tbEUlRKxE_EESM_SQ_SR_mSS_SV_bEUlT_E_NS1_11comp_targetILNS1_3genE3ELNS1_11target_archE908ELNS1_3gpuE7ELNS1_3repE0EEENS1_30default_config_static_selectorELNS0_4arch9wavefront6targetE0EEEvSP_
                                        ; -- End function
	.section	.AMDGPU.csdata,"",@progbits
; Kernel info:
; codeLenInByte = 0
; NumSgprs: 0
; NumVgprs: 0
; ScratchSize: 0
; MemoryBound: 0
; FloatMode: 240
; IeeeMode: 1
; LDSByteSize: 0 bytes/workgroup (compile time only)
; SGPRBlocks: 0
; VGPRBlocks: 0
; NumSGPRsForWavesPerEU: 1
; NumVGPRsForWavesPerEU: 1
; Occupancy: 16
; WaveLimiterHint : 0
; COMPUTE_PGM_RSRC2:SCRATCH_EN: 0
; COMPUTE_PGM_RSRC2:USER_SGPR: 15
; COMPUTE_PGM_RSRC2:TRAP_HANDLER: 0
; COMPUTE_PGM_RSRC2:TGID_X_EN: 1
; COMPUTE_PGM_RSRC2:TGID_Y_EN: 0
; COMPUTE_PGM_RSRC2:TGID_Z_EN: 0
; COMPUTE_PGM_RSRC2:TIDIG_COMP_CNT: 0
	.section	.text._ZN7rocprim17ROCPRIM_400000_NS6detail17trampoline_kernelINS0_14default_configENS1_29binary_search_config_selectorIxiEEZNS1_14transform_implILb0ES3_S5_N6thrust23THRUST_200600_302600_NS6detail15normal_iteratorINS8_10device_ptrIxEEEENSA_INSB_IiEEEEZNS1_13binary_searchIS3_S5_SD_SD_SF_NS1_16binary_search_opENS9_16wrapped_functionINS0_4lessIvEEbEEEE10hipError_tPvRmT1_T2_T3_mmT4_T5_P12ihipStream_tbEUlRKxE_EESM_SQ_SR_mSS_SV_bEUlT_E_NS1_11comp_targetILNS1_3genE2ELNS1_11target_archE906ELNS1_3gpuE6ELNS1_3repE0EEENS1_30default_config_static_selectorELNS0_4arch9wavefront6targetE0EEEvSP_,"axG",@progbits,_ZN7rocprim17ROCPRIM_400000_NS6detail17trampoline_kernelINS0_14default_configENS1_29binary_search_config_selectorIxiEEZNS1_14transform_implILb0ES3_S5_N6thrust23THRUST_200600_302600_NS6detail15normal_iteratorINS8_10device_ptrIxEEEENSA_INSB_IiEEEEZNS1_13binary_searchIS3_S5_SD_SD_SF_NS1_16binary_search_opENS9_16wrapped_functionINS0_4lessIvEEbEEEE10hipError_tPvRmT1_T2_T3_mmT4_T5_P12ihipStream_tbEUlRKxE_EESM_SQ_SR_mSS_SV_bEUlT_E_NS1_11comp_targetILNS1_3genE2ELNS1_11target_archE906ELNS1_3gpuE6ELNS1_3repE0EEENS1_30default_config_static_selectorELNS0_4arch9wavefront6targetE0EEEvSP_,comdat
	.protected	_ZN7rocprim17ROCPRIM_400000_NS6detail17trampoline_kernelINS0_14default_configENS1_29binary_search_config_selectorIxiEEZNS1_14transform_implILb0ES3_S5_N6thrust23THRUST_200600_302600_NS6detail15normal_iteratorINS8_10device_ptrIxEEEENSA_INSB_IiEEEEZNS1_13binary_searchIS3_S5_SD_SD_SF_NS1_16binary_search_opENS9_16wrapped_functionINS0_4lessIvEEbEEEE10hipError_tPvRmT1_T2_T3_mmT4_T5_P12ihipStream_tbEUlRKxE_EESM_SQ_SR_mSS_SV_bEUlT_E_NS1_11comp_targetILNS1_3genE2ELNS1_11target_archE906ELNS1_3gpuE6ELNS1_3repE0EEENS1_30default_config_static_selectorELNS0_4arch9wavefront6targetE0EEEvSP_ ; -- Begin function _ZN7rocprim17ROCPRIM_400000_NS6detail17trampoline_kernelINS0_14default_configENS1_29binary_search_config_selectorIxiEEZNS1_14transform_implILb0ES3_S5_N6thrust23THRUST_200600_302600_NS6detail15normal_iteratorINS8_10device_ptrIxEEEENSA_INSB_IiEEEEZNS1_13binary_searchIS3_S5_SD_SD_SF_NS1_16binary_search_opENS9_16wrapped_functionINS0_4lessIvEEbEEEE10hipError_tPvRmT1_T2_T3_mmT4_T5_P12ihipStream_tbEUlRKxE_EESM_SQ_SR_mSS_SV_bEUlT_E_NS1_11comp_targetILNS1_3genE2ELNS1_11target_archE906ELNS1_3gpuE6ELNS1_3repE0EEENS1_30default_config_static_selectorELNS0_4arch9wavefront6targetE0EEEvSP_
	.globl	_ZN7rocprim17ROCPRIM_400000_NS6detail17trampoline_kernelINS0_14default_configENS1_29binary_search_config_selectorIxiEEZNS1_14transform_implILb0ES3_S5_N6thrust23THRUST_200600_302600_NS6detail15normal_iteratorINS8_10device_ptrIxEEEENSA_INSB_IiEEEEZNS1_13binary_searchIS3_S5_SD_SD_SF_NS1_16binary_search_opENS9_16wrapped_functionINS0_4lessIvEEbEEEE10hipError_tPvRmT1_T2_T3_mmT4_T5_P12ihipStream_tbEUlRKxE_EESM_SQ_SR_mSS_SV_bEUlT_E_NS1_11comp_targetILNS1_3genE2ELNS1_11target_archE906ELNS1_3gpuE6ELNS1_3repE0EEENS1_30default_config_static_selectorELNS0_4arch9wavefront6targetE0EEEvSP_
	.p2align	8
	.type	_ZN7rocprim17ROCPRIM_400000_NS6detail17trampoline_kernelINS0_14default_configENS1_29binary_search_config_selectorIxiEEZNS1_14transform_implILb0ES3_S5_N6thrust23THRUST_200600_302600_NS6detail15normal_iteratorINS8_10device_ptrIxEEEENSA_INSB_IiEEEEZNS1_13binary_searchIS3_S5_SD_SD_SF_NS1_16binary_search_opENS9_16wrapped_functionINS0_4lessIvEEbEEEE10hipError_tPvRmT1_T2_T3_mmT4_T5_P12ihipStream_tbEUlRKxE_EESM_SQ_SR_mSS_SV_bEUlT_E_NS1_11comp_targetILNS1_3genE2ELNS1_11target_archE906ELNS1_3gpuE6ELNS1_3repE0EEENS1_30default_config_static_selectorELNS0_4arch9wavefront6targetE0EEEvSP_,@function
_ZN7rocprim17ROCPRIM_400000_NS6detail17trampoline_kernelINS0_14default_configENS1_29binary_search_config_selectorIxiEEZNS1_14transform_implILb0ES3_S5_N6thrust23THRUST_200600_302600_NS6detail15normal_iteratorINS8_10device_ptrIxEEEENSA_INSB_IiEEEEZNS1_13binary_searchIS3_S5_SD_SD_SF_NS1_16binary_search_opENS9_16wrapped_functionINS0_4lessIvEEbEEEE10hipError_tPvRmT1_T2_T3_mmT4_T5_P12ihipStream_tbEUlRKxE_EESM_SQ_SR_mSS_SV_bEUlT_E_NS1_11comp_targetILNS1_3genE2ELNS1_11target_archE906ELNS1_3gpuE6ELNS1_3repE0EEENS1_30default_config_static_selectorELNS0_4arch9wavefront6targetE0EEEvSP_: ; @_ZN7rocprim17ROCPRIM_400000_NS6detail17trampoline_kernelINS0_14default_configENS1_29binary_search_config_selectorIxiEEZNS1_14transform_implILb0ES3_S5_N6thrust23THRUST_200600_302600_NS6detail15normal_iteratorINS8_10device_ptrIxEEEENSA_INSB_IiEEEEZNS1_13binary_searchIS3_S5_SD_SD_SF_NS1_16binary_search_opENS9_16wrapped_functionINS0_4lessIvEEbEEEE10hipError_tPvRmT1_T2_T3_mmT4_T5_P12ihipStream_tbEUlRKxE_EESM_SQ_SR_mSS_SV_bEUlT_E_NS1_11comp_targetILNS1_3genE2ELNS1_11target_archE906ELNS1_3gpuE6ELNS1_3repE0EEENS1_30default_config_static_selectorELNS0_4arch9wavefront6targetE0EEEvSP_
; %bb.0:
	.section	.rodata,"a",@progbits
	.p2align	6, 0x0
	.amdhsa_kernel _ZN7rocprim17ROCPRIM_400000_NS6detail17trampoline_kernelINS0_14default_configENS1_29binary_search_config_selectorIxiEEZNS1_14transform_implILb0ES3_S5_N6thrust23THRUST_200600_302600_NS6detail15normal_iteratorINS8_10device_ptrIxEEEENSA_INSB_IiEEEEZNS1_13binary_searchIS3_S5_SD_SD_SF_NS1_16binary_search_opENS9_16wrapped_functionINS0_4lessIvEEbEEEE10hipError_tPvRmT1_T2_T3_mmT4_T5_P12ihipStream_tbEUlRKxE_EESM_SQ_SR_mSS_SV_bEUlT_E_NS1_11comp_targetILNS1_3genE2ELNS1_11target_archE906ELNS1_3gpuE6ELNS1_3repE0EEENS1_30default_config_static_selectorELNS0_4arch9wavefront6targetE0EEEvSP_
		.amdhsa_group_segment_fixed_size 0
		.amdhsa_private_segment_fixed_size 0
		.amdhsa_kernarg_size 56
		.amdhsa_user_sgpr_count 15
		.amdhsa_user_sgpr_dispatch_ptr 0
		.amdhsa_user_sgpr_queue_ptr 0
		.amdhsa_user_sgpr_kernarg_segment_ptr 1
		.amdhsa_user_sgpr_dispatch_id 0
		.amdhsa_user_sgpr_private_segment_size 0
		.amdhsa_wavefront_size32 1
		.amdhsa_uses_dynamic_stack 0
		.amdhsa_enable_private_segment 0
		.amdhsa_system_sgpr_workgroup_id_x 1
		.amdhsa_system_sgpr_workgroup_id_y 0
		.amdhsa_system_sgpr_workgroup_id_z 0
		.amdhsa_system_sgpr_workgroup_info 0
		.amdhsa_system_vgpr_workitem_id 0
		.amdhsa_next_free_vgpr 1
		.amdhsa_next_free_sgpr 1
		.amdhsa_reserve_vcc 0
		.amdhsa_float_round_mode_32 0
		.amdhsa_float_round_mode_16_64 0
		.amdhsa_float_denorm_mode_32 3
		.amdhsa_float_denorm_mode_16_64 3
		.amdhsa_dx10_clamp 1
		.amdhsa_ieee_mode 1
		.amdhsa_fp16_overflow 0
		.amdhsa_workgroup_processor_mode 1
		.amdhsa_memory_ordered 1
		.amdhsa_forward_progress 0
		.amdhsa_shared_vgpr_count 0
		.amdhsa_exception_fp_ieee_invalid_op 0
		.amdhsa_exception_fp_denorm_src 0
		.amdhsa_exception_fp_ieee_div_zero 0
		.amdhsa_exception_fp_ieee_overflow 0
		.amdhsa_exception_fp_ieee_underflow 0
		.amdhsa_exception_fp_ieee_inexact 0
		.amdhsa_exception_int_div_zero 0
	.end_amdhsa_kernel
	.section	.text._ZN7rocprim17ROCPRIM_400000_NS6detail17trampoline_kernelINS0_14default_configENS1_29binary_search_config_selectorIxiEEZNS1_14transform_implILb0ES3_S5_N6thrust23THRUST_200600_302600_NS6detail15normal_iteratorINS8_10device_ptrIxEEEENSA_INSB_IiEEEEZNS1_13binary_searchIS3_S5_SD_SD_SF_NS1_16binary_search_opENS9_16wrapped_functionINS0_4lessIvEEbEEEE10hipError_tPvRmT1_T2_T3_mmT4_T5_P12ihipStream_tbEUlRKxE_EESM_SQ_SR_mSS_SV_bEUlT_E_NS1_11comp_targetILNS1_3genE2ELNS1_11target_archE906ELNS1_3gpuE6ELNS1_3repE0EEENS1_30default_config_static_selectorELNS0_4arch9wavefront6targetE0EEEvSP_,"axG",@progbits,_ZN7rocprim17ROCPRIM_400000_NS6detail17trampoline_kernelINS0_14default_configENS1_29binary_search_config_selectorIxiEEZNS1_14transform_implILb0ES3_S5_N6thrust23THRUST_200600_302600_NS6detail15normal_iteratorINS8_10device_ptrIxEEEENSA_INSB_IiEEEEZNS1_13binary_searchIS3_S5_SD_SD_SF_NS1_16binary_search_opENS9_16wrapped_functionINS0_4lessIvEEbEEEE10hipError_tPvRmT1_T2_T3_mmT4_T5_P12ihipStream_tbEUlRKxE_EESM_SQ_SR_mSS_SV_bEUlT_E_NS1_11comp_targetILNS1_3genE2ELNS1_11target_archE906ELNS1_3gpuE6ELNS1_3repE0EEENS1_30default_config_static_selectorELNS0_4arch9wavefront6targetE0EEEvSP_,comdat
.Lfunc_end505:
	.size	_ZN7rocprim17ROCPRIM_400000_NS6detail17trampoline_kernelINS0_14default_configENS1_29binary_search_config_selectorIxiEEZNS1_14transform_implILb0ES3_S5_N6thrust23THRUST_200600_302600_NS6detail15normal_iteratorINS8_10device_ptrIxEEEENSA_INSB_IiEEEEZNS1_13binary_searchIS3_S5_SD_SD_SF_NS1_16binary_search_opENS9_16wrapped_functionINS0_4lessIvEEbEEEE10hipError_tPvRmT1_T2_T3_mmT4_T5_P12ihipStream_tbEUlRKxE_EESM_SQ_SR_mSS_SV_bEUlT_E_NS1_11comp_targetILNS1_3genE2ELNS1_11target_archE906ELNS1_3gpuE6ELNS1_3repE0EEENS1_30default_config_static_selectorELNS0_4arch9wavefront6targetE0EEEvSP_, .Lfunc_end505-_ZN7rocprim17ROCPRIM_400000_NS6detail17trampoline_kernelINS0_14default_configENS1_29binary_search_config_selectorIxiEEZNS1_14transform_implILb0ES3_S5_N6thrust23THRUST_200600_302600_NS6detail15normal_iteratorINS8_10device_ptrIxEEEENSA_INSB_IiEEEEZNS1_13binary_searchIS3_S5_SD_SD_SF_NS1_16binary_search_opENS9_16wrapped_functionINS0_4lessIvEEbEEEE10hipError_tPvRmT1_T2_T3_mmT4_T5_P12ihipStream_tbEUlRKxE_EESM_SQ_SR_mSS_SV_bEUlT_E_NS1_11comp_targetILNS1_3genE2ELNS1_11target_archE906ELNS1_3gpuE6ELNS1_3repE0EEENS1_30default_config_static_selectorELNS0_4arch9wavefront6targetE0EEEvSP_
                                        ; -- End function
	.section	.AMDGPU.csdata,"",@progbits
; Kernel info:
; codeLenInByte = 0
; NumSgprs: 0
; NumVgprs: 0
; ScratchSize: 0
; MemoryBound: 0
; FloatMode: 240
; IeeeMode: 1
; LDSByteSize: 0 bytes/workgroup (compile time only)
; SGPRBlocks: 0
; VGPRBlocks: 0
; NumSGPRsForWavesPerEU: 1
; NumVGPRsForWavesPerEU: 1
; Occupancy: 16
; WaveLimiterHint : 0
; COMPUTE_PGM_RSRC2:SCRATCH_EN: 0
; COMPUTE_PGM_RSRC2:USER_SGPR: 15
; COMPUTE_PGM_RSRC2:TRAP_HANDLER: 0
; COMPUTE_PGM_RSRC2:TGID_X_EN: 1
; COMPUTE_PGM_RSRC2:TGID_Y_EN: 0
; COMPUTE_PGM_RSRC2:TGID_Z_EN: 0
; COMPUTE_PGM_RSRC2:TIDIG_COMP_CNT: 0
	.section	.text._ZN7rocprim17ROCPRIM_400000_NS6detail17trampoline_kernelINS0_14default_configENS1_29binary_search_config_selectorIxiEEZNS1_14transform_implILb0ES3_S5_N6thrust23THRUST_200600_302600_NS6detail15normal_iteratorINS8_10device_ptrIxEEEENSA_INSB_IiEEEEZNS1_13binary_searchIS3_S5_SD_SD_SF_NS1_16binary_search_opENS9_16wrapped_functionINS0_4lessIvEEbEEEE10hipError_tPvRmT1_T2_T3_mmT4_T5_P12ihipStream_tbEUlRKxE_EESM_SQ_SR_mSS_SV_bEUlT_E_NS1_11comp_targetILNS1_3genE10ELNS1_11target_archE1201ELNS1_3gpuE5ELNS1_3repE0EEENS1_30default_config_static_selectorELNS0_4arch9wavefront6targetE0EEEvSP_,"axG",@progbits,_ZN7rocprim17ROCPRIM_400000_NS6detail17trampoline_kernelINS0_14default_configENS1_29binary_search_config_selectorIxiEEZNS1_14transform_implILb0ES3_S5_N6thrust23THRUST_200600_302600_NS6detail15normal_iteratorINS8_10device_ptrIxEEEENSA_INSB_IiEEEEZNS1_13binary_searchIS3_S5_SD_SD_SF_NS1_16binary_search_opENS9_16wrapped_functionINS0_4lessIvEEbEEEE10hipError_tPvRmT1_T2_T3_mmT4_T5_P12ihipStream_tbEUlRKxE_EESM_SQ_SR_mSS_SV_bEUlT_E_NS1_11comp_targetILNS1_3genE10ELNS1_11target_archE1201ELNS1_3gpuE5ELNS1_3repE0EEENS1_30default_config_static_selectorELNS0_4arch9wavefront6targetE0EEEvSP_,comdat
	.protected	_ZN7rocprim17ROCPRIM_400000_NS6detail17trampoline_kernelINS0_14default_configENS1_29binary_search_config_selectorIxiEEZNS1_14transform_implILb0ES3_S5_N6thrust23THRUST_200600_302600_NS6detail15normal_iteratorINS8_10device_ptrIxEEEENSA_INSB_IiEEEEZNS1_13binary_searchIS3_S5_SD_SD_SF_NS1_16binary_search_opENS9_16wrapped_functionINS0_4lessIvEEbEEEE10hipError_tPvRmT1_T2_T3_mmT4_T5_P12ihipStream_tbEUlRKxE_EESM_SQ_SR_mSS_SV_bEUlT_E_NS1_11comp_targetILNS1_3genE10ELNS1_11target_archE1201ELNS1_3gpuE5ELNS1_3repE0EEENS1_30default_config_static_selectorELNS0_4arch9wavefront6targetE0EEEvSP_ ; -- Begin function _ZN7rocprim17ROCPRIM_400000_NS6detail17trampoline_kernelINS0_14default_configENS1_29binary_search_config_selectorIxiEEZNS1_14transform_implILb0ES3_S5_N6thrust23THRUST_200600_302600_NS6detail15normal_iteratorINS8_10device_ptrIxEEEENSA_INSB_IiEEEEZNS1_13binary_searchIS3_S5_SD_SD_SF_NS1_16binary_search_opENS9_16wrapped_functionINS0_4lessIvEEbEEEE10hipError_tPvRmT1_T2_T3_mmT4_T5_P12ihipStream_tbEUlRKxE_EESM_SQ_SR_mSS_SV_bEUlT_E_NS1_11comp_targetILNS1_3genE10ELNS1_11target_archE1201ELNS1_3gpuE5ELNS1_3repE0EEENS1_30default_config_static_selectorELNS0_4arch9wavefront6targetE0EEEvSP_
	.globl	_ZN7rocprim17ROCPRIM_400000_NS6detail17trampoline_kernelINS0_14default_configENS1_29binary_search_config_selectorIxiEEZNS1_14transform_implILb0ES3_S5_N6thrust23THRUST_200600_302600_NS6detail15normal_iteratorINS8_10device_ptrIxEEEENSA_INSB_IiEEEEZNS1_13binary_searchIS3_S5_SD_SD_SF_NS1_16binary_search_opENS9_16wrapped_functionINS0_4lessIvEEbEEEE10hipError_tPvRmT1_T2_T3_mmT4_T5_P12ihipStream_tbEUlRKxE_EESM_SQ_SR_mSS_SV_bEUlT_E_NS1_11comp_targetILNS1_3genE10ELNS1_11target_archE1201ELNS1_3gpuE5ELNS1_3repE0EEENS1_30default_config_static_selectorELNS0_4arch9wavefront6targetE0EEEvSP_
	.p2align	8
	.type	_ZN7rocprim17ROCPRIM_400000_NS6detail17trampoline_kernelINS0_14default_configENS1_29binary_search_config_selectorIxiEEZNS1_14transform_implILb0ES3_S5_N6thrust23THRUST_200600_302600_NS6detail15normal_iteratorINS8_10device_ptrIxEEEENSA_INSB_IiEEEEZNS1_13binary_searchIS3_S5_SD_SD_SF_NS1_16binary_search_opENS9_16wrapped_functionINS0_4lessIvEEbEEEE10hipError_tPvRmT1_T2_T3_mmT4_T5_P12ihipStream_tbEUlRKxE_EESM_SQ_SR_mSS_SV_bEUlT_E_NS1_11comp_targetILNS1_3genE10ELNS1_11target_archE1201ELNS1_3gpuE5ELNS1_3repE0EEENS1_30default_config_static_selectorELNS0_4arch9wavefront6targetE0EEEvSP_,@function
_ZN7rocprim17ROCPRIM_400000_NS6detail17trampoline_kernelINS0_14default_configENS1_29binary_search_config_selectorIxiEEZNS1_14transform_implILb0ES3_S5_N6thrust23THRUST_200600_302600_NS6detail15normal_iteratorINS8_10device_ptrIxEEEENSA_INSB_IiEEEEZNS1_13binary_searchIS3_S5_SD_SD_SF_NS1_16binary_search_opENS9_16wrapped_functionINS0_4lessIvEEbEEEE10hipError_tPvRmT1_T2_T3_mmT4_T5_P12ihipStream_tbEUlRKxE_EESM_SQ_SR_mSS_SV_bEUlT_E_NS1_11comp_targetILNS1_3genE10ELNS1_11target_archE1201ELNS1_3gpuE5ELNS1_3repE0EEENS1_30default_config_static_selectorELNS0_4arch9wavefront6targetE0EEEvSP_: ; @_ZN7rocprim17ROCPRIM_400000_NS6detail17trampoline_kernelINS0_14default_configENS1_29binary_search_config_selectorIxiEEZNS1_14transform_implILb0ES3_S5_N6thrust23THRUST_200600_302600_NS6detail15normal_iteratorINS8_10device_ptrIxEEEENSA_INSB_IiEEEEZNS1_13binary_searchIS3_S5_SD_SD_SF_NS1_16binary_search_opENS9_16wrapped_functionINS0_4lessIvEEbEEEE10hipError_tPvRmT1_T2_T3_mmT4_T5_P12ihipStream_tbEUlRKxE_EESM_SQ_SR_mSS_SV_bEUlT_E_NS1_11comp_targetILNS1_3genE10ELNS1_11target_archE1201ELNS1_3gpuE5ELNS1_3repE0EEENS1_30default_config_static_selectorELNS0_4arch9wavefront6targetE0EEEvSP_
; %bb.0:
	.section	.rodata,"a",@progbits
	.p2align	6, 0x0
	.amdhsa_kernel _ZN7rocprim17ROCPRIM_400000_NS6detail17trampoline_kernelINS0_14default_configENS1_29binary_search_config_selectorIxiEEZNS1_14transform_implILb0ES3_S5_N6thrust23THRUST_200600_302600_NS6detail15normal_iteratorINS8_10device_ptrIxEEEENSA_INSB_IiEEEEZNS1_13binary_searchIS3_S5_SD_SD_SF_NS1_16binary_search_opENS9_16wrapped_functionINS0_4lessIvEEbEEEE10hipError_tPvRmT1_T2_T3_mmT4_T5_P12ihipStream_tbEUlRKxE_EESM_SQ_SR_mSS_SV_bEUlT_E_NS1_11comp_targetILNS1_3genE10ELNS1_11target_archE1201ELNS1_3gpuE5ELNS1_3repE0EEENS1_30default_config_static_selectorELNS0_4arch9wavefront6targetE0EEEvSP_
		.amdhsa_group_segment_fixed_size 0
		.amdhsa_private_segment_fixed_size 0
		.amdhsa_kernarg_size 56
		.amdhsa_user_sgpr_count 15
		.amdhsa_user_sgpr_dispatch_ptr 0
		.amdhsa_user_sgpr_queue_ptr 0
		.amdhsa_user_sgpr_kernarg_segment_ptr 1
		.amdhsa_user_sgpr_dispatch_id 0
		.amdhsa_user_sgpr_private_segment_size 0
		.amdhsa_wavefront_size32 1
		.amdhsa_uses_dynamic_stack 0
		.amdhsa_enable_private_segment 0
		.amdhsa_system_sgpr_workgroup_id_x 1
		.amdhsa_system_sgpr_workgroup_id_y 0
		.amdhsa_system_sgpr_workgroup_id_z 0
		.amdhsa_system_sgpr_workgroup_info 0
		.amdhsa_system_vgpr_workitem_id 0
		.amdhsa_next_free_vgpr 1
		.amdhsa_next_free_sgpr 1
		.amdhsa_reserve_vcc 0
		.amdhsa_float_round_mode_32 0
		.amdhsa_float_round_mode_16_64 0
		.amdhsa_float_denorm_mode_32 3
		.amdhsa_float_denorm_mode_16_64 3
		.amdhsa_dx10_clamp 1
		.amdhsa_ieee_mode 1
		.amdhsa_fp16_overflow 0
		.amdhsa_workgroup_processor_mode 1
		.amdhsa_memory_ordered 1
		.amdhsa_forward_progress 0
		.amdhsa_shared_vgpr_count 0
		.amdhsa_exception_fp_ieee_invalid_op 0
		.amdhsa_exception_fp_denorm_src 0
		.amdhsa_exception_fp_ieee_div_zero 0
		.amdhsa_exception_fp_ieee_overflow 0
		.amdhsa_exception_fp_ieee_underflow 0
		.amdhsa_exception_fp_ieee_inexact 0
		.amdhsa_exception_int_div_zero 0
	.end_amdhsa_kernel
	.section	.text._ZN7rocprim17ROCPRIM_400000_NS6detail17trampoline_kernelINS0_14default_configENS1_29binary_search_config_selectorIxiEEZNS1_14transform_implILb0ES3_S5_N6thrust23THRUST_200600_302600_NS6detail15normal_iteratorINS8_10device_ptrIxEEEENSA_INSB_IiEEEEZNS1_13binary_searchIS3_S5_SD_SD_SF_NS1_16binary_search_opENS9_16wrapped_functionINS0_4lessIvEEbEEEE10hipError_tPvRmT1_T2_T3_mmT4_T5_P12ihipStream_tbEUlRKxE_EESM_SQ_SR_mSS_SV_bEUlT_E_NS1_11comp_targetILNS1_3genE10ELNS1_11target_archE1201ELNS1_3gpuE5ELNS1_3repE0EEENS1_30default_config_static_selectorELNS0_4arch9wavefront6targetE0EEEvSP_,"axG",@progbits,_ZN7rocprim17ROCPRIM_400000_NS6detail17trampoline_kernelINS0_14default_configENS1_29binary_search_config_selectorIxiEEZNS1_14transform_implILb0ES3_S5_N6thrust23THRUST_200600_302600_NS6detail15normal_iteratorINS8_10device_ptrIxEEEENSA_INSB_IiEEEEZNS1_13binary_searchIS3_S5_SD_SD_SF_NS1_16binary_search_opENS9_16wrapped_functionINS0_4lessIvEEbEEEE10hipError_tPvRmT1_T2_T3_mmT4_T5_P12ihipStream_tbEUlRKxE_EESM_SQ_SR_mSS_SV_bEUlT_E_NS1_11comp_targetILNS1_3genE10ELNS1_11target_archE1201ELNS1_3gpuE5ELNS1_3repE0EEENS1_30default_config_static_selectorELNS0_4arch9wavefront6targetE0EEEvSP_,comdat
.Lfunc_end506:
	.size	_ZN7rocprim17ROCPRIM_400000_NS6detail17trampoline_kernelINS0_14default_configENS1_29binary_search_config_selectorIxiEEZNS1_14transform_implILb0ES3_S5_N6thrust23THRUST_200600_302600_NS6detail15normal_iteratorINS8_10device_ptrIxEEEENSA_INSB_IiEEEEZNS1_13binary_searchIS3_S5_SD_SD_SF_NS1_16binary_search_opENS9_16wrapped_functionINS0_4lessIvEEbEEEE10hipError_tPvRmT1_T2_T3_mmT4_T5_P12ihipStream_tbEUlRKxE_EESM_SQ_SR_mSS_SV_bEUlT_E_NS1_11comp_targetILNS1_3genE10ELNS1_11target_archE1201ELNS1_3gpuE5ELNS1_3repE0EEENS1_30default_config_static_selectorELNS0_4arch9wavefront6targetE0EEEvSP_, .Lfunc_end506-_ZN7rocprim17ROCPRIM_400000_NS6detail17trampoline_kernelINS0_14default_configENS1_29binary_search_config_selectorIxiEEZNS1_14transform_implILb0ES3_S5_N6thrust23THRUST_200600_302600_NS6detail15normal_iteratorINS8_10device_ptrIxEEEENSA_INSB_IiEEEEZNS1_13binary_searchIS3_S5_SD_SD_SF_NS1_16binary_search_opENS9_16wrapped_functionINS0_4lessIvEEbEEEE10hipError_tPvRmT1_T2_T3_mmT4_T5_P12ihipStream_tbEUlRKxE_EESM_SQ_SR_mSS_SV_bEUlT_E_NS1_11comp_targetILNS1_3genE10ELNS1_11target_archE1201ELNS1_3gpuE5ELNS1_3repE0EEENS1_30default_config_static_selectorELNS0_4arch9wavefront6targetE0EEEvSP_
                                        ; -- End function
	.section	.AMDGPU.csdata,"",@progbits
; Kernel info:
; codeLenInByte = 0
; NumSgprs: 0
; NumVgprs: 0
; ScratchSize: 0
; MemoryBound: 0
; FloatMode: 240
; IeeeMode: 1
; LDSByteSize: 0 bytes/workgroup (compile time only)
; SGPRBlocks: 0
; VGPRBlocks: 0
; NumSGPRsForWavesPerEU: 1
; NumVGPRsForWavesPerEU: 1
; Occupancy: 16
; WaveLimiterHint : 0
; COMPUTE_PGM_RSRC2:SCRATCH_EN: 0
; COMPUTE_PGM_RSRC2:USER_SGPR: 15
; COMPUTE_PGM_RSRC2:TRAP_HANDLER: 0
; COMPUTE_PGM_RSRC2:TGID_X_EN: 1
; COMPUTE_PGM_RSRC2:TGID_Y_EN: 0
; COMPUTE_PGM_RSRC2:TGID_Z_EN: 0
; COMPUTE_PGM_RSRC2:TIDIG_COMP_CNT: 0
	.section	.text._ZN7rocprim17ROCPRIM_400000_NS6detail17trampoline_kernelINS0_14default_configENS1_29binary_search_config_selectorIxiEEZNS1_14transform_implILb0ES3_S5_N6thrust23THRUST_200600_302600_NS6detail15normal_iteratorINS8_10device_ptrIxEEEENSA_INSB_IiEEEEZNS1_13binary_searchIS3_S5_SD_SD_SF_NS1_16binary_search_opENS9_16wrapped_functionINS0_4lessIvEEbEEEE10hipError_tPvRmT1_T2_T3_mmT4_T5_P12ihipStream_tbEUlRKxE_EESM_SQ_SR_mSS_SV_bEUlT_E_NS1_11comp_targetILNS1_3genE10ELNS1_11target_archE1200ELNS1_3gpuE4ELNS1_3repE0EEENS1_30default_config_static_selectorELNS0_4arch9wavefront6targetE0EEEvSP_,"axG",@progbits,_ZN7rocprim17ROCPRIM_400000_NS6detail17trampoline_kernelINS0_14default_configENS1_29binary_search_config_selectorIxiEEZNS1_14transform_implILb0ES3_S5_N6thrust23THRUST_200600_302600_NS6detail15normal_iteratorINS8_10device_ptrIxEEEENSA_INSB_IiEEEEZNS1_13binary_searchIS3_S5_SD_SD_SF_NS1_16binary_search_opENS9_16wrapped_functionINS0_4lessIvEEbEEEE10hipError_tPvRmT1_T2_T3_mmT4_T5_P12ihipStream_tbEUlRKxE_EESM_SQ_SR_mSS_SV_bEUlT_E_NS1_11comp_targetILNS1_3genE10ELNS1_11target_archE1200ELNS1_3gpuE4ELNS1_3repE0EEENS1_30default_config_static_selectorELNS0_4arch9wavefront6targetE0EEEvSP_,comdat
	.protected	_ZN7rocprim17ROCPRIM_400000_NS6detail17trampoline_kernelINS0_14default_configENS1_29binary_search_config_selectorIxiEEZNS1_14transform_implILb0ES3_S5_N6thrust23THRUST_200600_302600_NS6detail15normal_iteratorINS8_10device_ptrIxEEEENSA_INSB_IiEEEEZNS1_13binary_searchIS3_S5_SD_SD_SF_NS1_16binary_search_opENS9_16wrapped_functionINS0_4lessIvEEbEEEE10hipError_tPvRmT1_T2_T3_mmT4_T5_P12ihipStream_tbEUlRKxE_EESM_SQ_SR_mSS_SV_bEUlT_E_NS1_11comp_targetILNS1_3genE10ELNS1_11target_archE1200ELNS1_3gpuE4ELNS1_3repE0EEENS1_30default_config_static_selectorELNS0_4arch9wavefront6targetE0EEEvSP_ ; -- Begin function _ZN7rocprim17ROCPRIM_400000_NS6detail17trampoline_kernelINS0_14default_configENS1_29binary_search_config_selectorIxiEEZNS1_14transform_implILb0ES3_S5_N6thrust23THRUST_200600_302600_NS6detail15normal_iteratorINS8_10device_ptrIxEEEENSA_INSB_IiEEEEZNS1_13binary_searchIS3_S5_SD_SD_SF_NS1_16binary_search_opENS9_16wrapped_functionINS0_4lessIvEEbEEEE10hipError_tPvRmT1_T2_T3_mmT4_T5_P12ihipStream_tbEUlRKxE_EESM_SQ_SR_mSS_SV_bEUlT_E_NS1_11comp_targetILNS1_3genE10ELNS1_11target_archE1200ELNS1_3gpuE4ELNS1_3repE0EEENS1_30default_config_static_selectorELNS0_4arch9wavefront6targetE0EEEvSP_
	.globl	_ZN7rocprim17ROCPRIM_400000_NS6detail17trampoline_kernelINS0_14default_configENS1_29binary_search_config_selectorIxiEEZNS1_14transform_implILb0ES3_S5_N6thrust23THRUST_200600_302600_NS6detail15normal_iteratorINS8_10device_ptrIxEEEENSA_INSB_IiEEEEZNS1_13binary_searchIS3_S5_SD_SD_SF_NS1_16binary_search_opENS9_16wrapped_functionINS0_4lessIvEEbEEEE10hipError_tPvRmT1_T2_T3_mmT4_T5_P12ihipStream_tbEUlRKxE_EESM_SQ_SR_mSS_SV_bEUlT_E_NS1_11comp_targetILNS1_3genE10ELNS1_11target_archE1200ELNS1_3gpuE4ELNS1_3repE0EEENS1_30default_config_static_selectorELNS0_4arch9wavefront6targetE0EEEvSP_
	.p2align	8
	.type	_ZN7rocprim17ROCPRIM_400000_NS6detail17trampoline_kernelINS0_14default_configENS1_29binary_search_config_selectorIxiEEZNS1_14transform_implILb0ES3_S5_N6thrust23THRUST_200600_302600_NS6detail15normal_iteratorINS8_10device_ptrIxEEEENSA_INSB_IiEEEEZNS1_13binary_searchIS3_S5_SD_SD_SF_NS1_16binary_search_opENS9_16wrapped_functionINS0_4lessIvEEbEEEE10hipError_tPvRmT1_T2_T3_mmT4_T5_P12ihipStream_tbEUlRKxE_EESM_SQ_SR_mSS_SV_bEUlT_E_NS1_11comp_targetILNS1_3genE10ELNS1_11target_archE1200ELNS1_3gpuE4ELNS1_3repE0EEENS1_30default_config_static_selectorELNS0_4arch9wavefront6targetE0EEEvSP_,@function
_ZN7rocprim17ROCPRIM_400000_NS6detail17trampoline_kernelINS0_14default_configENS1_29binary_search_config_selectorIxiEEZNS1_14transform_implILb0ES3_S5_N6thrust23THRUST_200600_302600_NS6detail15normal_iteratorINS8_10device_ptrIxEEEENSA_INSB_IiEEEEZNS1_13binary_searchIS3_S5_SD_SD_SF_NS1_16binary_search_opENS9_16wrapped_functionINS0_4lessIvEEbEEEE10hipError_tPvRmT1_T2_T3_mmT4_T5_P12ihipStream_tbEUlRKxE_EESM_SQ_SR_mSS_SV_bEUlT_E_NS1_11comp_targetILNS1_3genE10ELNS1_11target_archE1200ELNS1_3gpuE4ELNS1_3repE0EEENS1_30default_config_static_selectorELNS0_4arch9wavefront6targetE0EEEvSP_: ; @_ZN7rocprim17ROCPRIM_400000_NS6detail17trampoline_kernelINS0_14default_configENS1_29binary_search_config_selectorIxiEEZNS1_14transform_implILb0ES3_S5_N6thrust23THRUST_200600_302600_NS6detail15normal_iteratorINS8_10device_ptrIxEEEENSA_INSB_IiEEEEZNS1_13binary_searchIS3_S5_SD_SD_SF_NS1_16binary_search_opENS9_16wrapped_functionINS0_4lessIvEEbEEEE10hipError_tPvRmT1_T2_T3_mmT4_T5_P12ihipStream_tbEUlRKxE_EESM_SQ_SR_mSS_SV_bEUlT_E_NS1_11comp_targetILNS1_3genE10ELNS1_11target_archE1200ELNS1_3gpuE4ELNS1_3repE0EEENS1_30default_config_static_selectorELNS0_4arch9wavefront6targetE0EEEvSP_
; %bb.0:
	.section	.rodata,"a",@progbits
	.p2align	6, 0x0
	.amdhsa_kernel _ZN7rocprim17ROCPRIM_400000_NS6detail17trampoline_kernelINS0_14default_configENS1_29binary_search_config_selectorIxiEEZNS1_14transform_implILb0ES3_S5_N6thrust23THRUST_200600_302600_NS6detail15normal_iteratorINS8_10device_ptrIxEEEENSA_INSB_IiEEEEZNS1_13binary_searchIS3_S5_SD_SD_SF_NS1_16binary_search_opENS9_16wrapped_functionINS0_4lessIvEEbEEEE10hipError_tPvRmT1_T2_T3_mmT4_T5_P12ihipStream_tbEUlRKxE_EESM_SQ_SR_mSS_SV_bEUlT_E_NS1_11comp_targetILNS1_3genE10ELNS1_11target_archE1200ELNS1_3gpuE4ELNS1_3repE0EEENS1_30default_config_static_selectorELNS0_4arch9wavefront6targetE0EEEvSP_
		.amdhsa_group_segment_fixed_size 0
		.amdhsa_private_segment_fixed_size 0
		.amdhsa_kernarg_size 56
		.amdhsa_user_sgpr_count 15
		.amdhsa_user_sgpr_dispatch_ptr 0
		.amdhsa_user_sgpr_queue_ptr 0
		.amdhsa_user_sgpr_kernarg_segment_ptr 1
		.amdhsa_user_sgpr_dispatch_id 0
		.amdhsa_user_sgpr_private_segment_size 0
		.amdhsa_wavefront_size32 1
		.amdhsa_uses_dynamic_stack 0
		.amdhsa_enable_private_segment 0
		.amdhsa_system_sgpr_workgroup_id_x 1
		.amdhsa_system_sgpr_workgroup_id_y 0
		.amdhsa_system_sgpr_workgroup_id_z 0
		.amdhsa_system_sgpr_workgroup_info 0
		.amdhsa_system_vgpr_workitem_id 0
		.amdhsa_next_free_vgpr 1
		.amdhsa_next_free_sgpr 1
		.amdhsa_reserve_vcc 0
		.amdhsa_float_round_mode_32 0
		.amdhsa_float_round_mode_16_64 0
		.amdhsa_float_denorm_mode_32 3
		.amdhsa_float_denorm_mode_16_64 3
		.amdhsa_dx10_clamp 1
		.amdhsa_ieee_mode 1
		.amdhsa_fp16_overflow 0
		.amdhsa_workgroup_processor_mode 1
		.amdhsa_memory_ordered 1
		.amdhsa_forward_progress 0
		.amdhsa_shared_vgpr_count 0
		.amdhsa_exception_fp_ieee_invalid_op 0
		.amdhsa_exception_fp_denorm_src 0
		.amdhsa_exception_fp_ieee_div_zero 0
		.amdhsa_exception_fp_ieee_overflow 0
		.amdhsa_exception_fp_ieee_underflow 0
		.amdhsa_exception_fp_ieee_inexact 0
		.amdhsa_exception_int_div_zero 0
	.end_amdhsa_kernel
	.section	.text._ZN7rocprim17ROCPRIM_400000_NS6detail17trampoline_kernelINS0_14default_configENS1_29binary_search_config_selectorIxiEEZNS1_14transform_implILb0ES3_S5_N6thrust23THRUST_200600_302600_NS6detail15normal_iteratorINS8_10device_ptrIxEEEENSA_INSB_IiEEEEZNS1_13binary_searchIS3_S5_SD_SD_SF_NS1_16binary_search_opENS9_16wrapped_functionINS0_4lessIvEEbEEEE10hipError_tPvRmT1_T2_T3_mmT4_T5_P12ihipStream_tbEUlRKxE_EESM_SQ_SR_mSS_SV_bEUlT_E_NS1_11comp_targetILNS1_3genE10ELNS1_11target_archE1200ELNS1_3gpuE4ELNS1_3repE0EEENS1_30default_config_static_selectorELNS0_4arch9wavefront6targetE0EEEvSP_,"axG",@progbits,_ZN7rocprim17ROCPRIM_400000_NS6detail17trampoline_kernelINS0_14default_configENS1_29binary_search_config_selectorIxiEEZNS1_14transform_implILb0ES3_S5_N6thrust23THRUST_200600_302600_NS6detail15normal_iteratorINS8_10device_ptrIxEEEENSA_INSB_IiEEEEZNS1_13binary_searchIS3_S5_SD_SD_SF_NS1_16binary_search_opENS9_16wrapped_functionINS0_4lessIvEEbEEEE10hipError_tPvRmT1_T2_T3_mmT4_T5_P12ihipStream_tbEUlRKxE_EESM_SQ_SR_mSS_SV_bEUlT_E_NS1_11comp_targetILNS1_3genE10ELNS1_11target_archE1200ELNS1_3gpuE4ELNS1_3repE0EEENS1_30default_config_static_selectorELNS0_4arch9wavefront6targetE0EEEvSP_,comdat
.Lfunc_end507:
	.size	_ZN7rocprim17ROCPRIM_400000_NS6detail17trampoline_kernelINS0_14default_configENS1_29binary_search_config_selectorIxiEEZNS1_14transform_implILb0ES3_S5_N6thrust23THRUST_200600_302600_NS6detail15normal_iteratorINS8_10device_ptrIxEEEENSA_INSB_IiEEEEZNS1_13binary_searchIS3_S5_SD_SD_SF_NS1_16binary_search_opENS9_16wrapped_functionINS0_4lessIvEEbEEEE10hipError_tPvRmT1_T2_T3_mmT4_T5_P12ihipStream_tbEUlRKxE_EESM_SQ_SR_mSS_SV_bEUlT_E_NS1_11comp_targetILNS1_3genE10ELNS1_11target_archE1200ELNS1_3gpuE4ELNS1_3repE0EEENS1_30default_config_static_selectorELNS0_4arch9wavefront6targetE0EEEvSP_, .Lfunc_end507-_ZN7rocprim17ROCPRIM_400000_NS6detail17trampoline_kernelINS0_14default_configENS1_29binary_search_config_selectorIxiEEZNS1_14transform_implILb0ES3_S5_N6thrust23THRUST_200600_302600_NS6detail15normal_iteratorINS8_10device_ptrIxEEEENSA_INSB_IiEEEEZNS1_13binary_searchIS3_S5_SD_SD_SF_NS1_16binary_search_opENS9_16wrapped_functionINS0_4lessIvEEbEEEE10hipError_tPvRmT1_T2_T3_mmT4_T5_P12ihipStream_tbEUlRKxE_EESM_SQ_SR_mSS_SV_bEUlT_E_NS1_11comp_targetILNS1_3genE10ELNS1_11target_archE1200ELNS1_3gpuE4ELNS1_3repE0EEENS1_30default_config_static_selectorELNS0_4arch9wavefront6targetE0EEEvSP_
                                        ; -- End function
	.section	.AMDGPU.csdata,"",@progbits
; Kernel info:
; codeLenInByte = 0
; NumSgprs: 0
; NumVgprs: 0
; ScratchSize: 0
; MemoryBound: 0
; FloatMode: 240
; IeeeMode: 1
; LDSByteSize: 0 bytes/workgroup (compile time only)
; SGPRBlocks: 0
; VGPRBlocks: 0
; NumSGPRsForWavesPerEU: 1
; NumVGPRsForWavesPerEU: 1
; Occupancy: 16
; WaveLimiterHint : 0
; COMPUTE_PGM_RSRC2:SCRATCH_EN: 0
; COMPUTE_PGM_RSRC2:USER_SGPR: 15
; COMPUTE_PGM_RSRC2:TRAP_HANDLER: 0
; COMPUTE_PGM_RSRC2:TGID_X_EN: 1
; COMPUTE_PGM_RSRC2:TGID_Y_EN: 0
; COMPUTE_PGM_RSRC2:TGID_Z_EN: 0
; COMPUTE_PGM_RSRC2:TIDIG_COMP_CNT: 0
	.section	.text._ZN7rocprim17ROCPRIM_400000_NS6detail17trampoline_kernelINS0_14default_configENS1_29binary_search_config_selectorIxiEEZNS1_14transform_implILb0ES3_S5_N6thrust23THRUST_200600_302600_NS6detail15normal_iteratorINS8_10device_ptrIxEEEENSA_INSB_IiEEEEZNS1_13binary_searchIS3_S5_SD_SD_SF_NS1_16binary_search_opENS9_16wrapped_functionINS0_4lessIvEEbEEEE10hipError_tPvRmT1_T2_T3_mmT4_T5_P12ihipStream_tbEUlRKxE_EESM_SQ_SR_mSS_SV_bEUlT_E_NS1_11comp_targetILNS1_3genE9ELNS1_11target_archE1100ELNS1_3gpuE3ELNS1_3repE0EEENS1_30default_config_static_selectorELNS0_4arch9wavefront6targetE0EEEvSP_,"axG",@progbits,_ZN7rocprim17ROCPRIM_400000_NS6detail17trampoline_kernelINS0_14default_configENS1_29binary_search_config_selectorIxiEEZNS1_14transform_implILb0ES3_S5_N6thrust23THRUST_200600_302600_NS6detail15normal_iteratorINS8_10device_ptrIxEEEENSA_INSB_IiEEEEZNS1_13binary_searchIS3_S5_SD_SD_SF_NS1_16binary_search_opENS9_16wrapped_functionINS0_4lessIvEEbEEEE10hipError_tPvRmT1_T2_T3_mmT4_T5_P12ihipStream_tbEUlRKxE_EESM_SQ_SR_mSS_SV_bEUlT_E_NS1_11comp_targetILNS1_3genE9ELNS1_11target_archE1100ELNS1_3gpuE3ELNS1_3repE0EEENS1_30default_config_static_selectorELNS0_4arch9wavefront6targetE0EEEvSP_,comdat
	.protected	_ZN7rocprim17ROCPRIM_400000_NS6detail17trampoline_kernelINS0_14default_configENS1_29binary_search_config_selectorIxiEEZNS1_14transform_implILb0ES3_S5_N6thrust23THRUST_200600_302600_NS6detail15normal_iteratorINS8_10device_ptrIxEEEENSA_INSB_IiEEEEZNS1_13binary_searchIS3_S5_SD_SD_SF_NS1_16binary_search_opENS9_16wrapped_functionINS0_4lessIvEEbEEEE10hipError_tPvRmT1_T2_T3_mmT4_T5_P12ihipStream_tbEUlRKxE_EESM_SQ_SR_mSS_SV_bEUlT_E_NS1_11comp_targetILNS1_3genE9ELNS1_11target_archE1100ELNS1_3gpuE3ELNS1_3repE0EEENS1_30default_config_static_selectorELNS0_4arch9wavefront6targetE0EEEvSP_ ; -- Begin function _ZN7rocprim17ROCPRIM_400000_NS6detail17trampoline_kernelINS0_14default_configENS1_29binary_search_config_selectorIxiEEZNS1_14transform_implILb0ES3_S5_N6thrust23THRUST_200600_302600_NS6detail15normal_iteratorINS8_10device_ptrIxEEEENSA_INSB_IiEEEEZNS1_13binary_searchIS3_S5_SD_SD_SF_NS1_16binary_search_opENS9_16wrapped_functionINS0_4lessIvEEbEEEE10hipError_tPvRmT1_T2_T3_mmT4_T5_P12ihipStream_tbEUlRKxE_EESM_SQ_SR_mSS_SV_bEUlT_E_NS1_11comp_targetILNS1_3genE9ELNS1_11target_archE1100ELNS1_3gpuE3ELNS1_3repE0EEENS1_30default_config_static_selectorELNS0_4arch9wavefront6targetE0EEEvSP_
	.globl	_ZN7rocprim17ROCPRIM_400000_NS6detail17trampoline_kernelINS0_14default_configENS1_29binary_search_config_selectorIxiEEZNS1_14transform_implILb0ES3_S5_N6thrust23THRUST_200600_302600_NS6detail15normal_iteratorINS8_10device_ptrIxEEEENSA_INSB_IiEEEEZNS1_13binary_searchIS3_S5_SD_SD_SF_NS1_16binary_search_opENS9_16wrapped_functionINS0_4lessIvEEbEEEE10hipError_tPvRmT1_T2_T3_mmT4_T5_P12ihipStream_tbEUlRKxE_EESM_SQ_SR_mSS_SV_bEUlT_E_NS1_11comp_targetILNS1_3genE9ELNS1_11target_archE1100ELNS1_3gpuE3ELNS1_3repE0EEENS1_30default_config_static_selectorELNS0_4arch9wavefront6targetE0EEEvSP_
	.p2align	8
	.type	_ZN7rocprim17ROCPRIM_400000_NS6detail17trampoline_kernelINS0_14default_configENS1_29binary_search_config_selectorIxiEEZNS1_14transform_implILb0ES3_S5_N6thrust23THRUST_200600_302600_NS6detail15normal_iteratorINS8_10device_ptrIxEEEENSA_INSB_IiEEEEZNS1_13binary_searchIS3_S5_SD_SD_SF_NS1_16binary_search_opENS9_16wrapped_functionINS0_4lessIvEEbEEEE10hipError_tPvRmT1_T2_T3_mmT4_T5_P12ihipStream_tbEUlRKxE_EESM_SQ_SR_mSS_SV_bEUlT_E_NS1_11comp_targetILNS1_3genE9ELNS1_11target_archE1100ELNS1_3gpuE3ELNS1_3repE0EEENS1_30default_config_static_selectorELNS0_4arch9wavefront6targetE0EEEvSP_,@function
_ZN7rocprim17ROCPRIM_400000_NS6detail17trampoline_kernelINS0_14default_configENS1_29binary_search_config_selectorIxiEEZNS1_14transform_implILb0ES3_S5_N6thrust23THRUST_200600_302600_NS6detail15normal_iteratorINS8_10device_ptrIxEEEENSA_INSB_IiEEEEZNS1_13binary_searchIS3_S5_SD_SD_SF_NS1_16binary_search_opENS9_16wrapped_functionINS0_4lessIvEEbEEEE10hipError_tPvRmT1_T2_T3_mmT4_T5_P12ihipStream_tbEUlRKxE_EESM_SQ_SR_mSS_SV_bEUlT_E_NS1_11comp_targetILNS1_3genE9ELNS1_11target_archE1100ELNS1_3gpuE3ELNS1_3repE0EEENS1_30default_config_static_selectorELNS0_4arch9wavefront6targetE0EEEvSP_: ; @_ZN7rocprim17ROCPRIM_400000_NS6detail17trampoline_kernelINS0_14default_configENS1_29binary_search_config_selectorIxiEEZNS1_14transform_implILb0ES3_S5_N6thrust23THRUST_200600_302600_NS6detail15normal_iteratorINS8_10device_ptrIxEEEENSA_INSB_IiEEEEZNS1_13binary_searchIS3_S5_SD_SD_SF_NS1_16binary_search_opENS9_16wrapped_functionINS0_4lessIvEEbEEEE10hipError_tPvRmT1_T2_T3_mmT4_T5_P12ihipStream_tbEUlRKxE_EESM_SQ_SR_mSS_SV_bEUlT_E_NS1_11comp_targetILNS1_3genE9ELNS1_11target_archE1100ELNS1_3gpuE3ELNS1_3repE0EEENS1_30default_config_static_selectorELNS0_4arch9wavefront6targetE0EEEvSP_
; %bb.0:
	s_clause 0x2
	s_load_b256 s[4:11], s[0:1], 0x0
	s_load_b32 s2, s[0:1], 0x38
	s_load_b128 s[16:19], s[0:1], 0x20
	s_mov_b32 s21, 0
	s_waitcnt lgkmcnt(0)
	s_lshl_b64 s[0:1], s[6:7], 3
	s_delay_alu instid0(SALU_CYCLE_1) | instskip(SKIP_2) | instid1(SALU_CYCLE_1)
	s_add_u32 s3, s4, s0
	s_addc_u32 s4, s5, s1
	s_lshl_b64 s[0:1], s[6:7], 2
	s_add_u32 s22, s10, s0
	s_addc_u32 s23, s11, s1
	s_lshl_b32 s20, s15, 12
	s_add_i32 s2, s2, -1
	s_lshl_b64 s[0:1], s[20:21], 3
	s_delay_alu instid0(SALU_CYCLE_1)
	s_add_u32 s25, s3, s0
	s_addc_u32 s26, s4, s1
	s_cmp_lg_u32 s15, s2
	s_mov_b32 s0, -1
	s_cbranch_scc0 .LBB508_98
; %bb.1:
	v_lshlrev_b32_e32 v1, 3, v0
	s_cmp_lg_u64 s[18:19], 0
	s_mov_b32 s1, 0
	s_cselect_b32 s2, -1, 0
	s_cmp_eq_u64 s[18:19], 0
	v_add_co_u32 v1, s0, s25, v1
	s_delay_alu instid0(VALU_DEP_1) | instskip(NEXT) | instid1(VALU_DEP_2)
	v_add_co_ci_u32_e64 v2, null, s26, 0, s0
	v_add_co_u32 v3, vcc_lo, 0x1000, v1
	s_delay_alu instid0(VALU_DEP_2)
	v_add_co_ci_u32_e32 v4, vcc_lo, 0, v2, vcc_lo
	v_add_co_u32 v5, vcc_lo, 0x2000, v1
	v_add_co_ci_u32_e32 v6, vcc_lo, 0, v2, vcc_lo
	v_add_co_u32 v7, vcc_lo, 0x3000, v1
	v_add_co_ci_u32_e32 v8, vcc_lo, 0, v2, vcc_lo
	s_clause 0x7
	flat_load_b64 v[31:32], v[1:2]
	flat_load_b64 v[29:30], v[1:2] offset:2048
	flat_load_b64 v[27:28], v[3:4]
	flat_load_b64 v[25:26], v[3:4] offset:2048
	;; [unrolled: 2-line block ×4, first 2 shown]
	v_add_co_u32 v3, vcc_lo, 0x4000, v1
	v_add_co_ci_u32_e32 v4, vcc_lo, 0, v2, vcc_lo
	v_add_co_u32 v5, vcc_lo, 0x5000, v1
	v_add_co_ci_u32_e32 v6, vcc_lo, 0, v2, vcc_lo
	;; [unrolled: 2-line block ×4, first 2 shown]
	s_clause 0x7
	flat_load_b64 v[15:16], v[3:4]
	flat_load_b64 v[13:14], v[3:4] offset:2048
	flat_load_b64 v[11:12], v[5:6]
	flat_load_b64 v[9:10], v[5:6] offset:2048
	;; [unrolled: 2-line block ×4, first 2 shown]
	v_mov_b32_e32 v33, 0
	v_mov_b32_e32 v34, 0
	s_cbranch_scc1 .LBB508_5
; %bb.2:
	v_dual_mov_b32 v33, 0 :: v_dual_mov_b32 v36, s19
	v_dual_mov_b32 v34, 0 :: v_dual_mov_b32 v35, s18
	s_set_inst_prefetch_distance 0x1
	.p2align	6
.LBB508_3:                              ; =>This Inner Loop Header: Depth=1
	s_delay_alu instid0(VALU_DEP_1) | instskip(NEXT) | instid1(VALU_DEP_2)
	v_sub_co_u32 v37, vcc_lo, v35, v33
	v_sub_co_ci_u32_e32 v38, vcc_lo, v36, v34, vcc_lo
	s_delay_alu instid0(VALU_DEP_1) | instskip(SKIP_1) | instid1(VALU_DEP_2)
	v_lshrrev_b64 v[39:40], 1, v[37:38]
	v_lshrrev_b64 v[37:38], 6, v[37:38]
	v_add_co_u32 v39, vcc_lo, v39, v33
	s_delay_alu instid0(VALU_DEP_3) | instskip(NEXT) | instid1(VALU_DEP_2)
	v_add_co_ci_u32_e32 v40, vcc_lo, v40, v34, vcc_lo
	v_add_co_u32 v37, vcc_lo, v39, v37
	s_delay_alu instid0(VALU_DEP_2) | instskip(NEXT) | instid1(VALU_DEP_1)
	v_add_co_ci_u32_e32 v38, vcc_lo, v40, v38, vcc_lo
	v_lshlrev_b64 v[39:40], 3, v[37:38]
	s_delay_alu instid0(VALU_DEP_1) | instskip(NEXT) | instid1(VALU_DEP_2)
	v_add_co_u32 v39, vcc_lo, s16, v39
	v_add_co_ci_u32_e32 v40, vcc_lo, s17, v40, vcc_lo
	v_add_co_u32 v41, vcc_lo, v37, 1
	global_load_b64 v[39:40], v[39:40], off
	s_waitcnt vmcnt(0) lgkmcnt(15)
	v_cmp_lt_i64_e64 s0, v[39:40], v[31:32]
	v_add_co_ci_u32_e32 v39, vcc_lo, 0, v38, vcc_lo
	s_delay_alu instid0(VALU_DEP_2) | instskip(SKIP_1) | instid1(VALU_DEP_3)
	v_cndmask_b32_e64 v36, v38, v36, s0
	v_cndmask_b32_e64 v35, v37, v35, s0
	;; [unrolled: 1-line block ×4, first 2 shown]
	s_delay_alu instid0(VALU_DEP_1) | instskip(SKIP_1) | instid1(SALU_CYCLE_1)
	v_cmp_ge_u64_e32 vcc_lo, v[33:34], v[35:36]
	s_or_b32 s1, vcc_lo, s1
	s_and_not1_b32 exec_lo, exec_lo, s1
	s_cbranch_execnz .LBB508_3
; %bb.4:
	s_set_inst_prefetch_distance 0x2
	s_or_b32 exec_lo, exec_lo, s1
.LBB508_5:
	s_mov_b32 s1, 0
	s_mov_b32 s0, exec_lo
	s_delay_alu instid0(VALU_DEP_1)
	v_cmpx_ne_u64_e64 s[18:19], v[33:34]
	s_cbranch_execz .LBB508_7
; %bb.6:
	v_lshlrev_b64 v[33:34], 3, v[33:34]
	s_delay_alu instid0(VALU_DEP_1) | instskip(NEXT) | instid1(VALU_DEP_2)
	v_add_co_u32 v33, vcc_lo, s16, v33
	v_add_co_ci_u32_e32 v34, vcc_lo, s17, v34, vcc_lo
	global_load_b64 v[33:34], v[33:34], off
	s_waitcnt vmcnt(0) lgkmcnt(15)
	v_cmp_le_i64_e32 vcc_lo, v[33:34], v[31:32]
	s_and_b32 s1, vcc_lo, exec_lo
.LBB508_7:
	s_or_b32 exec_lo, exec_lo, s0
	s_waitcnt vmcnt(15) lgkmcnt(15)
	v_mov_b32_e32 v31, 0
	v_cndmask_b32_e64 v35, 0, 1, s2
	v_mov_b32_e32 v32, 0
	s_and_not1_b32 vcc_lo, exec_lo, s2
	s_cbranch_vccnz .LBB508_11
; %bb.8:
	v_dual_mov_b32 v34, s19 :: v_dual_mov_b32 v33, s18
	s_mov_b32 s2, 0
	s_set_inst_prefetch_distance 0x1
	.p2align	6
.LBB508_9:                              ; =>This Inner Loop Header: Depth=1
	s_delay_alu instid0(VALU_DEP_1) | instskip(NEXT) | instid1(VALU_DEP_2)
	v_sub_co_u32 v36, vcc_lo, v33, v31
	v_sub_co_ci_u32_e32 v37, vcc_lo, v34, v32, vcc_lo
	s_delay_alu instid0(VALU_DEP_1) | instskip(SKIP_1) | instid1(VALU_DEP_2)
	v_lshrrev_b64 v[38:39], 1, v[36:37]
	v_lshrrev_b64 v[36:37], 6, v[36:37]
	v_add_co_u32 v38, vcc_lo, v38, v31
	s_delay_alu instid0(VALU_DEP_3) | instskip(NEXT) | instid1(VALU_DEP_2)
	v_add_co_ci_u32_e32 v39, vcc_lo, v39, v32, vcc_lo
	v_add_co_u32 v36, vcc_lo, v38, v36
	s_delay_alu instid0(VALU_DEP_2) | instskip(NEXT) | instid1(VALU_DEP_1)
	v_add_co_ci_u32_e32 v37, vcc_lo, v39, v37, vcc_lo
	v_lshlrev_b64 v[38:39], 3, v[36:37]
	s_delay_alu instid0(VALU_DEP_1) | instskip(NEXT) | instid1(VALU_DEP_2)
	v_add_co_u32 v38, vcc_lo, s16, v38
	v_add_co_ci_u32_e32 v39, vcc_lo, s17, v39, vcc_lo
	v_add_co_u32 v40, vcc_lo, v36, 1
	global_load_b64 v[38:39], v[38:39], off
	s_waitcnt vmcnt(0) lgkmcnt(14)
	v_cmp_lt_i64_e64 s0, v[38:39], v[29:30]
	v_add_co_ci_u32_e32 v38, vcc_lo, 0, v37, vcc_lo
	s_delay_alu instid0(VALU_DEP_2) | instskip(SKIP_1) | instid1(VALU_DEP_3)
	v_cndmask_b32_e64 v34, v37, v34, s0
	v_cndmask_b32_e64 v33, v36, v33, s0
	;; [unrolled: 1-line block ×4, first 2 shown]
	s_delay_alu instid0(VALU_DEP_1) | instskip(SKIP_1) | instid1(SALU_CYCLE_1)
	v_cmp_ge_u64_e32 vcc_lo, v[31:32], v[33:34]
	s_or_b32 s2, vcc_lo, s2
	s_and_not1_b32 exec_lo, exec_lo, s2
	s_cbranch_execnz .LBB508_9
; %bb.10:
	s_set_inst_prefetch_distance 0x2
	s_or_b32 exec_lo, exec_lo, s2
.LBB508_11:
	s_mov_b32 s2, 0
	s_mov_b32 s0, exec_lo
	v_cmpx_ne_u64_e64 s[18:19], v[31:32]
	s_cbranch_execz .LBB508_13
; %bb.12:
	v_lshlrev_b64 v[31:32], 3, v[31:32]
	s_delay_alu instid0(VALU_DEP_1) | instskip(NEXT) | instid1(VALU_DEP_2)
	v_add_co_u32 v31, vcc_lo, s16, v31
	v_add_co_ci_u32_e32 v32, vcc_lo, s17, v32, vcc_lo
	global_load_b64 v[31:32], v[31:32], off
	s_waitcnt vmcnt(0) lgkmcnt(14)
	v_cmp_le_i64_e32 vcc_lo, v[31:32], v[29:30]
	s_and_b32 s2, vcc_lo, exec_lo
.LBB508_13:
	s_or_b32 exec_lo, exec_lo, s0
	v_cmp_ne_u32_e32 vcc_lo, 1, v35
	s_waitcnt vmcnt(14) lgkmcnt(14)
	v_mov_b32_e32 v29, 0
	v_mov_b32_e32 v30, 0
	s_cbranch_vccnz .LBB508_17
; %bb.14:
	v_dual_mov_b32 v32, s19 :: v_dual_mov_b32 v31, s18
	s_mov_b32 s3, 0
	s_set_inst_prefetch_distance 0x1
	.p2align	6
.LBB508_15:                             ; =>This Inner Loop Header: Depth=1
	s_delay_alu instid0(VALU_DEP_1) | instskip(NEXT) | instid1(VALU_DEP_2)
	v_sub_co_u32 v33, vcc_lo, v31, v29
	v_sub_co_ci_u32_e32 v34, vcc_lo, v32, v30, vcc_lo
	s_delay_alu instid0(VALU_DEP_1) | instskip(SKIP_1) | instid1(VALU_DEP_2)
	v_lshrrev_b64 v[36:37], 1, v[33:34]
	v_lshrrev_b64 v[33:34], 6, v[33:34]
	v_add_co_u32 v36, vcc_lo, v36, v29
	s_delay_alu instid0(VALU_DEP_3) | instskip(NEXT) | instid1(VALU_DEP_2)
	v_add_co_ci_u32_e32 v37, vcc_lo, v37, v30, vcc_lo
	v_add_co_u32 v33, vcc_lo, v36, v33
	s_delay_alu instid0(VALU_DEP_2) | instskip(NEXT) | instid1(VALU_DEP_1)
	v_add_co_ci_u32_e32 v34, vcc_lo, v37, v34, vcc_lo
	v_lshlrev_b64 v[36:37], 3, v[33:34]
	s_delay_alu instid0(VALU_DEP_1) | instskip(NEXT) | instid1(VALU_DEP_2)
	v_add_co_u32 v36, vcc_lo, s16, v36
	v_add_co_ci_u32_e32 v37, vcc_lo, s17, v37, vcc_lo
	v_add_co_u32 v38, vcc_lo, v33, 1
	global_load_b64 v[36:37], v[36:37], off
	s_waitcnt vmcnt(0) lgkmcnt(13)
	v_cmp_lt_i64_e64 s0, v[36:37], v[27:28]
	v_add_co_ci_u32_e32 v36, vcc_lo, 0, v34, vcc_lo
	s_delay_alu instid0(VALU_DEP_2) | instskip(SKIP_1) | instid1(VALU_DEP_3)
	v_cndmask_b32_e64 v32, v34, v32, s0
	v_cndmask_b32_e64 v31, v33, v31, s0
	;; [unrolled: 1-line block ×4, first 2 shown]
	s_delay_alu instid0(VALU_DEP_1) | instskip(SKIP_1) | instid1(SALU_CYCLE_1)
	v_cmp_ge_u64_e32 vcc_lo, v[29:30], v[31:32]
	s_or_b32 s3, vcc_lo, s3
	s_and_not1_b32 exec_lo, exec_lo, s3
	s_cbranch_execnz .LBB508_15
; %bb.16:
	s_set_inst_prefetch_distance 0x2
	s_or_b32 exec_lo, exec_lo, s3
.LBB508_17:
	s_mov_b32 s3, 0
	s_mov_b32 s0, exec_lo
	s_delay_alu instid0(VALU_DEP_1)
	v_cmpx_ne_u64_e64 s[18:19], v[29:30]
	s_cbranch_execz .LBB508_19
; %bb.18:
	v_lshlrev_b64 v[29:30], 3, v[29:30]
	s_delay_alu instid0(VALU_DEP_1) | instskip(NEXT) | instid1(VALU_DEP_2)
	v_add_co_u32 v29, vcc_lo, s16, v29
	v_add_co_ci_u32_e32 v30, vcc_lo, s17, v30, vcc_lo
	global_load_b64 v[29:30], v[29:30], off
	s_waitcnt vmcnt(0) lgkmcnt(13)
	v_cmp_le_i64_e32 vcc_lo, v[29:30], v[27:28]
	s_and_b32 s3, vcc_lo, exec_lo
.LBB508_19:
	s_or_b32 exec_lo, exec_lo, s0
	v_cmp_ne_u32_e32 vcc_lo, 1, v35
	s_waitcnt vmcnt(13) lgkmcnt(13)
	v_mov_b32_e32 v27, 0
	v_mov_b32_e32 v28, 0
	s_cbranch_vccnz .LBB508_23
; %bb.20:
	v_dual_mov_b32 v30, s19 :: v_dual_mov_b32 v29, s18
	s_mov_b32 s4, 0
	s_set_inst_prefetch_distance 0x1
	.p2align	6
.LBB508_21:                             ; =>This Inner Loop Header: Depth=1
	s_delay_alu instid0(VALU_DEP_1) | instskip(NEXT) | instid1(VALU_DEP_2)
	v_sub_co_u32 v31, vcc_lo, v29, v27
	v_sub_co_ci_u32_e32 v32, vcc_lo, v30, v28, vcc_lo
	s_delay_alu instid0(VALU_DEP_1) | instskip(SKIP_1) | instid1(VALU_DEP_2)
	v_lshrrev_b64 v[33:34], 1, v[31:32]
	v_lshrrev_b64 v[31:32], 6, v[31:32]
	v_add_co_u32 v33, vcc_lo, v33, v27
	s_delay_alu instid0(VALU_DEP_3) | instskip(NEXT) | instid1(VALU_DEP_2)
	v_add_co_ci_u32_e32 v34, vcc_lo, v34, v28, vcc_lo
	v_add_co_u32 v31, vcc_lo, v33, v31
	s_delay_alu instid0(VALU_DEP_2) | instskip(NEXT) | instid1(VALU_DEP_1)
	v_add_co_ci_u32_e32 v32, vcc_lo, v34, v32, vcc_lo
	v_lshlrev_b64 v[33:34], 3, v[31:32]
	s_delay_alu instid0(VALU_DEP_1) | instskip(NEXT) | instid1(VALU_DEP_2)
	v_add_co_u32 v33, vcc_lo, s16, v33
	v_add_co_ci_u32_e32 v34, vcc_lo, s17, v34, vcc_lo
	v_add_co_u32 v36, vcc_lo, v31, 1
	global_load_b64 v[33:34], v[33:34], off
	s_waitcnt vmcnt(0) lgkmcnt(12)
	v_cmp_lt_i64_e64 s0, v[33:34], v[25:26]
	v_add_co_ci_u32_e32 v33, vcc_lo, 0, v32, vcc_lo
	s_delay_alu instid0(VALU_DEP_2) | instskip(SKIP_1) | instid1(VALU_DEP_3)
	v_cndmask_b32_e64 v30, v32, v30, s0
	v_cndmask_b32_e64 v29, v31, v29, s0
	;; [unrolled: 1-line block ×4, first 2 shown]
	s_delay_alu instid0(VALU_DEP_1) | instskip(SKIP_1) | instid1(SALU_CYCLE_1)
	v_cmp_ge_u64_e32 vcc_lo, v[27:28], v[29:30]
	s_or_b32 s4, vcc_lo, s4
	s_and_not1_b32 exec_lo, exec_lo, s4
	s_cbranch_execnz .LBB508_21
; %bb.22:
	s_set_inst_prefetch_distance 0x2
	s_or_b32 exec_lo, exec_lo, s4
.LBB508_23:
	s_mov_b32 s4, 0
	s_mov_b32 s0, exec_lo
	s_delay_alu instid0(VALU_DEP_1)
	v_cmpx_ne_u64_e64 s[18:19], v[27:28]
	s_cbranch_execz .LBB508_25
; %bb.24:
	v_lshlrev_b64 v[27:28], 3, v[27:28]
	s_delay_alu instid0(VALU_DEP_1) | instskip(NEXT) | instid1(VALU_DEP_2)
	v_add_co_u32 v27, vcc_lo, s16, v27
	v_add_co_ci_u32_e32 v28, vcc_lo, s17, v28, vcc_lo
	global_load_b64 v[27:28], v[27:28], off
	s_waitcnt vmcnt(0) lgkmcnt(12)
	v_cmp_le_i64_e32 vcc_lo, v[27:28], v[25:26]
	s_and_b32 s4, vcc_lo, exec_lo
.LBB508_25:
	s_or_b32 exec_lo, exec_lo, s0
	v_cmp_ne_u32_e32 vcc_lo, 1, v35
	s_waitcnt vmcnt(12) lgkmcnt(12)
	v_mov_b32_e32 v25, 0
	v_mov_b32_e32 v26, 0
	s_cbranch_vccnz .LBB508_29
; %bb.26:
	v_dual_mov_b32 v28, s19 :: v_dual_mov_b32 v27, s18
	s_mov_b32 s5, 0
	s_set_inst_prefetch_distance 0x1
	.p2align	6
.LBB508_27:                             ; =>This Inner Loop Header: Depth=1
	s_delay_alu instid0(VALU_DEP_1) | instskip(NEXT) | instid1(VALU_DEP_2)
	v_sub_co_u32 v29, vcc_lo, v27, v25
	v_sub_co_ci_u32_e32 v30, vcc_lo, v28, v26, vcc_lo
	s_delay_alu instid0(VALU_DEP_1) | instskip(SKIP_1) | instid1(VALU_DEP_2)
	v_lshrrev_b64 v[31:32], 1, v[29:30]
	v_lshrrev_b64 v[29:30], 6, v[29:30]
	v_add_co_u32 v31, vcc_lo, v31, v25
	s_delay_alu instid0(VALU_DEP_3) | instskip(NEXT) | instid1(VALU_DEP_2)
	v_add_co_ci_u32_e32 v32, vcc_lo, v32, v26, vcc_lo
	v_add_co_u32 v29, vcc_lo, v31, v29
	s_delay_alu instid0(VALU_DEP_2) | instskip(NEXT) | instid1(VALU_DEP_1)
	v_add_co_ci_u32_e32 v30, vcc_lo, v32, v30, vcc_lo
	v_lshlrev_b64 v[31:32], 3, v[29:30]
	s_delay_alu instid0(VALU_DEP_1) | instskip(NEXT) | instid1(VALU_DEP_2)
	v_add_co_u32 v31, vcc_lo, s16, v31
	v_add_co_ci_u32_e32 v32, vcc_lo, s17, v32, vcc_lo
	v_add_co_u32 v33, vcc_lo, v29, 1
	global_load_b64 v[31:32], v[31:32], off
	s_waitcnt vmcnt(0) lgkmcnt(11)
	v_cmp_lt_i64_e64 s0, v[31:32], v[23:24]
	v_add_co_ci_u32_e32 v31, vcc_lo, 0, v30, vcc_lo
	s_delay_alu instid0(VALU_DEP_2) | instskip(SKIP_1) | instid1(VALU_DEP_3)
	v_cndmask_b32_e64 v28, v30, v28, s0
	v_cndmask_b32_e64 v27, v29, v27, s0
	;; [unrolled: 1-line block ×4, first 2 shown]
	s_delay_alu instid0(VALU_DEP_1) | instskip(SKIP_1) | instid1(SALU_CYCLE_1)
	v_cmp_ge_u64_e32 vcc_lo, v[25:26], v[27:28]
	s_or_b32 s5, vcc_lo, s5
	s_and_not1_b32 exec_lo, exec_lo, s5
	s_cbranch_execnz .LBB508_27
; %bb.28:
	s_set_inst_prefetch_distance 0x2
	s_or_b32 exec_lo, exec_lo, s5
.LBB508_29:
	s_mov_b32 s5, 0
	s_mov_b32 s0, exec_lo
	s_delay_alu instid0(VALU_DEP_1)
	v_cmpx_ne_u64_e64 s[18:19], v[25:26]
	s_cbranch_execz .LBB508_31
; %bb.30:
	v_lshlrev_b64 v[25:26], 3, v[25:26]
	s_delay_alu instid0(VALU_DEP_1) | instskip(NEXT) | instid1(VALU_DEP_2)
	v_add_co_u32 v25, vcc_lo, s16, v25
	v_add_co_ci_u32_e32 v26, vcc_lo, s17, v26, vcc_lo
	global_load_b64 v[25:26], v[25:26], off
	s_waitcnt vmcnt(0) lgkmcnt(11)
	v_cmp_le_i64_e32 vcc_lo, v[25:26], v[23:24]
	s_and_b32 s5, vcc_lo, exec_lo
.LBB508_31:
	s_or_b32 exec_lo, exec_lo, s0
	v_cmp_ne_u32_e32 vcc_lo, 1, v35
	s_waitcnt vmcnt(11) lgkmcnt(11)
	v_mov_b32_e32 v23, 0
	v_mov_b32_e32 v24, 0
	s_cbranch_vccnz .LBB508_35
; %bb.32:
	v_dual_mov_b32 v26, s19 :: v_dual_mov_b32 v25, s18
	s_mov_b32 s6, 0
	s_set_inst_prefetch_distance 0x1
	.p2align	6
.LBB508_33:                             ; =>This Inner Loop Header: Depth=1
	s_delay_alu instid0(VALU_DEP_1) | instskip(NEXT) | instid1(VALU_DEP_2)
	v_sub_co_u32 v27, vcc_lo, v25, v23
	v_sub_co_ci_u32_e32 v28, vcc_lo, v26, v24, vcc_lo
	s_delay_alu instid0(VALU_DEP_1) | instskip(SKIP_1) | instid1(VALU_DEP_2)
	v_lshrrev_b64 v[29:30], 1, v[27:28]
	v_lshrrev_b64 v[27:28], 6, v[27:28]
	v_add_co_u32 v29, vcc_lo, v29, v23
	s_delay_alu instid0(VALU_DEP_3) | instskip(NEXT) | instid1(VALU_DEP_2)
	v_add_co_ci_u32_e32 v30, vcc_lo, v30, v24, vcc_lo
	v_add_co_u32 v27, vcc_lo, v29, v27
	s_delay_alu instid0(VALU_DEP_2) | instskip(NEXT) | instid1(VALU_DEP_1)
	v_add_co_ci_u32_e32 v28, vcc_lo, v30, v28, vcc_lo
	v_lshlrev_b64 v[29:30], 3, v[27:28]
	s_delay_alu instid0(VALU_DEP_1) | instskip(NEXT) | instid1(VALU_DEP_2)
	v_add_co_u32 v29, vcc_lo, s16, v29
	v_add_co_ci_u32_e32 v30, vcc_lo, s17, v30, vcc_lo
	v_add_co_u32 v31, vcc_lo, v27, 1
	global_load_b64 v[29:30], v[29:30], off
	s_waitcnt vmcnt(0) lgkmcnt(10)
	v_cmp_lt_i64_e64 s0, v[29:30], v[21:22]
	v_add_co_ci_u32_e32 v29, vcc_lo, 0, v28, vcc_lo
	s_delay_alu instid0(VALU_DEP_2) | instskip(SKIP_1) | instid1(VALU_DEP_3)
	v_cndmask_b32_e64 v26, v28, v26, s0
	v_cndmask_b32_e64 v25, v27, v25, s0
	;; [unrolled: 1-line block ×4, first 2 shown]
	s_delay_alu instid0(VALU_DEP_1) | instskip(SKIP_1) | instid1(SALU_CYCLE_1)
	v_cmp_ge_u64_e32 vcc_lo, v[23:24], v[25:26]
	s_or_b32 s6, vcc_lo, s6
	s_and_not1_b32 exec_lo, exec_lo, s6
	s_cbranch_execnz .LBB508_33
; %bb.34:
	s_set_inst_prefetch_distance 0x2
	s_or_b32 exec_lo, exec_lo, s6
.LBB508_35:
	s_mov_b32 s6, 0
	s_mov_b32 s0, exec_lo
	s_delay_alu instid0(VALU_DEP_1)
	v_cmpx_ne_u64_e64 s[18:19], v[23:24]
	s_cbranch_execz .LBB508_37
; %bb.36:
	v_lshlrev_b64 v[23:24], 3, v[23:24]
	s_delay_alu instid0(VALU_DEP_1) | instskip(NEXT) | instid1(VALU_DEP_2)
	v_add_co_u32 v23, vcc_lo, s16, v23
	v_add_co_ci_u32_e32 v24, vcc_lo, s17, v24, vcc_lo
	global_load_b64 v[23:24], v[23:24], off
	s_waitcnt vmcnt(0) lgkmcnt(10)
	v_cmp_le_i64_e32 vcc_lo, v[23:24], v[21:22]
	s_and_b32 s6, vcc_lo, exec_lo
.LBB508_37:
	s_or_b32 exec_lo, exec_lo, s0
	v_cmp_ne_u32_e32 vcc_lo, 1, v35
	s_waitcnt vmcnt(10) lgkmcnt(10)
	v_mov_b32_e32 v21, 0
	v_mov_b32_e32 v22, 0
	s_cbranch_vccnz .LBB508_41
; %bb.38:
	v_dual_mov_b32 v24, s19 :: v_dual_mov_b32 v23, s18
	s_mov_b32 s7, 0
	s_set_inst_prefetch_distance 0x1
	.p2align	6
.LBB508_39:                             ; =>This Inner Loop Header: Depth=1
	s_delay_alu instid0(VALU_DEP_1) | instskip(NEXT) | instid1(VALU_DEP_2)
	v_sub_co_u32 v25, vcc_lo, v23, v21
	v_sub_co_ci_u32_e32 v26, vcc_lo, v24, v22, vcc_lo
	s_delay_alu instid0(VALU_DEP_1) | instskip(SKIP_1) | instid1(VALU_DEP_2)
	v_lshrrev_b64 v[27:28], 1, v[25:26]
	v_lshrrev_b64 v[25:26], 6, v[25:26]
	v_add_co_u32 v27, vcc_lo, v27, v21
	s_delay_alu instid0(VALU_DEP_3) | instskip(NEXT) | instid1(VALU_DEP_2)
	v_add_co_ci_u32_e32 v28, vcc_lo, v28, v22, vcc_lo
	v_add_co_u32 v25, vcc_lo, v27, v25
	s_delay_alu instid0(VALU_DEP_2) | instskip(NEXT) | instid1(VALU_DEP_1)
	v_add_co_ci_u32_e32 v26, vcc_lo, v28, v26, vcc_lo
	v_lshlrev_b64 v[27:28], 3, v[25:26]
	s_delay_alu instid0(VALU_DEP_1) | instskip(NEXT) | instid1(VALU_DEP_2)
	v_add_co_u32 v27, vcc_lo, s16, v27
	v_add_co_ci_u32_e32 v28, vcc_lo, s17, v28, vcc_lo
	v_add_co_u32 v29, vcc_lo, v25, 1
	global_load_b64 v[27:28], v[27:28], off
	s_waitcnt vmcnt(0) lgkmcnt(9)
	v_cmp_lt_i64_e64 s0, v[27:28], v[19:20]
	v_add_co_ci_u32_e32 v27, vcc_lo, 0, v26, vcc_lo
	s_delay_alu instid0(VALU_DEP_2) | instskip(SKIP_1) | instid1(VALU_DEP_3)
	v_cndmask_b32_e64 v24, v26, v24, s0
	v_cndmask_b32_e64 v23, v25, v23, s0
	;; [unrolled: 1-line block ×4, first 2 shown]
	s_delay_alu instid0(VALU_DEP_1) | instskip(SKIP_1) | instid1(SALU_CYCLE_1)
	v_cmp_ge_u64_e32 vcc_lo, v[21:22], v[23:24]
	s_or_b32 s7, vcc_lo, s7
	s_and_not1_b32 exec_lo, exec_lo, s7
	s_cbranch_execnz .LBB508_39
; %bb.40:
	s_set_inst_prefetch_distance 0x2
	s_or_b32 exec_lo, exec_lo, s7
.LBB508_41:
	s_mov_b32 s7, 0
	s_mov_b32 s0, exec_lo
	s_delay_alu instid0(VALU_DEP_1)
	v_cmpx_ne_u64_e64 s[18:19], v[21:22]
	s_cbranch_execz .LBB508_43
; %bb.42:
	v_lshlrev_b64 v[21:22], 3, v[21:22]
	s_delay_alu instid0(VALU_DEP_1) | instskip(NEXT) | instid1(VALU_DEP_2)
	v_add_co_u32 v21, vcc_lo, s16, v21
	v_add_co_ci_u32_e32 v22, vcc_lo, s17, v22, vcc_lo
	global_load_b64 v[21:22], v[21:22], off
	s_waitcnt vmcnt(0) lgkmcnt(9)
	v_cmp_le_i64_e32 vcc_lo, v[21:22], v[19:20]
	s_and_b32 s7, vcc_lo, exec_lo
.LBB508_43:
	s_or_b32 exec_lo, exec_lo, s0
	v_cmp_ne_u32_e32 vcc_lo, 1, v35
	s_waitcnt vmcnt(9) lgkmcnt(9)
	v_mov_b32_e32 v19, 0
	v_mov_b32_e32 v20, 0
	s_cbranch_vccnz .LBB508_47
; %bb.44:
	v_dual_mov_b32 v22, s19 :: v_dual_mov_b32 v21, s18
	s_mov_b32 s9, 0
	s_set_inst_prefetch_distance 0x1
	.p2align	6
.LBB508_45:                             ; =>This Inner Loop Header: Depth=1
	s_delay_alu instid0(VALU_DEP_1) | instskip(NEXT) | instid1(VALU_DEP_2)
	v_sub_co_u32 v23, vcc_lo, v21, v19
	v_sub_co_ci_u32_e32 v24, vcc_lo, v22, v20, vcc_lo
	s_delay_alu instid0(VALU_DEP_1) | instskip(SKIP_1) | instid1(VALU_DEP_2)
	v_lshrrev_b64 v[25:26], 1, v[23:24]
	v_lshrrev_b64 v[23:24], 6, v[23:24]
	v_add_co_u32 v25, vcc_lo, v25, v19
	s_delay_alu instid0(VALU_DEP_3) | instskip(NEXT) | instid1(VALU_DEP_2)
	v_add_co_ci_u32_e32 v26, vcc_lo, v26, v20, vcc_lo
	v_add_co_u32 v23, vcc_lo, v25, v23
	s_delay_alu instid0(VALU_DEP_2) | instskip(NEXT) | instid1(VALU_DEP_1)
	v_add_co_ci_u32_e32 v24, vcc_lo, v26, v24, vcc_lo
	v_lshlrev_b64 v[25:26], 3, v[23:24]
	s_delay_alu instid0(VALU_DEP_1) | instskip(NEXT) | instid1(VALU_DEP_2)
	v_add_co_u32 v25, vcc_lo, s16, v25
	v_add_co_ci_u32_e32 v26, vcc_lo, s17, v26, vcc_lo
	v_add_co_u32 v27, vcc_lo, v23, 1
	global_load_b64 v[25:26], v[25:26], off
	s_waitcnt vmcnt(0) lgkmcnt(8)
	v_cmp_lt_i64_e64 s0, v[25:26], v[17:18]
	v_add_co_ci_u32_e32 v25, vcc_lo, 0, v24, vcc_lo
	s_delay_alu instid0(VALU_DEP_2) | instskip(SKIP_1) | instid1(VALU_DEP_3)
	v_cndmask_b32_e64 v22, v24, v22, s0
	v_cndmask_b32_e64 v21, v23, v21, s0
	v_cndmask_b32_e64 v20, v20, v25, s0
	v_cndmask_b32_e64 v19, v19, v27, s0
	s_delay_alu instid0(VALU_DEP_1) | instskip(SKIP_1) | instid1(SALU_CYCLE_1)
	v_cmp_ge_u64_e32 vcc_lo, v[19:20], v[21:22]
	s_or_b32 s9, vcc_lo, s9
	s_and_not1_b32 exec_lo, exec_lo, s9
	s_cbranch_execnz .LBB508_45
; %bb.46:
	s_set_inst_prefetch_distance 0x2
	s_or_b32 exec_lo, exec_lo, s9
.LBB508_47:
	s_mov_b32 s9, 0
	s_mov_b32 s0, exec_lo
	s_delay_alu instid0(VALU_DEP_1)
	v_cmpx_ne_u64_e64 s[18:19], v[19:20]
	s_cbranch_execz .LBB508_49
; %bb.48:
	v_lshlrev_b64 v[19:20], 3, v[19:20]
	s_delay_alu instid0(VALU_DEP_1) | instskip(NEXT) | instid1(VALU_DEP_2)
	v_add_co_u32 v19, vcc_lo, s16, v19
	v_add_co_ci_u32_e32 v20, vcc_lo, s17, v20, vcc_lo
	global_load_b64 v[19:20], v[19:20], off
	s_waitcnt vmcnt(0) lgkmcnt(8)
	v_cmp_le_i64_e32 vcc_lo, v[19:20], v[17:18]
	s_and_b32 s9, vcc_lo, exec_lo
.LBB508_49:
	s_or_b32 exec_lo, exec_lo, s0
	v_cmp_ne_u32_e32 vcc_lo, 1, v35
	s_waitcnt vmcnt(8) lgkmcnt(8)
	v_mov_b32_e32 v17, 0
	v_mov_b32_e32 v18, 0
	s_cbranch_vccnz .LBB508_53
; %bb.50:
	v_dual_mov_b32 v20, s19 :: v_dual_mov_b32 v19, s18
	s_mov_b32 s10, 0
	s_set_inst_prefetch_distance 0x1
	.p2align	6
.LBB508_51:                             ; =>This Inner Loop Header: Depth=1
	s_delay_alu instid0(VALU_DEP_1) | instskip(NEXT) | instid1(VALU_DEP_2)
	v_sub_co_u32 v21, vcc_lo, v19, v17
	v_sub_co_ci_u32_e32 v22, vcc_lo, v20, v18, vcc_lo
	s_delay_alu instid0(VALU_DEP_1) | instskip(SKIP_1) | instid1(VALU_DEP_2)
	v_lshrrev_b64 v[23:24], 1, v[21:22]
	v_lshrrev_b64 v[21:22], 6, v[21:22]
	v_add_co_u32 v23, vcc_lo, v23, v17
	s_delay_alu instid0(VALU_DEP_3) | instskip(NEXT) | instid1(VALU_DEP_2)
	v_add_co_ci_u32_e32 v24, vcc_lo, v24, v18, vcc_lo
	v_add_co_u32 v21, vcc_lo, v23, v21
	s_delay_alu instid0(VALU_DEP_2) | instskip(NEXT) | instid1(VALU_DEP_1)
	v_add_co_ci_u32_e32 v22, vcc_lo, v24, v22, vcc_lo
	v_lshlrev_b64 v[23:24], 3, v[21:22]
	s_delay_alu instid0(VALU_DEP_1) | instskip(NEXT) | instid1(VALU_DEP_2)
	v_add_co_u32 v23, vcc_lo, s16, v23
	v_add_co_ci_u32_e32 v24, vcc_lo, s17, v24, vcc_lo
	v_add_co_u32 v25, vcc_lo, v21, 1
	global_load_b64 v[23:24], v[23:24], off
	s_waitcnt vmcnt(0) lgkmcnt(7)
	v_cmp_lt_i64_e64 s0, v[23:24], v[15:16]
	v_add_co_ci_u32_e32 v23, vcc_lo, 0, v22, vcc_lo
	s_delay_alu instid0(VALU_DEP_2) | instskip(SKIP_1) | instid1(VALU_DEP_3)
	v_cndmask_b32_e64 v20, v22, v20, s0
	v_cndmask_b32_e64 v19, v21, v19, s0
	v_cndmask_b32_e64 v18, v18, v23, s0
	v_cndmask_b32_e64 v17, v17, v25, s0
	s_delay_alu instid0(VALU_DEP_1) | instskip(SKIP_1) | instid1(SALU_CYCLE_1)
	v_cmp_ge_u64_e32 vcc_lo, v[17:18], v[19:20]
	s_or_b32 s10, vcc_lo, s10
	s_and_not1_b32 exec_lo, exec_lo, s10
	s_cbranch_execnz .LBB508_51
; %bb.52:
	s_set_inst_prefetch_distance 0x2
	s_or_b32 exec_lo, exec_lo, s10
.LBB508_53:
	v_mov_b32_e32 v19, 0
	s_mov_b32 s0, exec_lo
	s_delay_alu instid0(VALU_DEP_2)
	v_cmpx_ne_u64_e64 s[18:19], v[17:18]
	s_cbranch_execz .LBB508_55
; %bb.54:
	v_lshlrev_b64 v[17:18], 3, v[17:18]
	s_delay_alu instid0(VALU_DEP_1) | instskip(NEXT) | instid1(VALU_DEP_2)
	v_add_co_u32 v17, vcc_lo, s16, v17
	v_add_co_ci_u32_e32 v18, vcc_lo, s17, v18, vcc_lo
	global_load_b64 v[17:18], v[17:18], off
	s_waitcnt vmcnt(0) lgkmcnt(7)
	v_cmp_le_i64_e32 vcc_lo, v[17:18], v[15:16]
	v_cndmask_b32_e64 v19, 0, 1, vcc_lo
.LBB508_55:
	s_or_b32 exec_lo, exec_lo, s0
	v_cmp_ne_u32_e32 vcc_lo, 1, v35
	s_waitcnt vmcnt(7) lgkmcnt(7)
	v_mov_b32_e32 v15, 0
	v_mov_b32_e32 v16, 0
	s_cbranch_vccnz .LBB508_59
; %bb.56:
	v_dual_mov_b32 v17, s18 :: v_dual_mov_b32 v18, s19
	s_mov_b32 s10, 0
	s_set_inst_prefetch_distance 0x1
	.p2align	6
.LBB508_57:                             ; =>This Inner Loop Header: Depth=1
	s_delay_alu instid0(VALU_DEP_1) | instskip(NEXT) | instid1(VALU_DEP_2)
	v_sub_co_u32 v20, vcc_lo, v17, v15
	v_sub_co_ci_u32_e32 v21, vcc_lo, v18, v16, vcc_lo
	s_delay_alu instid0(VALU_DEP_1) | instskip(SKIP_1) | instid1(VALU_DEP_2)
	v_lshrrev_b64 v[22:23], 1, v[20:21]
	v_lshrrev_b64 v[20:21], 6, v[20:21]
	v_add_co_u32 v22, vcc_lo, v22, v15
	s_delay_alu instid0(VALU_DEP_3) | instskip(NEXT) | instid1(VALU_DEP_2)
	v_add_co_ci_u32_e32 v23, vcc_lo, v23, v16, vcc_lo
	v_add_co_u32 v20, vcc_lo, v22, v20
	s_delay_alu instid0(VALU_DEP_2) | instskip(NEXT) | instid1(VALU_DEP_1)
	v_add_co_ci_u32_e32 v21, vcc_lo, v23, v21, vcc_lo
	v_lshlrev_b64 v[22:23], 3, v[20:21]
	s_delay_alu instid0(VALU_DEP_1) | instskip(NEXT) | instid1(VALU_DEP_2)
	v_add_co_u32 v22, vcc_lo, s16, v22
	v_add_co_ci_u32_e32 v23, vcc_lo, s17, v23, vcc_lo
	v_add_co_u32 v24, vcc_lo, v20, 1
	global_load_b64 v[22:23], v[22:23], off
	s_waitcnt vmcnt(0) lgkmcnt(6)
	v_cmp_lt_i64_e64 s0, v[22:23], v[13:14]
	v_add_co_ci_u32_e32 v22, vcc_lo, 0, v21, vcc_lo
	s_delay_alu instid0(VALU_DEP_2) | instskip(SKIP_1) | instid1(VALU_DEP_3)
	v_cndmask_b32_e64 v18, v21, v18, s0
	v_cndmask_b32_e64 v17, v20, v17, s0
	;; [unrolled: 1-line block ×4, first 2 shown]
	s_delay_alu instid0(VALU_DEP_1) | instskip(SKIP_1) | instid1(SALU_CYCLE_1)
	v_cmp_ge_u64_e32 vcc_lo, v[15:16], v[17:18]
	s_or_b32 s10, vcc_lo, s10
	s_and_not1_b32 exec_lo, exec_lo, s10
	s_cbranch_execnz .LBB508_57
; %bb.58:
	s_set_inst_prefetch_distance 0x2
	s_or_b32 exec_lo, exec_lo, s10
.LBB508_59:
	v_mov_b32_e32 v17, 0
	s_mov_b32 s0, exec_lo
	s_delay_alu instid0(VALU_DEP_2)
	v_cmpx_ne_u64_e64 s[18:19], v[15:16]
	s_cbranch_execz .LBB508_61
; %bb.60:
	v_lshlrev_b64 v[15:16], 3, v[15:16]
	s_delay_alu instid0(VALU_DEP_1) | instskip(NEXT) | instid1(VALU_DEP_2)
	v_add_co_u32 v15, vcc_lo, s16, v15
	v_add_co_ci_u32_e32 v16, vcc_lo, s17, v16, vcc_lo
	global_load_b64 v[15:16], v[15:16], off
	s_waitcnt vmcnt(0) lgkmcnt(6)
	v_cmp_le_i64_e32 vcc_lo, v[15:16], v[13:14]
	v_cndmask_b32_e64 v17, 0, 1, vcc_lo
.LBB508_61:
	s_or_b32 exec_lo, exec_lo, s0
	v_cmp_ne_u32_e32 vcc_lo, 1, v35
	s_waitcnt vmcnt(6) lgkmcnt(6)
	v_mov_b32_e32 v13, 0
	v_mov_b32_e32 v14, 0
	s_cbranch_vccnz .LBB508_65
; %bb.62:
	v_dual_mov_b32 v15, s18 :: v_dual_mov_b32 v16, s19
	s_mov_b32 s10, 0
	s_set_inst_prefetch_distance 0x1
	.p2align	6
.LBB508_63:                             ; =>This Inner Loop Header: Depth=1
	s_delay_alu instid0(VALU_DEP_1) | instskip(NEXT) | instid1(VALU_DEP_2)
	v_sub_co_u32 v20, vcc_lo, v15, v13
	v_sub_co_ci_u32_e32 v21, vcc_lo, v16, v14, vcc_lo
	s_delay_alu instid0(VALU_DEP_1) | instskip(SKIP_1) | instid1(VALU_DEP_2)
	v_lshrrev_b64 v[22:23], 1, v[20:21]
	v_lshrrev_b64 v[20:21], 6, v[20:21]
	v_add_co_u32 v18, vcc_lo, v22, v13
	s_delay_alu instid0(VALU_DEP_3) | instskip(NEXT) | instid1(VALU_DEP_2)
	v_add_co_ci_u32_e32 v22, vcc_lo, v23, v14, vcc_lo
	v_add_co_u32 v20, vcc_lo, v18, v20
	s_delay_alu instid0(VALU_DEP_2) | instskip(NEXT) | instid1(VALU_DEP_1)
	v_add_co_ci_u32_e32 v21, vcc_lo, v22, v21, vcc_lo
	v_lshlrev_b64 v[22:23], 3, v[20:21]
	s_delay_alu instid0(VALU_DEP_1) | instskip(NEXT) | instid1(VALU_DEP_2)
	v_add_co_u32 v22, vcc_lo, s16, v22
	v_add_co_ci_u32_e32 v23, vcc_lo, s17, v23, vcc_lo
	v_add_co_u32 v18, vcc_lo, v20, 1
	global_load_b64 v[22:23], v[22:23], off
	s_waitcnt vmcnt(0) lgkmcnt(5)
	v_cmp_lt_i64_e64 s0, v[22:23], v[11:12]
	v_add_co_ci_u32_e32 v22, vcc_lo, 0, v21, vcc_lo
	s_delay_alu instid0(VALU_DEP_2) | instskip(SKIP_1) | instid1(VALU_DEP_3)
	v_cndmask_b32_e64 v16, v21, v16, s0
	v_cndmask_b32_e64 v15, v20, v15, s0
	v_cndmask_b32_e64 v14, v14, v22, s0
	v_cndmask_b32_e64 v13, v13, v18, s0
	s_delay_alu instid0(VALU_DEP_1) | instskip(SKIP_1) | instid1(SALU_CYCLE_1)
	v_cmp_ge_u64_e32 vcc_lo, v[13:14], v[15:16]
	s_or_b32 s10, vcc_lo, s10
	s_and_not1_b32 exec_lo, exec_lo, s10
	s_cbranch_execnz .LBB508_63
; %bb.64:
	s_set_inst_prefetch_distance 0x2
	s_or_b32 exec_lo, exec_lo, s10
.LBB508_65:
	v_mov_b32_e32 v15, 0
	s_mov_b32 s0, exec_lo
	s_delay_alu instid0(VALU_DEP_2)
	v_cmpx_ne_u64_e64 s[18:19], v[13:14]
	s_cbranch_execz .LBB508_67
; %bb.66:
	v_lshlrev_b64 v[13:14], 3, v[13:14]
	s_delay_alu instid0(VALU_DEP_1) | instskip(NEXT) | instid1(VALU_DEP_2)
	v_add_co_u32 v13, vcc_lo, s16, v13
	v_add_co_ci_u32_e32 v14, vcc_lo, s17, v14, vcc_lo
	global_load_b64 v[13:14], v[13:14], off
	s_waitcnt vmcnt(0) lgkmcnt(5)
	v_cmp_le_i64_e32 vcc_lo, v[13:14], v[11:12]
	v_cndmask_b32_e64 v15, 0, 1, vcc_lo
.LBB508_67:
	s_or_b32 exec_lo, exec_lo, s0
	v_cmp_ne_u32_e32 vcc_lo, 1, v35
	s_waitcnt vmcnt(5) lgkmcnt(5)
	v_mov_b32_e32 v11, 0
	v_mov_b32_e32 v12, 0
	s_cbranch_vccnz .LBB508_71
; %bb.68:
	v_dual_mov_b32 v13, s18 :: v_dual_mov_b32 v14, s19
	s_mov_b32 s10, 0
	s_set_inst_prefetch_distance 0x1
	.p2align	6
.LBB508_69:                             ; =>This Inner Loop Header: Depth=1
	s_delay_alu instid0(VALU_DEP_1) | instskip(NEXT) | instid1(VALU_DEP_2)
	v_sub_co_u32 v20, vcc_lo, v13, v11
	v_sub_co_ci_u32_e32 v21, vcc_lo, v14, v12, vcc_lo
	s_delay_alu instid0(VALU_DEP_1) | instskip(SKIP_1) | instid1(VALU_DEP_2)
	v_lshrrev_b64 v[22:23], 1, v[20:21]
	v_lshrrev_b64 v[20:21], 6, v[20:21]
	v_add_co_u32 v16, vcc_lo, v22, v11
	s_delay_alu instid0(VALU_DEP_3) | instskip(NEXT) | instid1(VALU_DEP_2)
	v_add_co_ci_u32_e32 v18, vcc_lo, v23, v12, vcc_lo
	v_add_co_u32 v20, vcc_lo, v16, v20
	s_delay_alu instid0(VALU_DEP_2) | instskip(NEXT) | instid1(VALU_DEP_1)
	v_add_co_ci_u32_e32 v21, vcc_lo, v18, v21, vcc_lo
	v_lshlrev_b64 v[22:23], 3, v[20:21]
	s_delay_alu instid0(VALU_DEP_1) | instskip(NEXT) | instid1(VALU_DEP_2)
	v_add_co_u32 v22, vcc_lo, s16, v22
	v_add_co_ci_u32_e32 v23, vcc_lo, s17, v23, vcc_lo
	v_add_co_u32 v16, vcc_lo, v20, 1
	v_add_co_ci_u32_e32 v18, vcc_lo, 0, v21, vcc_lo
	global_load_b64 v[22:23], v[22:23], off
	s_waitcnt vmcnt(0) lgkmcnt(4)
	v_cmp_lt_i64_e64 s0, v[22:23], v[9:10]
	s_delay_alu instid0(VALU_DEP_1) | instskip(SKIP_3) | instid1(VALU_DEP_1)
	v_cndmask_b32_e64 v14, v21, v14, s0
	v_cndmask_b32_e64 v13, v20, v13, s0
	;; [unrolled: 1-line block ×4, first 2 shown]
	v_cmp_ge_u64_e32 vcc_lo, v[11:12], v[13:14]
	s_or_b32 s10, vcc_lo, s10
	s_delay_alu instid0(SALU_CYCLE_1)
	s_and_not1_b32 exec_lo, exec_lo, s10
	s_cbranch_execnz .LBB508_69
; %bb.70:
	s_set_inst_prefetch_distance 0x2
	s_or_b32 exec_lo, exec_lo, s10
.LBB508_71:
	v_mov_b32_e32 v13, 0
	s_mov_b32 s0, exec_lo
	s_delay_alu instid0(VALU_DEP_2)
	v_cmpx_ne_u64_e64 s[18:19], v[11:12]
	s_cbranch_execz .LBB508_73
; %bb.72:
	v_lshlrev_b64 v[11:12], 3, v[11:12]
	s_delay_alu instid0(VALU_DEP_1) | instskip(NEXT) | instid1(VALU_DEP_2)
	v_add_co_u32 v11, vcc_lo, s16, v11
	v_add_co_ci_u32_e32 v12, vcc_lo, s17, v12, vcc_lo
	global_load_b64 v[11:12], v[11:12], off
	s_waitcnt vmcnt(0) lgkmcnt(4)
	v_cmp_le_i64_e32 vcc_lo, v[11:12], v[9:10]
	v_cndmask_b32_e64 v13, 0, 1, vcc_lo
.LBB508_73:
	s_or_b32 exec_lo, exec_lo, s0
	v_cmp_ne_u32_e32 vcc_lo, 1, v35
	s_waitcnt vmcnt(4) lgkmcnt(4)
	v_mov_b32_e32 v9, 0
	v_mov_b32_e32 v10, 0
	s_cbranch_vccnz .LBB508_77
; %bb.74:
	v_dual_mov_b32 v11, s18 :: v_dual_mov_b32 v12, s19
	s_mov_b32 s10, 0
	s_set_inst_prefetch_distance 0x1
	.p2align	6
.LBB508_75:                             ; =>This Inner Loop Header: Depth=1
	s_delay_alu instid0(VALU_DEP_1) | instskip(NEXT) | instid1(VALU_DEP_2)
	v_sub_co_u32 v20, vcc_lo, v11, v9
	v_sub_co_ci_u32_e32 v21, vcc_lo, v12, v10, vcc_lo
	s_delay_alu instid0(VALU_DEP_1) | instskip(SKIP_1) | instid1(VALU_DEP_2)
	v_lshrrev_b64 v[22:23], 1, v[20:21]
	v_lshrrev_b64 v[20:21], 6, v[20:21]
	v_add_co_u32 v14, vcc_lo, v22, v9
	s_delay_alu instid0(VALU_DEP_3) | instskip(NEXT) | instid1(VALU_DEP_2)
	v_add_co_ci_u32_e32 v16, vcc_lo, v23, v10, vcc_lo
	v_add_co_u32 v20, vcc_lo, v14, v20
	s_delay_alu instid0(VALU_DEP_2) | instskip(NEXT) | instid1(VALU_DEP_1)
	v_add_co_ci_u32_e32 v21, vcc_lo, v16, v21, vcc_lo
	v_lshlrev_b64 v[22:23], 3, v[20:21]
	s_delay_alu instid0(VALU_DEP_1) | instskip(NEXT) | instid1(VALU_DEP_2)
	v_add_co_u32 v22, vcc_lo, s16, v22
	v_add_co_ci_u32_e32 v23, vcc_lo, s17, v23, vcc_lo
	v_add_co_u32 v14, vcc_lo, v20, 1
	v_add_co_ci_u32_e32 v16, vcc_lo, 0, v21, vcc_lo
	global_load_b64 v[22:23], v[22:23], off
	s_waitcnt vmcnt(0) lgkmcnt(3)
	v_cmp_lt_i64_e64 s0, v[22:23], v[7:8]
	s_delay_alu instid0(VALU_DEP_1) | instskip(SKIP_3) | instid1(VALU_DEP_1)
	v_cndmask_b32_e64 v12, v21, v12, s0
	v_cndmask_b32_e64 v11, v20, v11, s0
	;; [unrolled: 1-line block ×4, first 2 shown]
	v_cmp_ge_u64_e32 vcc_lo, v[9:10], v[11:12]
	s_or_b32 s10, vcc_lo, s10
	s_delay_alu instid0(SALU_CYCLE_1)
	s_and_not1_b32 exec_lo, exec_lo, s10
	s_cbranch_execnz .LBB508_75
; %bb.76:
	s_set_inst_prefetch_distance 0x2
	s_or_b32 exec_lo, exec_lo, s10
.LBB508_77:
	v_mov_b32_e32 v11, 0
	s_mov_b32 s0, exec_lo
	s_delay_alu instid0(VALU_DEP_2)
	v_cmpx_ne_u64_e64 s[18:19], v[9:10]
	s_cbranch_execz .LBB508_79
; %bb.78:
	v_lshlrev_b64 v[9:10], 3, v[9:10]
	s_delay_alu instid0(VALU_DEP_1) | instskip(NEXT) | instid1(VALU_DEP_2)
	v_add_co_u32 v9, vcc_lo, s16, v9
	v_add_co_ci_u32_e32 v10, vcc_lo, s17, v10, vcc_lo
	global_load_b64 v[9:10], v[9:10], off
	s_waitcnt vmcnt(0) lgkmcnt(3)
	v_cmp_le_i64_e32 vcc_lo, v[9:10], v[7:8]
	v_cndmask_b32_e64 v11, 0, 1, vcc_lo
.LBB508_79:
	s_or_b32 exec_lo, exec_lo, s0
	v_cmp_ne_u32_e32 vcc_lo, 1, v35
	s_waitcnt vmcnt(3) lgkmcnt(3)
	v_mov_b32_e32 v7, 0
	v_mov_b32_e32 v8, 0
	s_cbranch_vccnz .LBB508_83
; %bb.80:
	v_dual_mov_b32 v9, s18 :: v_dual_mov_b32 v10, s19
	s_mov_b32 s10, 0
	s_set_inst_prefetch_distance 0x1
	.p2align	6
.LBB508_81:                             ; =>This Inner Loop Header: Depth=1
	s_delay_alu instid0(VALU_DEP_1) | instskip(NEXT) | instid1(VALU_DEP_2)
	v_sub_co_u32 v20, vcc_lo, v9, v7
	v_sub_co_ci_u32_e32 v21, vcc_lo, v10, v8, vcc_lo
	s_delay_alu instid0(VALU_DEP_1) | instskip(SKIP_1) | instid1(VALU_DEP_2)
	v_lshrrev_b64 v[22:23], 1, v[20:21]
	v_lshrrev_b64 v[20:21], 6, v[20:21]
	v_add_co_u32 v12, vcc_lo, v22, v7
	s_delay_alu instid0(VALU_DEP_3) | instskip(NEXT) | instid1(VALU_DEP_2)
	v_add_co_ci_u32_e32 v14, vcc_lo, v23, v8, vcc_lo
	v_add_co_u32 v20, vcc_lo, v12, v20
	s_delay_alu instid0(VALU_DEP_2) | instskip(NEXT) | instid1(VALU_DEP_1)
	v_add_co_ci_u32_e32 v21, vcc_lo, v14, v21, vcc_lo
	v_lshlrev_b64 v[22:23], 3, v[20:21]
	s_delay_alu instid0(VALU_DEP_1) | instskip(NEXT) | instid1(VALU_DEP_2)
	v_add_co_u32 v22, vcc_lo, s16, v22
	v_add_co_ci_u32_e32 v23, vcc_lo, s17, v23, vcc_lo
	v_add_co_u32 v12, vcc_lo, v20, 1
	v_add_co_ci_u32_e32 v14, vcc_lo, 0, v21, vcc_lo
	global_load_b64 v[22:23], v[22:23], off
	s_waitcnt vmcnt(0) lgkmcnt(2)
	v_cmp_lt_i64_e64 s0, v[22:23], v[5:6]
	s_delay_alu instid0(VALU_DEP_1) | instskip(SKIP_3) | instid1(VALU_DEP_1)
	v_cndmask_b32_e64 v10, v21, v10, s0
	v_cndmask_b32_e64 v9, v20, v9, s0
	;; [unrolled: 1-line block ×4, first 2 shown]
	v_cmp_ge_u64_e32 vcc_lo, v[7:8], v[9:10]
	s_or_b32 s10, vcc_lo, s10
	s_delay_alu instid0(SALU_CYCLE_1)
	s_and_not1_b32 exec_lo, exec_lo, s10
	s_cbranch_execnz .LBB508_81
; %bb.82:
	s_set_inst_prefetch_distance 0x2
	s_or_b32 exec_lo, exec_lo, s10
.LBB508_83:
	v_mov_b32_e32 v9, 0
	s_mov_b32 s0, exec_lo
	s_delay_alu instid0(VALU_DEP_2)
	v_cmpx_ne_u64_e64 s[18:19], v[7:8]
	s_cbranch_execz .LBB508_85
; %bb.84:
	v_lshlrev_b64 v[7:8], 3, v[7:8]
	s_delay_alu instid0(VALU_DEP_1) | instskip(NEXT) | instid1(VALU_DEP_2)
	v_add_co_u32 v7, vcc_lo, s16, v7
	v_add_co_ci_u32_e32 v8, vcc_lo, s17, v8, vcc_lo
	global_load_b64 v[7:8], v[7:8], off
	s_waitcnt vmcnt(0) lgkmcnt(2)
	v_cmp_le_i64_e32 vcc_lo, v[7:8], v[5:6]
	v_cndmask_b32_e64 v9, 0, 1, vcc_lo
.LBB508_85:
	s_or_b32 exec_lo, exec_lo, s0
	v_cmp_ne_u32_e32 vcc_lo, 1, v35
	s_waitcnt vmcnt(2) lgkmcnt(2)
	v_mov_b32_e32 v5, 0
	v_mov_b32_e32 v6, 0
	s_cbranch_vccnz .LBB508_89
; %bb.86:
	v_dual_mov_b32 v7, s18 :: v_dual_mov_b32 v8, s19
	s_mov_b32 s10, 0
	s_set_inst_prefetch_distance 0x1
	.p2align	6
.LBB508_87:                             ; =>This Inner Loop Header: Depth=1
	s_delay_alu instid0(VALU_DEP_1) | instskip(NEXT) | instid1(VALU_DEP_2)
	v_sub_co_u32 v20, vcc_lo, v7, v5
	v_sub_co_ci_u32_e32 v21, vcc_lo, v8, v6, vcc_lo
	s_delay_alu instid0(VALU_DEP_1) | instskip(SKIP_1) | instid1(VALU_DEP_2)
	v_lshrrev_b64 v[22:23], 1, v[20:21]
	v_lshrrev_b64 v[20:21], 6, v[20:21]
	v_add_co_u32 v10, vcc_lo, v22, v5
	s_delay_alu instid0(VALU_DEP_3) | instskip(NEXT) | instid1(VALU_DEP_2)
	v_add_co_ci_u32_e32 v12, vcc_lo, v23, v6, vcc_lo
	v_add_co_u32 v20, vcc_lo, v10, v20
	s_delay_alu instid0(VALU_DEP_2) | instskip(NEXT) | instid1(VALU_DEP_1)
	v_add_co_ci_u32_e32 v21, vcc_lo, v12, v21, vcc_lo
	v_lshlrev_b64 v[22:23], 3, v[20:21]
	s_delay_alu instid0(VALU_DEP_1) | instskip(NEXT) | instid1(VALU_DEP_2)
	v_add_co_u32 v22, vcc_lo, s16, v22
	v_add_co_ci_u32_e32 v23, vcc_lo, s17, v23, vcc_lo
	v_add_co_u32 v10, vcc_lo, v20, 1
	v_add_co_ci_u32_e32 v12, vcc_lo, 0, v21, vcc_lo
	global_load_b64 v[22:23], v[22:23], off
	s_waitcnt vmcnt(0) lgkmcnt(1)
	v_cmp_lt_i64_e64 s0, v[22:23], v[3:4]
	s_delay_alu instid0(VALU_DEP_1) | instskip(SKIP_3) | instid1(VALU_DEP_1)
	v_cndmask_b32_e64 v8, v21, v8, s0
	v_cndmask_b32_e64 v7, v20, v7, s0
	;; [unrolled: 1-line block ×4, first 2 shown]
	v_cmp_ge_u64_e32 vcc_lo, v[5:6], v[7:8]
	s_or_b32 s10, vcc_lo, s10
	s_delay_alu instid0(SALU_CYCLE_1)
	s_and_not1_b32 exec_lo, exec_lo, s10
	s_cbranch_execnz .LBB508_87
; %bb.88:
	s_set_inst_prefetch_distance 0x2
	s_or_b32 exec_lo, exec_lo, s10
.LBB508_89:
	v_mov_b32_e32 v7, 0
	s_mov_b32 s0, exec_lo
	s_delay_alu instid0(VALU_DEP_2)
	v_cmpx_ne_u64_e64 s[18:19], v[5:6]
	s_cbranch_execz .LBB508_91
; %bb.90:
	v_lshlrev_b64 v[5:6], 3, v[5:6]
	s_delay_alu instid0(VALU_DEP_1) | instskip(NEXT) | instid1(VALU_DEP_2)
	v_add_co_u32 v5, vcc_lo, s16, v5
	v_add_co_ci_u32_e32 v6, vcc_lo, s17, v6, vcc_lo
	global_load_b64 v[5:6], v[5:6], off
	s_waitcnt vmcnt(0) lgkmcnt(1)
	v_cmp_le_i64_e32 vcc_lo, v[5:6], v[3:4]
	v_cndmask_b32_e64 v7, 0, 1, vcc_lo
.LBB508_91:
	s_or_b32 exec_lo, exec_lo, s0
	v_cmp_ne_u32_e32 vcc_lo, 1, v35
	s_waitcnt vmcnt(1) lgkmcnt(1)
	v_mov_b32_e32 v3, 0
	v_mov_b32_e32 v4, 0
	s_cbranch_vccnz .LBB508_95
; %bb.92:
	v_dual_mov_b32 v5, s18 :: v_dual_mov_b32 v6, s19
	s_mov_b32 s10, 0
	s_set_inst_prefetch_distance 0x1
	.p2align	6
.LBB508_93:                             ; =>This Inner Loop Header: Depth=1
	s_delay_alu instid0(VALU_DEP_1) | instskip(NEXT) | instid1(VALU_DEP_2)
	v_sub_co_u32 v20, vcc_lo, v5, v3
	v_sub_co_ci_u32_e32 v21, vcc_lo, v6, v4, vcc_lo
	s_delay_alu instid0(VALU_DEP_1) | instskip(SKIP_1) | instid1(VALU_DEP_2)
	v_lshrrev_b64 v[22:23], 1, v[20:21]
	v_lshrrev_b64 v[20:21], 6, v[20:21]
	v_add_co_u32 v8, vcc_lo, v22, v3
	s_delay_alu instid0(VALU_DEP_3) | instskip(NEXT) | instid1(VALU_DEP_2)
	v_add_co_ci_u32_e32 v10, vcc_lo, v23, v4, vcc_lo
	v_add_co_u32 v20, vcc_lo, v8, v20
	s_delay_alu instid0(VALU_DEP_2) | instskip(NEXT) | instid1(VALU_DEP_1)
	v_add_co_ci_u32_e32 v21, vcc_lo, v10, v21, vcc_lo
	v_lshlrev_b64 v[22:23], 3, v[20:21]
	s_delay_alu instid0(VALU_DEP_1) | instskip(NEXT) | instid1(VALU_DEP_2)
	v_add_co_u32 v22, vcc_lo, s16, v22
	v_add_co_ci_u32_e32 v23, vcc_lo, s17, v23, vcc_lo
	v_add_co_u32 v8, vcc_lo, v20, 1
	v_add_co_ci_u32_e32 v10, vcc_lo, 0, v21, vcc_lo
	global_load_b64 v[22:23], v[22:23], off
	s_waitcnt vmcnt(0) lgkmcnt(0)
	v_cmp_lt_i64_e64 s0, v[22:23], v[1:2]
	s_delay_alu instid0(VALU_DEP_1) | instskip(SKIP_3) | instid1(VALU_DEP_1)
	v_cndmask_b32_e64 v6, v21, v6, s0
	v_cndmask_b32_e64 v5, v20, v5, s0
	;; [unrolled: 1-line block ×4, first 2 shown]
	v_cmp_ge_u64_e32 vcc_lo, v[3:4], v[5:6]
	s_or_b32 s10, vcc_lo, s10
	s_delay_alu instid0(SALU_CYCLE_1)
	s_and_not1_b32 exec_lo, exec_lo, s10
	s_cbranch_execnz .LBB508_93
; %bb.94:
	s_set_inst_prefetch_distance 0x2
	s_or_b32 exec_lo, exec_lo, s10
.LBB508_95:
	v_mov_b32_e32 v5, 0
	s_mov_b32 s0, exec_lo
	s_delay_alu instid0(VALU_DEP_2)
	v_cmpx_ne_u64_e64 s[18:19], v[3:4]
	s_cbranch_execz .LBB508_97
; %bb.96:
	v_lshlrev_b64 v[3:4], 3, v[3:4]
	s_delay_alu instid0(VALU_DEP_1) | instskip(NEXT) | instid1(VALU_DEP_2)
	v_add_co_u32 v3, vcc_lo, s16, v3
	v_add_co_ci_u32_e32 v4, vcc_lo, s17, v4, vcc_lo
	global_load_b64 v[3:4], v[3:4], off
	s_waitcnt vmcnt(0) lgkmcnt(0)
	v_cmp_le_i64_e32 vcc_lo, v[3:4], v[1:2]
	v_cndmask_b32_e64 v5, 0, 1, vcc_lo
.LBB508_97:
	s_or_b32 exec_lo, exec_lo, s0
	s_waitcnt vmcnt(0) lgkmcnt(0)
	v_lshlrev_b32_e32 v1, 2, v0
	v_cndmask_b32_e64 v8, 0, 1, s7
	v_cndmask_b32_e64 v10, 0, 1, s6
	s_lshl_b64 s[6:7], s[20:21], 2
	v_cndmask_b32_e64 v3, 0, 1, s2
	s_add_u32 s0, s22, s6
	s_addc_u32 s2, s23, s7
	v_add_co_u32 v1, s0, s0, v1
	s_delay_alu instid0(VALU_DEP_1)
	v_add_co_ci_u32_e64 v2, null, s2, 0, s0
	v_cndmask_b32_e64 v4, 0, 1, s3
	v_cndmask_b32_e64 v14, 0, 1, s4
	s_clause 0x2
	flat_store_b32 v[1:2], v3 offset:1024
	flat_store_b32 v[1:2], v4 offset:2048
	flat_store_b32 v[1:2], v14 offset:3072
	v_add_co_u32 v3, vcc_lo, 0x1000, v1
	v_add_co_ci_u32_e32 v4, vcc_lo, 0, v2, vcc_lo
	v_add_co_u32 v20, vcc_lo, 0x2000, v1
	v_add_co_ci_u32_e32 v21, vcc_lo, 0, v2, vcc_lo
	v_add_co_u32 v22, vcc_lo, 0x3000, v1
	v_cndmask_b32_e64 v12, 0, 1, s5
	v_cndmask_b32_e64 v16, 0, 1, s1
	v_add_co_ci_u32_e32 v23, vcc_lo, 0, v2, vcc_lo
	v_cndmask_b32_e64 v6, 0, 1, s9
	s_clause 0x9
	flat_store_b32 v[3:4], v12
	flat_store_b32 v[3:4], v10 offset:1024
	flat_store_b32 v[3:4], v8 offset:2048
	;; [unrolled: 1-line block ×3, first 2 shown]
	flat_store_b32 v[20:21], v19
	flat_store_b32 v[20:21], v17 offset:1024
	flat_store_b32 v[20:21], v15 offset:2048
	;; [unrolled: 1-line block ×3, first 2 shown]
	flat_store_b32 v[22:23], v11
	flat_store_b32 v[22:23], v9 offset:1024
	s_mov_b32 s24, -1
	s_clause 0x1
	flat_store_b32 v[1:2], v16
	flat_store_b32 v[22:23], v7 offset:2048
	s_branch .LBB508_276
.LBB508_98:
	s_mov_b32 s24, s21
                                        ; implicit-def: $vgpr5
                                        ; implicit-def: $vgpr1_vgpr2
	s_and_b32 vcc_lo, exec_lo, s0
	s_cbranch_vccz .LBB508_276
; %bb.99:
	s_sub_i32 s15, s8, s20
                                        ; implicit-def: $vgpr31_vgpr32
	s_delay_alu instid0(SALU_CYCLE_1) | instskip(NEXT) | instid1(VALU_DEP_1)
	v_cmp_gt_u32_e64 s0, s15, v0
	s_and_saveexec_b32 s1, s0
	s_cbranch_execz .LBB508_101
; %bb.100:
	v_lshlrev_b32_e32 v1, 3, v0
	s_delay_alu instid0(VALU_DEP_1) | instskip(NEXT) | instid1(VALU_DEP_1)
	v_add_co_u32 v1, s2, s25, v1
	v_add_co_ci_u32_e64 v2, null, s26, 0, s2
	flat_load_b64 v[31:32], v[1:2]
.LBB508_101:
	s_or_b32 exec_lo, exec_lo, s1
	v_or_b32_e32 v1, 0x100, v0
                                        ; implicit-def: $vgpr29_vgpr30
	s_delay_alu instid0(VALU_DEP_1) | instskip(NEXT) | instid1(VALU_DEP_1)
	v_cmp_gt_u32_e64 s1, s15, v1
	s_and_saveexec_b32 s2, s1
	s_cbranch_execz .LBB508_103
; %bb.102:
	v_lshlrev_b32_e32 v1, 3, v0
	s_delay_alu instid0(VALU_DEP_1) | instskip(NEXT) | instid1(VALU_DEP_1)
	v_add_co_u32 v1, s3, s25, v1
	v_add_co_ci_u32_e64 v2, null, s26, 0, s3
	flat_load_b64 v[29:30], v[1:2] offset:2048
.LBB508_103:
	s_or_b32 exec_lo, exec_lo, s2
	v_or_b32_e32 v1, 0x200, v0
                                        ; implicit-def: $vgpr27_vgpr28
	s_delay_alu instid0(VALU_DEP_1) | instskip(NEXT) | instid1(VALU_DEP_1)
	v_cmp_gt_u32_e64 s2, s15, v1
	s_and_saveexec_b32 s3, s2
	s_cbranch_execz .LBB508_105
; %bb.104:
	v_lshlrev_b32_e32 v1, 3, v1
	s_delay_alu instid0(VALU_DEP_1) | instskip(NEXT) | instid1(VALU_DEP_1)
	v_add_co_u32 v1, s4, s25, v1
	v_add_co_ci_u32_e64 v2, null, s26, 0, s4
	flat_load_b64 v[27:28], v[1:2]
.LBB508_105:
	s_or_b32 exec_lo, exec_lo, s3
	v_or_b32_e32 v1, 0x300, v0
                                        ; implicit-def: $vgpr25_vgpr26
	s_delay_alu instid0(VALU_DEP_1) | instskip(NEXT) | instid1(VALU_DEP_1)
	v_cmp_gt_u32_e64 s3, s15, v1
	s_and_saveexec_b32 s4, s3
	s_cbranch_execz .LBB508_107
; %bb.106:
	v_lshlrev_b32_e32 v1, 3, v1
	s_delay_alu instid0(VALU_DEP_1) | instskip(NEXT) | instid1(VALU_DEP_1)
	v_add_co_u32 v1, s5, s25, v1
	v_add_co_ci_u32_e64 v2, null, s26, 0, s5
	flat_load_b64 v[25:26], v[1:2]
.LBB508_107:
	s_or_b32 exec_lo, exec_lo, s4
	v_or_b32_e32 v1, 0x400, v0
                                        ; implicit-def: $vgpr23_vgpr24
	s_delay_alu instid0(VALU_DEP_1) | instskip(NEXT) | instid1(VALU_DEP_1)
	v_cmp_gt_u32_e64 s4, s15, v1
	s_and_saveexec_b32 s5, s4
	s_cbranch_execz .LBB508_109
; %bb.108:
	v_lshlrev_b32_e32 v1, 3, v1
	s_delay_alu instid0(VALU_DEP_1) | instskip(NEXT) | instid1(VALU_DEP_1)
	v_add_co_u32 v1, s6, s25, v1
	v_add_co_ci_u32_e64 v2, null, s26, 0, s6
	flat_load_b64 v[23:24], v[1:2]
.LBB508_109:
	s_or_b32 exec_lo, exec_lo, s5
	v_or_b32_e32 v1, 0x500, v0
                                        ; implicit-def: $vgpr21_vgpr22
	s_delay_alu instid0(VALU_DEP_1) | instskip(NEXT) | instid1(VALU_DEP_1)
	v_cmp_gt_u32_e64 s5, s15, v1
	s_and_saveexec_b32 s6, s5
	s_cbranch_execz .LBB508_111
; %bb.110:
	v_lshlrev_b32_e32 v1, 3, v1
	s_delay_alu instid0(VALU_DEP_1) | instskip(NEXT) | instid1(VALU_DEP_1)
	v_add_co_u32 v1, s7, s25, v1
	v_add_co_ci_u32_e64 v2, null, s26, 0, s7
	flat_load_b64 v[21:22], v[1:2]
.LBB508_111:
	s_or_b32 exec_lo, exec_lo, s6
	v_or_b32_e32 v1, 0x600, v0
                                        ; implicit-def: $vgpr19_vgpr20
	s_delay_alu instid0(VALU_DEP_1) | instskip(NEXT) | instid1(VALU_DEP_1)
	v_cmp_gt_u32_e64 s6, s15, v1
	s_and_saveexec_b32 s7, s6
	s_cbranch_execz .LBB508_113
; %bb.112:
	v_lshlrev_b32_e32 v1, 3, v1
	s_delay_alu instid0(VALU_DEP_1) | instskip(NEXT) | instid1(VALU_DEP_1)
	v_add_co_u32 v1, s8, s25, v1
	v_add_co_ci_u32_e64 v2, null, s26, 0, s8
	flat_load_b64 v[19:20], v[1:2]
.LBB508_113:
	s_or_b32 exec_lo, exec_lo, s7
	v_or_b32_e32 v1, 0x700, v0
                                        ; implicit-def: $vgpr17_vgpr18
	s_delay_alu instid0(VALU_DEP_1) | instskip(NEXT) | instid1(VALU_DEP_1)
	v_cmp_gt_u32_e64 s7, s15, v1
	s_and_saveexec_b32 s8, s7
	s_cbranch_execz .LBB508_115
; %bb.114:
	v_lshlrev_b32_e32 v1, 3, v1
	s_delay_alu instid0(VALU_DEP_1) | instskip(NEXT) | instid1(VALU_DEP_1)
	v_add_co_u32 v1, s9, s25, v1
	v_add_co_ci_u32_e64 v2, null, s26, 0, s9
	flat_load_b64 v[17:18], v[1:2]
.LBB508_115:
	s_or_b32 exec_lo, exec_lo, s8
	v_or_b32_e32 v1, 0x800, v0
                                        ; implicit-def: $vgpr15_vgpr16
	s_delay_alu instid0(VALU_DEP_1) | instskip(NEXT) | instid1(VALU_DEP_1)
	v_cmp_gt_u32_e64 s8, s15, v1
	s_and_saveexec_b32 s9, s8
	s_cbranch_execz .LBB508_117
; %bb.116:
	v_lshlrev_b32_e32 v1, 3, v1
	s_delay_alu instid0(VALU_DEP_1) | instskip(NEXT) | instid1(VALU_DEP_1)
	v_add_co_u32 v1, s10, s25, v1
	v_add_co_ci_u32_e64 v2, null, s26, 0, s10
	flat_load_b64 v[15:16], v[1:2]
.LBB508_117:
	s_or_b32 exec_lo, exec_lo, s9
	v_or_b32_e32 v1, 0x900, v0
                                        ; implicit-def: $vgpr13_vgpr14
	s_delay_alu instid0(VALU_DEP_1) | instskip(NEXT) | instid1(VALU_DEP_1)
	v_cmp_gt_u32_e64 s9, s15, v1
	s_and_saveexec_b32 s10, s9
	s_cbranch_execz .LBB508_119
; %bb.118:
	v_lshlrev_b32_e32 v1, 3, v1
	s_delay_alu instid0(VALU_DEP_1) | instskip(NEXT) | instid1(VALU_DEP_1)
	v_add_co_u32 v1, s11, s25, v1
	v_add_co_ci_u32_e64 v2, null, s26, 0, s11
	flat_load_b64 v[13:14], v[1:2]
.LBB508_119:
	s_or_b32 exec_lo, exec_lo, s10
	v_or_b32_e32 v1, 0xa00, v0
                                        ; implicit-def: $vgpr11_vgpr12
	s_delay_alu instid0(VALU_DEP_1) | instskip(NEXT) | instid1(VALU_DEP_1)
	v_cmp_gt_u32_e64 s10, s15, v1
	s_and_saveexec_b32 s11, s10
	s_cbranch_execz .LBB508_121
; %bb.120:
	v_lshlrev_b32_e32 v1, 3, v1
	s_delay_alu instid0(VALU_DEP_1) | instskip(NEXT) | instid1(VALU_DEP_1)
	v_add_co_u32 v1, s12, s25, v1
	v_add_co_ci_u32_e64 v2, null, s26, 0, s12
	flat_load_b64 v[11:12], v[1:2]
.LBB508_121:
	s_or_b32 exec_lo, exec_lo, s11
	v_or_b32_e32 v1, 0xb00, v0
                                        ; implicit-def: $vgpr9_vgpr10
	s_delay_alu instid0(VALU_DEP_1) | instskip(NEXT) | instid1(VALU_DEP_1)
	v_cmp_gt_u32_e64 s11, s15, v1
	s_and_saveexec_b32 s12, s11
	s_cbranch_execz .LBB508_123
; %bb.122:
	v_lshlrev_b32_e32 v1, 3, v1
	s_delay_alu instid0(VALU_DEP_1) | instskip(NEXT) | instid1(VALU_DEP_1)
	v_add_co_u32 v1, s13, s25, v1
	v_add_co_ci_u32_e64 v2, null, s26, 0, s13
	flat_load_b64 v[9:10], v[1:2]
.LBB508_123:
	s_or_b32 exec_lo, exec_lo, s12
	v_or_b32_e32 v1, 0xc00, v0
                                        ; implicit-def: $vgpr7_vgpr8
	s_delay_alu instid0(VALU_DEP_1) | instskip(NEXT) | instid1(VALU_DEP_1)
	v_cmp_gt_u32_e64 s12, s15, v1
	s_and_saveexec_b32 s13, s12
	s_cbranch_execz .LBB508_125
; %bb.124:
	v_lshlrev_b32_e32 v1, 3, v1
	s_delay_alu instid0(VALU_DEP_1) | instskip(NEXT) | instid1(VALU_DEP_1)
	v_add_co_u32 v1, s14, s25, v1
	v_add_co_ci_u32_e64 v2, null, s26, 0, s14
	flat_load_b64 v[7:8], v[1:2]
.LBB508_125:
	s_or_b32 exec_lo, exec_lo, s13
	v_or_b32_e32 v1, 0xd00, v0
                                        ; implicit-def: $vgpr5_vgpr6
	s_delay_alu instid0(VALU_DEP_1) | instskip(NEXT) | instid1(VALU_DEP_1)
	v_cmp_gt_u32_e64 s13, s15, v1
	s_and_saveexec_b32 s14, s13
	s_cbranch_execz .LBB508_127
; %bb.126:
	v_lshlrev_b32_e32 v1, 3, v1
	s_delay_alu instid0(VALU_DEP_1) | instskip(NEXT) | instid1(VALU_DEP_1)
	v_add_co_u32 v1, s24, s25, v1
	v_add_co_ci_u32_e64 v2, null, s26, 0, s24
	flat_load_b64 v[5:6], v[1:2]
.LBB508_127:
	s_or_b32 exec_lo, exec_lo, s14
	v_or_b32_e32 v1, 0xe00, v0
                                        ; implicit-def: $vgpr3_vgpr4
	s_delay_alu instid0(VALU_DEP_1) | instskip(NEXT) | instid1(VALU_DEP_1)
	v_cmp_gt_u32_e64 s14, s15, v1
	s_and_saveexec_b32 s24, s14
	s_cbranch_execz .LBB508_129
; %bb.128:
	v_lshlrev_b32_e32 v1, 3, v1
	s_delay_alu instid0(VALU_DEP_1) | instskip(NEXT) | instid1(VALU_DEP_1)
	v_add_co_u32 v1, s27, s25, v1
	v_add_co_ci_u32_e64 v2, null, s26, 0, s27
	flat_load_b64 v[3:4], v[1:2]
.LBB508_129:
	s_or_b32 exec_lo, exec_lo, s24
	v_or_b32_e32 v33, 0xf00, v0
                                        ; implicit-def: $vgpr1_vgpr2
	s_delay_alu instid0(VALU_DEP_1) | instskip(NEXT) | instid1(VALU_DEP_1)
	v_cmp_gt_u32_e64 s24, s15, v33
	s_and_saveexec_b32 s15, s24
	s_cbranch_execz .LBB508_131
; %bb.130:
	v_lshlrev_b32_e32 v1, 3, v33
	s_delay_alu instid0(VALU_DEP_1) | instskip(NEXT) | instid1(VALU_DEP_1)
	v_add_co_u32 v1, s25, s25, v1
	v_add_co_ci_u32_e64 v2, null, s26, 0, s25
	flat_load_b64 v[1:2], v[1:2]
.LBB508_131:
	s_or_b32 exec_lo, exec_lo, s15
	s_cmp_lg_u64 s[18:19], 0
                                        ; implicit-def: $vgpr35
	s_cselect_b32 s25, -1, 0
	s_and_saveexec_b32 s26, s0
	s_cbranch_execnz .LBB508_147
; %bb.132:
	s_or_b32 exec_lo, exec_lo, s26
                                        ; implicit-def: $vgpr33
	s_and_saveexec_b32 s26, s1
	s_cbranch_execnz .LBB508_154
.LBB508_133:
	s_or_b32 exec_lo, exec_lo, s26
                                        ; implicit-def: $vgpr31
	s_and_saveexec_b32 s26, s2
	s_cbranch_execnz .LBB508_161
.LBB508_134:
	s_or_b32 exec_lo, exec_lo, s26
                                        ; implicit-def: $vgpr29
	s_and_saveexec_b32 s26, s3
	s_cbranch_execnz .LBB508_168
.LBB508_135:
	s_or_b32 exec_lo, exec_lo, s26
                                        ; implicit-def: $vgpr27
	s_and_saveexec_b32 s26, s4
	s_cbranch_execnz .LBB508_175
.LBB508_136:
	s_or_b32 exec_lo, exec_lo, s26
                                        ; implicit-def: $vgpr25
	s_and_saveexec_b32 s26, s5
	s_cbranch_execnz .LBB508_182
.LBB508_137:
	s_or_b32 exec_lo, exec_lo, s26
                                        ; implicit-def: $vgpr23
	s_and_saveexec_b32 s26, s6
	s_cbranch_execnz .LBB508_189
.LBB508_138:
	s_or_b32 exec_lo, exec_lo, s26
                                        ; implicit-def: $vgpr21
	s_and_saveexec_b32 s26, s7
	s_cbranch_execnz .LBB508_196
.LBB508_139:
	s_or_b32 exec_lo, exec_lo, s26
                                        ; implicit-def: $vgpr19
	s_and_saveexec_b32 s26, s8
	s_cbranch_execnz .LBB508_203
.LBB508_140:
	s_or_b32 exec_lo, exec_lo, s26
                                        ; implicit-def: $vgpr17
	s_and_saveexec_b32 s26, s9
	s_cbranch_execnz .LBB508_210
.LBB508_141:
	s_or_b32 exec_lo, exec_lo, s26
                                        ; implicit-def: $vgpr15
	s_and_saveexec_b32 s26, s10
	s_cbranch_execnz .LBB508_217
.LBB508_142:
	s_or_b32 exec_lo, exec_lo, s26
                                        ; implicit-def: $vgpr13
	s_and_saveexec_b32 s26, s11
	s_cbranch_execnz .LBB508_224
.LBB508_143:
	s_or_b32 exec_lo, exec_lo, s26
                                        ; implicit-def: $vgpr11
	s_and_saveexec_b32 s26, s12
	s_cbranch_execnz .LBB508_231
.LBB508_144:
	s_or_b32 exec_lo, exec_lo, s26
                                        ; implicit-def: $vgpr9
	s_and_saveexec_b32 s26, s13
	s_cbranch_execnz .LBB508_238
.LBB508_145:
	s_or_b32 exec_lo, exec_lo, s26
                                        ; implicit-def: $vgpr7
	s_and_saveexec_b32 s26, s14
	s_cbranch_execnz .LBB508_245
.LBB508_146:
	s_or_b32 exec_lo, exec_lo, s26
                                        ; implicit-def: $vgpr5
	s_and_saveexec_b32 s26, s24
	s_cbranch_execnz .LBB508_252
	s_branch .LBB508_259
.LBB508_147:
	v_mov_b32_e32 v33, 0
	v_mov_b32_e32 v34, 0
	s_and_not1_b32 vcc_lo, exec_lo, s25
	s_cbranch_vccnz .LBB508_151
; %bb.148:
	v_dual_mov_b32 v36, s19 :: v_dual_mov_b32 v35, s18
	s_mov_b32 s27, 0
	s_set_inst_prefetch_distance 0x1
	.p2align	6
.LBB508_149:                            ; =>This Inner Loop Header: Depth=1
	s_delay_alu instid0(VALU_DEP_1) | instskip(NEXT) | instid1(VALU_DEP_2)
	v_sub_co_u32 v37, vcc_lo, v35, v33
	v_sub_co_ci_u32_e32 v38, vcc_lo, v36, v34, vcc_lo
	s_delay_alu instid0(VALU_DEP_1) | instskip(SKIP_1) | instid1(VALU_DEP_2)
	v_lshrrev_b64 v[39:40], 1, v[37:38]
	v_lshrrev_b64 v[37:38], 6, v[37:38]
	v_add_co_u32 v39, vcc_lo, v39, v33
	s_delay_alu instid0(VALU_DEP_3) | instskip(NEXT) | instid1(VALU_DEP_2)
	v_add_co_ci_u32_e32 v40, vcc_lo, v40, v34, vcc_lo
	v_add_co_u32 v37, vcc_lo, v39, v37
	s_delay_alu instid0(VALU_DEP_2) | instskip(NEXT) | instid1(VALU_DEP_1)
	v_add_co_ci_u32_e32 v38, vcc_lo, v40, v38, vcc_lo
	v_lshlrev_b64 v[39:40], 3, v[37:38]
	s_delay_alu instid0(VALU_DEP_1) | instskip(NEXT) | instid1(VALU_DEP_2)
	v_add_co_u32 v39, vcc_lo, s16, v39
	v_add_co_ci_u32_e32 v40, vcc_lo, s17, v40, vcc_lo
	v_add_co_u32 v41, vcc_lo, v37, 1
	global_load_b64 v[39:40], v[39:40], off
	s_waitcnt vmcnt(0) lgkmcnt(0)
	v_cmp_lt_i64_e64 s15, v[39:40], v[31:32]
	v_add_co_ci_u32_e32 v39, vcc_lo, 0, v38, vcc_lo
	s_delay_alu instid0(VALU_DEP_2) | instskip(SKIP_1) | instid1(VALU_DEP_3)
	v_cndmask_b32_e64 v36, v38, v36, s15
	v_cndmask_b32_e64 v35, v37, v35, s15
	;; [unrolled: 1-line block ×4, first 2 shown]
	s_delay_alu instid0(VALU_DEP_1) | instskip(SKIP_1) | instid1(SALU_CYCLE_1)
	v_cmp_ge_u64_e32 vcc_lo, v[33:34], v[35:36]
	s_or_b32 s27, vcc_lo, s27
	s_and_not1_b32 exec_lo, exec_lo, s27
	s_cbranch_execnz .LBB508_149
; %bb.150:
	s_set_inst_prefetch_distance 0x2
	s_or_b32 exec_lo, exec_lo, s27
.LBB508_151:
	s_mov_b32 s27, 0
	s_mov_b32 s15, exec_lo
	v_cmpx_ne_u64_e64 s[18:19], v[33:34]
	s_cbranch_execz .LBB508_153
; %bb.152:
	v_lshlrev_b64 v[33:34], 3, v[33:34]
	s_delay_alu instid0(VALU_DEP_1) | instskip(NEXT) | instid1(VALU_DEP_2)
	v_add_co_u32 v33, vcc_lo, s16, v33
	v_add_co_ci_u32_e32 v34, vcc_lo, s17, v34, vcc_lo
	global_load_b64 v[33:34], v[33:34], off
	s_waitcnt vmcnt(0) lgkmcnt(0)
	v_cmp_le_i64_e32 vcc_lo, v[33:34], v[31:32]
	s_and_b32 s27, vcc_lo, exec_lo
.LBB508_153:
	s_or_b32 exec_lo, exec_lo, s15
	v_cndmask_b32_e64 v35, 0, 1, s27
	s_or_b32 exec_lo, exec_lo, s26
                                        ; implicit-def: $vgpr33
	s_and_saveexec_b32 s26, s1
	s_cbranch_execz .LBB508_133
.LBB508_154:
	s_waitcnt vmcnt(0) lgkmcnt(0)
	v_mov_b32_e32 v31, 0
	v_mov_b32_e32 v32, 0
	s_and_not1_b32 vcc_lo, exec_lo, s25
	s_cbranch_vccnz .LBB508_158
; %bb.155:
	v_dual_mov_b32 v34, s19 :: v_dual_mov_b32 v33, s18
	s_mov_b32 s27, 0
	s_set_inst_prefetch_distance 0x1
	.p2align	6
.LBB508_156:                            ; =>This Inner Loop Header: Depth=1
	s_delay_alu instid0(VALU_DEP_1) | instskip(NEXT) | instid1(VALU_DEP_2)
	v_sub_co_u32 v36, vcc_lo, v33, v31
	v_sub_co_ci_u32_e32 v37, vcc_lo, v34, v32, vcc_lo
	s_delay_alu instid0(VALU_DEP_1) | instskip(SKIP_1) | instid1(VALU_DEP_2)
	v_lshrrev_b64 v[38:39], 1, v[36:37]
	v_lshrrev_b64 v[36:37], 6, v[36:37]
	v_add_co_u32 v38, vcc_lo, v38, v31
	s_delay_alu instid0(VALU_DEP_3) | instskip(NEXT) | instid1(VALU_DEP_2)
	v_add_co_ci_u32_e32 v39, vcc_lo, v39, v32, vcc_lo
	v_add_co_u32 v36, vcc_lo, v38, v36
	s_delay_alu instid0(VALU_DEP_2) | instskip(NEXT) | instid1(VALU_DEP_1)
	v_add_co_ci_u32_e32 v37, vcc_lo, v39, v37, vcc_lo
	v_lshlrev_b64 v[38:39], 3, v[36:37]
	s_delay_alu instid0(VALU_DEP_1) | instskip(NEXT) | instid1(VALU_DEP_2)
	v_add_co_u32 v38, vcc_lo, s16, v38
	v_add_co_ci_u32_e32 v39, vcc_lo, s17, v39, vcc_lo
	v_add_co_u32 v40, vcc_lo, v36, 1
	global_load_b64 v[38:39], v[38:39], off
	s_waitcnt vmcnt(0)
	v_cmp_lt_i64_e64 s15, v[38:39], v[29:30]
	v_add_co_ci_u32_e32 v38, vcc_lo, 0, v37, vcc_lo
	s_delay_alu instid0(VALU_DEP_2) | instskip(SKIP_1) | instid1(VALU_DEP_3)
	v_cndmask_b32_e64 v34, v37, v34, s15
	v_cndmask_b32_e64 v33, v36, v33, s15
	;; [unrolled: 1-line block ×4, first 2 shown]
	s_delay_alu instid0(VALU_DEP_1) | instskip(SKIP_1) | instid1(SALU_CYCLE_1)
	v_cmp_ge_u64_e32 vcc_lo, v[31:32], v[33:34]
	s_or_b32 s27, vcc_lo, s27
	s_and_not1_b32 exec_lo, exec_lo, s27
	s_cbranch_execnz .LBB508_156
; %bb.157:
	s_set_inst_prefetch_distance 0x2
	s_or_b32 exec_lo, exec_lo, s27
.LBB508_158:
	s_mov_b32 s27, 0
	s_mov_b32 s15, exec_lo
	v_cmpx_ne_u64_e64 s[18:19], v[31:32]
	s_cbranch_execz .LBB508_160
; %bb.159:
	v_lshlrev_b64 v[31:32], 3, v[31:32]
	s_delay_alu instid0(VALU_DEP_1) | instskip(NEXT) | instid1(VALU_DEP_2)
	v_add_co_u32 v31, vcc_lo, s16, v31
	v_add_co_ci_u32_e32 v32, vcc_lo, s17, v32, vcc_lo
	global_load_b64 v[31:32], v[31:32], off
	s_waitcnt vmcnt(0)
	v_cmp_le_i64_e32 vcc_lo, v[31:32], v[29:30]
	s_and_b32 s27, vcc_lo, exec_lo
.LBB508_160:
	s_or_b32 exec_lo, exec_lo, s15
	v_cndmask_b32_e64 v33, 0, 1, s27
	s_or_b32 exec_lo, exec_lo, s26
                                        ; implicit-def: $vgpr31
	s_and_saveexec_b32 s26, s2
	s_cbranch_execz .LBB508_134
.LBB508_161:
	s_waitcnt vmcnt(0) lgkmcnt(0)
	v_mov_b32_e32 v29, 0
	v_mov_b32_e32 v30, 0
	s_and_not1_b32 vcc_lo, exec_lo, s25
	s_cbranch_vccnz .LBB508_165
; %bb.162:
	v_dual_mov_b32 v32, s19 :: v_dual_mov_b32 v31, s18
	s_mov_b32 s27, 0
	s_set_inst_prefetch_distance 0x1
	.p2align	6
.LBB508_163:                            ; =>This Inner Loop Header: Depth=1
	s_delay_alu instid0(VALU_DEP_1) | instskip(NEXT) | instid1(VALU_DEP_2)
	v_sub_co_u32 v36, vcc_lo, v31, v29
	v_sub_co_ci_u32_e32 v37, vcc_lo, v32, v30, vcc_lo
	s_delay_alu instid0(VALU_DEP_1) | instskip(SKIP_1) | instid1(VALU_DEP_2)
	v_lshrrev_b64 v[38:39], 1, v[36:37]
	v_lshrrev_b64 v[36:37], 6, v[36:37]
	v_add_co_u32 v34, vcc_lo, v38, v29
	s_delay_alu instid0(VALU_DEP_3) | instskip(NEXT) | instid1(VALU_DEP_2)
	v_add_co_ci_u32_e32 v38, vcc_lo, v39, v30, vcc_lo
	v_add_co_u32 v36, vcc_lo, v34, v36
	s_delay_alu instid0(VALU_DEP_2) | instskip(NEXT) | instid1(VALU_DEP_1)
	v_add_co_ci_u32_e32 v37, vcc_lo, v38, v37, vcc_lo
	v_lshlrev_b64 v[38:39], 3, v[36:37]
	s_delay_alu instid0(VALU_DEP_1) | instskip(NEXT) | instid1(VALU_DEP_2)
	v_add_co_u32 v38, vcc_lo, s16, v38
	v_add_co_ci_u32_e32 v39, vcc_lo, s17, v39, vcc_lo
	v_add_co_u32 v34, vcc_lo, v36, 1
	global_load_b64 v[38:39], v[38:39], off
	s_waitcnt vmcnt(0)
	v_cmp_lt_i64_e64 s15, v[38:39], v[27:28]
	v_add_co_ci_u32_e32 v38, vcc_lo, 0, v37, vcc_lo
	s_delay_alu instid0(VALU_DEP_2) | instskip(SKIP_1) | instid1(VALU_DEP_3)
	v_cndmask_b32_e64 v32, v37, v32, s15
	v_cndmask_b32_e64 v31, v36, v31, s15
	;; [unrolled: 1-line block ×4, first 2 shown]
	s_delay_alu instid0(VALU_DEP_1) | instskip(SKIP_1) | instid1(SALU_CYCLE_1)
	v_cmp_ge_u64_e32 vcc_lo, v[29:30], v[31:32]
	s_or_b32 s27, vcc_lo, s27
	s_and_not1_b32 exec_lo, exec_lo, s27
	s_cbranch_execnz .LBB508_163
; %bb.164:
	s_set_inst_prefetch_distance 0x2
	s_or_b32 exec_lo, exec_lo, s27
.LBB508_165:
	s_mov_b32 s27, 0
	s_mov_b32 s15, exec_lo
	v_cmpx_ne_u64_e64 s[18:19], v[29:30]
	s_cbranch_execz .LBB508_167
; %bb.166:
	v_lshlrev_b64 v[29:30], 3, v[29:30]
	s_delay_alu instid0(VALU_DEP_1) | instskip(NEXT) | instid1(VALU_DEP_2)
	v_add_co_u32 v29, vcc_lo, s16, v29
	v_add_co_ci_u32_e32 v30, vcc_lo, s17, v30, vcc_lo
	global_load_b64 v[29:30], v[29:30], off
	s_waitcnt vmcnt(0)
	v_cmp_le_i64_e32 vcc_lo, v[29:30], v[27:28]
	s_and_b32 s27, vcc_lo, exec_lo
.LBB508_167:
	s_or_b32 exec_lo, exec_lo, s15
	v_cndmask_b32_e64 v31, 0, 1, s27
	s_or_b32 exec_lo, exec_lo, s26
                                        ; implicit-def: $vgpr29
	s_and_saveexec_b32 s26, s3
	s_cbranch_execz .LBB508_135
.LBB508_168:
	s_waitcnt vmcnt(0) lgkmcnt(0)
	v_mov_b32_e32 v27, 0
	v_mov_b32_e32 v28, 0
	s_and_not1_b32 vcc_lo, exec_lo, s25
	s_cbranch_vccnz .LBB508_172
; %bb.169:
	v_dual_mov_b32 v30, s19 :: v_dual_mov_b32 v29, s18
	s_mov_b32 s27, 0
	s_set_inst_prefetch_distance 0x1
	.p2align	6
.LBB508_170:                            ; =>This Inner Loop Header: Depth=1
	s_delay_alu instid0(VALU_DEP_1) | instskip(NEXT) | instid1(VALU_DEP_2)
	v_sub_co_u32 v36, vcc_lo, v29, v27
	v_sub_co_ci_u32_e32 v37, vcc_lo, v30, v28, vcc_lo
	s_delay_alu instid0(VALU_DEP_1) | instskip(SKIP_1) | instid1(VALU_DEP_2)
	v_lshrrev_b64 v[38:39], 1, v[36:37]
	v_lshrrev_b64 v[36:37], 6, v[36:37]
	v_add_co_u32 v32, vcc_lo, v38, v27
	s_delay_alu instid0(VALU_DEP_3) | instskip(NEXT) | instid1(VALU_DEP_2)
	v_add_co_ci_u32_e32 v34, vcc_lo, v39, v28, vcc_lo
	v_add_co_u32 v36, vcc_lo, v32, v36
	s_delay_alu instid0(VALU_DEP_2) | instskip(NEXT) | instid1(VALU_DEP_1)
	v_add_co_ci_u32_e32 v37, vcc_lo, v34, v37, vcc_lo
	v_lshlrev_b64 v[38:39], 3, v[36:37]
	s_delay_alu instid0(VALU_DEP_1) | instskip(NEXT) | instid1(VALU_DEP_2)
	v_add_co_u32 v38, vcc_lo, s16, v38
	v_add_co_ci_u32_e32 v39, vcc_lo, s17, v39, vcc_lo
	v_add_co_u32 v32, vcc_lo, v36, 1
	v_add_co_ci_u32_e32 v34, vcc_lo, 0, v37, vcc_lo
	global_load_b64 v[38:39], v[38:39], off
	s_waitcnt vmcnt(0)
	v_cmp_lt_i64_e64 s15, v[38:39], v[25:26]
	s_delay_alu instid0(VALU_DEP_1) | instskip(SKIP_3) | instid1(VALU_DEP_1)
	v_cndmask_b32_e64 v30, v37, v30, s15
	v_cndmask_b32_e64 v29, v36, v29, s15
	;; [unrolled: 1-line block ×4, first 2 shown]
	v_cmp_ge_u64_e32 vcc_lo, v[27:28], v[29:30]
	s_or_b32 s27, vcc_lo, s27
	s_delay_alu instid0(SALU_CYCLE_1)
	s_and_not1_b32 exec_lo, exec_lo, s27
	s_cbranch_execnz .LBB508_170
; %bb.171:
	s_set_inst_prefetch_distance 0x2
	s_or_b32 exec_lo, exec_lo, s27
.LBB508_172:
	s_mov_b32 s27, 0
	s_mov_b32 s15, exec_lo
	v_cmpx_ne_u64_e64 s[18:19], v[27:28]
	s_cbranch_execz .LBB508_174
; %bb.173:
	v_lshlrev_b64 v[27:28], 3, v[27:28]
	s_delay_alu instid0(VALU_DEP_1) | instskip(NEXT) | instid1(VALU_DEP_2)
	v_add_co_u32 v27, vcc_lo, s16, v27
	v_add_co_ci_u32_e32 v28, vcc_lo, s17, v28, vcc_lo
	global_load_b64 v[27:28], v[27:28], off
	s_waitcnt vmcnt(0)
	v_cmp_le_i64_e32 vcc_lo, v[27:28], v[25:26]
	s_and_b32 s27, vcc_lo, exec_lo
.LBB508_174:
	s_or_b32 exec_lo, exec_lo, s15
	v_cndmask_b32_e64 v29, 0, 1, s27
	s_or_b32 exec_lo, exec_lo, s26
                                        ; implicit-def: $vgpr27
	s_and_saveexec_b32 s26, s4
	s_cbranch_execz .LBB508_136
.LBB508_175:
	s_waitcnt vmcnt(0) lgkmcnt(0)
	v_mov_b32_e32 v25, 0
	v_mov_b32_e32 v26, 0
	s_and_not1_b32 vcc_lo, exec_lo, s25
	s_cbranch_vccnz .LBB508_179
; %bb.176:
	v_dual_mov_b32 v28, s19 :: v_dual_mov_b32 v27, s18
	s_mov_b32 s27, 0
	s_set_inst_prefetch_distance 0x1
	.p2align	6
.LBB508_177:                            ; =>This Inner Loop Header: Depth=1
	s_delay_alu instid0(VALU_DEP_1) | instskip(NEXT) | instid1(VALU_DEP_2)
	v_sub_co_u32 v36, vcc_lo, v27, v25
	v_sub_co_ci_u32_e32 v37, vcc_lo, v28, v26, vcc_lo
	s_delay_alu instid0(VALU_DEP_1) | instskip(SKIP_1) | instid1(VALU_DEP_2)
	v_lshrrev_b64 v[38:39], 1, v[36:37]
	v_lshrrev_b64 v[36:37], 6, v[36:37]
	v_add_co_u32 v30, vcc_lo, v38, v25
	s_delay_alu instid0(VALU_DEP_3) | instskip(NEXT) | instid1(VALU_DEP_2)
	v_add_co_ci_u32_e32 v32, vcc_lo, v39, v26, vcc_lo
	v_add_co_u32 v36, vcc_lo, v30, v36
	s_delay_alu instid0(VALU_DEP_2) | instskip(NEXT) | instid1(VALU_DEP_1)
	v_add_co_ci_u32_e32 v37, vcc_lo, v32, v37, vcc_lo
	v_lshlrev_b64 v[38:39], 3, v[36:37]
	s_delay_alu instid0(VALU_DEP_1) | instskip(NEXT) | instid1(VALU_DEP_2)
	v_add_co_u32 v38, vcc_lo, s16, v38
	v_add_co_ci_u32_e32 v39, vcc_lo, s17, v39, vcc_lo
	v_add_co_u32 v30, vcc_lo, v36, 1
	v_add_co_ci_u32_e32 v32, vcc_lo, 0, v37, vcc_lo
	global_load_b64 v[38:39], v[38:39], off
	s_waitcnt vmcnt(0)
	v_cmp_lt_i64_e64 s15, v[38:39], v[23:24]
	s_delay_alu instid0(VALU_DEP_1) | instskip(SKIP_3) | instid1(VALU_DEP_1)
	v_cndmask_b32_e64 v28, v37, v28, s15
	v_cndmask_b32_e64 v27, v36, v27, s15
	;; [unrolled: 1-line block ×4, first 2 shown]
	v_cmp_ge_u64_e32 vcc_lo, v[25:26], v[27:28]
	s_or_b32 s27, vcc_lo, s27
	s_delay_alu instid0(SALU_CYCLE_1)
	s_and_not1_b32 exec_lo, exec_lo, s27
	s_cbranch_execnz .LBB508_177
; %bb.178:
	s_set_inst_prefetch_distance 0x2
	s_or_b32 exec_lo, exec_lo, s27
.LBB508_179:
	s_mov_b32 s27, 0
	s_mov_b32 s15, exec_lo
	v_cmpx_ne_u64_e64 s[18:19], v[25:26]
	s_cbranch_execz .LBB508_181
; %bb.180:
	v_lshlrev_b64 v[25:26], 3, v[25:26]
	s_delay_alu instid0(VALU_DEP_1) | instskip(NEXT) | instid1(VALU_DEP_2)
	v_add_co_u32 v25, vcc_lo, s16, v25
	v_add_co_ci_u32_e32 v26, vcc_lo, s17, v26, vcc_lo
	global_load_b64 v[25:26], v[25:26], off
	s_waitcnt vmcnt(0)
	v_cmp_le_i64_e32 vcc_lo, v[25:26], v[23:24]
	s_and_b32 s27, vcc_lo, exec_lo
.LBB508_181:
	s_or_b32 exec_lo, exec_lo, s15
	v_cndmask_b32_e64 v27, 0, 1, s27
	s_or_b32 exec_lo, exec_lo, s26
                                        ; implicit-def: $vgpr25
	s_and_saveexec_b32 s26, s5
	s_cbranch_execz .LBB508_137
.LBB508_182:
	s_waitcnt vmcnt(0) lgkmcnt(0)
	v_mov_b32_e32 v23, 0
	v_mov_b32_e32 v24, 0
	s_and_not1_b32 vcc_lo, exec_lo, s25
	s_cbranch_vccnz .LBB508_186
; %bb.183:
	v_dual_mov_b32 v26, s19 :: v_dual_mov_b32 v25, s18
	s_mov_b32 s27, 0
	s_set_inst_prefetch_distance 0x1
	.p2align	6
.LBB508_184:                            ; =>This Inner Loop Header: Depth=1
	s_delay_alu instid0(VALU_DEP_1) | instskip(NEXT) | instid1(VALU_DEP_2)
	v_sub_co_u32 v36, vcc_lo, v25, v23
	v_sub_co_ci_u32_e32 v37, vcc_lo, v26, v24, vcc_lo
	s_delay_alu instid0(VALU_DEP_1) | instskip(SKIP_1) | instid1(VALU_DEP_2)
	v_lshrrev_b64 v[38:39], 1, v[36:37]
	v_lshrrev_b64 v[36:37], 6, v[36:37]
	v_add_co_u32 v28, vcc_lo, v38, v23
	s_delay_alu instid0(VALU_DEP_3) | instskip(NEXT) | instid1(VALU_DEP_2)
	v_add_co_ci_u32_e32 v30, vcc_lo, v39, v24, vcc_lo
	v_add_co_u32 v36, vcc_lo, v28, v36
	s_delay_alu instid0(VALU_DEP_2) | instskip(NEXT) | instid1(VALU_DEP_1)
	v_add_co_ci_u32_e32 v37, vcc_lo, v30, v37, vcc_lo
	v_lshlrev_b64 v[38:39], 3, v[36:37]
	s_delay_alu instid0(VALU_DEP_1) | instskip(NEXT) | instid1(VALU_DEP_2)
	v_add_co_u32 v38, vcc_lo, s16, v38
	v_add_co_ci_u32_e32 v39, vcc_lo, s17, v39, vcc_lo
	v_add_co_u32 v28, vcc_lo, v36, 1
	v_add_co_ci_u32_e32 v30, vcc_lo, 0, v37, vcc_lo
	global_load_b64 v[38:39], v[38:39], off
	s_waitcnt vmcnt(0)
	v_cmp_lt_i64_e64 s15, v[38:39], v[21:22]
	s_delay_alu instid0(VALU_DEP_1) | instskip(SKIP_3) | instid1(VALU_DEP_1)
	v_cndmask_b32_e64 v26, v37, v26, s15
	v_cndmask_b32_e64 v25, v36, v25, s15
	;; [unrolled: 1-line block ×4, first 2 shown]
	v_cmp_ge_u64_e32 vcc_lo, v[23:24], v[25:26]
	s_or_b32 s27, vcc_lo, s27
	s_delay_alu instid0(SALU_CYCLE_1)
	s_and_not1_b32 exec_lo, exec_lo, s27
	s_cbranch_execnz .LBB508_184
; %bb.185:
	s_set_inst_prefetch_distance 0x2
	s_or_b32 exec_lo, exec_lo, s27
.LBB508_186:
	s_mov_b32 s27, 0
	s_mov_b32 s15, exec_lo
	v_cmpx_ne_u64_e64 s[18:19], v[23:24]
	s_cbranch_execz .LBB508_188
; %bb.187:
	v_lshlrev_b64 v[23:24], 3, v[23:24]
	s_delay_alu instid0(VALU_DEP_1) | instskip(NEXT) | instid1(VALU_DEP_2)
	v_add_co_u32 v23, vcc_lo, s16, v23
	v_add_co_ci_u32_e32 v24, vcc_lo, s17, v24, vcc_lo
	global_load_b64 v[23:24], v[23:24], off
	s_waitcnt vmcnt(0)
	v_cmp_le_i64_e32 vcc_lo, v[23:24], v[21:22]
	s_and_b32 s27, vcc_lo, exec_lo
.LBB508_188:
	s_or_b32 exec_lo, exec_lo, s15
	v_cndmask_b32_e64 v25, 0, 1, s27
	s_or_b32 exec_lo, exec_lo, s26
                                        ; implicit-def: $vgpr23
	s_and_saveexec_b32 s26, s6
	s_cbranch_execz .LBB508_138
.LBB508_189:
	s_waitcnt vmcnt(0) lgkmcnt(0)
	v_mov_b32_e32 v21, 0
	v_mov_b32_e32 v22, 0
	s_and_not1_b32 vcc_lo, exec_lo, s25
	s_cbranch_vccnz .LBB508_193
; %bb.190:
	v_dual_mov_b32 v24, s19 :: v_dual_mov_b32 v23, s18
	s_mov_b32 s27, 0
	s_set_inst_prefetch_distance 0x1
	.p2align	6
.LBB508_191:                            ; =>This Inner Loop Header: Depth=1
	s_delay_alu instid0(VALU_DEP_1) | instskip(NEXT) | instid1(VALU_DEP_2)
	v_sub_co_u32 v36, vcc_lo, v23, v21
	v_sub_co_ci_u32_e32 v37, vcc_lo, v24, v22, vcc_lo
	s_delay_alu instid0(VALU_DEP_1) | instskip(SKIP_1) | instid1(VALU_DEP_2)
	v_lshrrev_b64 v[38:39], 1, v[36:37]
	v_lshrrev_b64 v[36:37], 6, v[36:37]
	v_add_co_u32 v26, vcc_lo, v38, v21
	s_delay_alu instid0(VALU_DEP_3) | instskip(NEXT) | instid1(VALU_DEP_2)
	v_add_co_ci_u32_e32 v28, vcc_lo, v39, v22, vcc_lo
	v_add_co_u32 v36, vcc_lo, v26, v36
	s_delay_alu instid0(VALU_DEP_2) | instskip(NEXT) | instid1(VALU_DEP_1)
	v_add_co_ci_u32_e32 v37, vcc_lo, v28, v37, vcc_lo
	v_lshlrev_b64 v[38:39], 3, v[36:37]
	s_delay_alu instid0(VALU_DEP_1) | instskip(NEXT) | instid1(VALU_DEP_2)
	v_add_co_u32 v38, vcc_lo, s16, v38
	v_add_co_ci_u32_e32 v39, vcc_lo, s17, v39, vcc_lo
	v_add_co_u32 v26, vcc_lo, v36, 1
	v_add_co_ci_u32_e32 v28, vcc_lo, 0, v37, vcc_lo
	global_load_b64 v[38:39], v[38:39], off
	s_waitcnt vmcnt(0)
	v_cmp_lt_i64_e64 s15, v[38:39], v[19:20]
	s_delay_alu instid0(VALU_DEP_1) | instskip(SKIP_3) | instid1(VALU_DEP_1)
	v_cndmask_b32_e64 v24, v37, v24, s15
	v_cndmask_b32_e64 v23, v36, v23, s15
	;; [unrolled: 1-line block ×4, first 2 shown]
	v_cmp_ge_u64_e32 vcc_lo, v[21:22], v[23:24]
	s_or_b32 s27, vcc_lo, s27
	s_delay_alu instid0(SALU_CYCLE_1)
	s_and_not1_b32 exec_lo, exec_lo, s27
	s_cbranch_execnz .LBB508_191
; %bb.192:
	s_set_inst_prefetch_distance 0x2
	s_or_b32 exec_lo, exec_lo, s27
.LBB508_193:
	s_mov_b32 s27, 0
	s_mov_b32 s15, exec_lo
	v_cmpx_ne_u64_e64 s[18:19], v[21:22]
	s_cbranch_execz .LBB508_195
; %bb.194:
	v_lshlrev_b64 v[21:22], 3, v[21:22]
	s_delay_alu instid0(VALU_DEP_1) | instskip(NEXT) | instid1(VALU_DEP_2)
	v_add_co_u32 v21, vcc_lo, s16, v21
	v_add_co_ci_u32_e32 v22, vcc_lo, s17, v22, vcc_lo
	global_load_b64 v[21:22], v[21:22], off
	s_waitcnt vmcnt(0)
	v_cmp_le_i64_e32 vcc_lo, v[21:22], v[19:20]
	s_and_b32 s27, vcc_lo, exec_lo
.LBB508_195:
	s_or_b32 exec_lo, exec_lo, s15
	v_cndmask_b32_e64 v23, 0, 1, s27
	s_or_b32 exec_lo, exec_lo, s26
                                        ; implicit-def: $vgpr21
	s_and_saveexec_b32 s26, s7
	s_cbranch_execz .LBB508_139
.LBB508_196:
	s_waitcnt vmcnt(0) lgkmcnt(0)
	v_mov_b32_e32 v19, 0
	v_mov_b32_e32 v20, 0
	s_and_not1_b32 vcc_lo, exec_lo, s25
	s_cbranch_vccnz .LBB508_200
; %bb.197:
	v_dual_mov_b32 v22, s19 :: v_dual_mov_b32 v21, s18
	s_mov_b32 s27, 0
	s_set_inst_prefetch_distance 0x1
	.p2align	6
.LBB508_198:                            ; =>This Inner Loop Header: Depth=1
	s_delay_alu instid0(VALU_DEP_1) | instskip(NEXT) | instid1(VALU_DEP_2)
	v_sub_co_u32 v36, vcc_lo, v21, v19
	v_sub_co_ci_u32_e32 v37, vcc_lo, v22, v20, vcc_lo
	s_delay_alu instid0(VALU_DEP_1) | instskip(SKIP_1) | instid1(VALU_DEP_2)
	v_lshrrev_b64 v[38:39], 1, v[36:37]
	v_lshrrev_b64 v[36:37], 6, v[36:37]
	v_add_co_u32 v24, vcc_lo, v38, v19
	s_delay_alu instid0(VALU_DEP_3) | instskip(NEXT) | instid1(VALU_DEP_2)
	v_add_co_ci_u32_e32 v26, vcc_lo, v39, v20, vcc_lo
	v_add_co_u32 v36, vcc_lo, v24, v36
	s_delay_alu instid0(VALU_DEP_2) | instskip(NEXT) | instid1(VALU_DEP_1)
	v_add_co_ci_u32_e32 v37, vcc_lo, v26, v37, vcc_lo
	v_lshlrev_b64 v[38:39], 3, v[36:37]
	s_delay_alu instid0(VALU_DEP_1) | instskip(NEXT) | instid1(VALU_DEP_2)
	v_add_co_u32 v38, vcc_lo, s16, v38
	v_add_co_ci_u32_e32 v39, vcc_lo, s17, v39, vcc_lo
	v_add_co_u32 v24, vcc_lo, v36, 1
	v_add_co_ci_u32_e32 v26, vcc_lo, 0, v37, vcc_lo
	global_load_b64 v[38:39], v[38:39], off
	s_waitcnt vmcnt(0)
	v_cmp_lt_i64_e64 s15, v[38:39], v[17:18]
	s_delay_alu instid0(VALU_DEP_1) | instskip(SKIP_3) | instid1(VALU_DEP_1)
	v_cndmask_b32_e64 v22, v37, v22, s15
	v_cndmask_b32_e64 v21, v36, v21, s15
	;; [unrolled: 1-line block ×4, first 2 shown]
	v_cmp_ge_u64_e32 vcc_lo, v[19:20], v[21:22]
	s_or_b32 s27, vcc_lo, s27
	s_delay_alu instid0(SALU_CYCLE_1)
	s_and_not1_b32 exec_lo, exec_lo, s27
	s_cbranch_execnz .LBB508_198
; %bb.199:
	s_set_inst_prefetch_distance 0x2
	s_or_b32 exec_lo, exec_lo, s27
.LBB508_200:
	s_mov_b32 s27, 0
	s_mov_b32 s15, exec_lo
	v_cmpx_ne_u64_e64 s[18:19], v[19:20]
	s_cbranch_execz .LBB508_202
; %bb.201:
	v_lshlrev_b64 v[19:20], 3, v[19:20]
	s_delay_alu instid0(VALU_DEP_1) | instskip(NEXT) | instid1(VALU_DEP_2)
	v_add_co_u32 v19, vcc_lo, s16, v19
	v_add_co_ci_u32_e32 v20, vcc_lo, s17, v20, vcc_lo
	global_load_b64 v[19:20], v[19:20], off
	s_waitcnt vmcnt(0)
	v_cmp_le_i64_e32 vcc_lo, v[19:20], v[17:18]
	s_and_b32 s27, vcc_lo, exec_lo
.LBB508_202:
	s_or_b32 exec_lo, exec_lo, s15
	v_cndmask_b32_e64 v21, 0, 1, s27
	s_or_b32 exec_lo, exec_lo, s26
                                        ; implicit-def: $vgpr19
	s_and_saveexec_b32 s26, s8
	s_cbranch_execz .LBB508_140
.LBB508_203:
	s_waitcnt vmcnt(0) lgkmcnt(0)
	v_mov_b32_e32 v17, 0
	v_mov_b32_e32 v18, 0
	s_and_not1_b32 vcc_lo, exec_lo, s25
	s_cbranch_vccnz .LBB508_207
; %bb.204:
	v_dual_mov_b32 v20, s19 :: v_dual_mov_b32 v19, s18
	s_mov_b32 s27, 0
	s_set_inst_prefetch_distance 0x1
	.p2align	6
.LBB508_205:                            ; =>This Inner Loop Header: Depth=1
	s_delay_alu instid0(VALU_DEP_1) | instskip(NEXT) | instid1(VALU_DEP_2)
	v_sub_co_u32 v36, vcc_lo, v19, v17
	v_sub_co_ci_u32_e32 v37, vcc_lo, v20, v18, vcc_lo
	s_delay_alu instid0(VALU_DEP_1) | instskip(SKIP_1) | instid1(VALU_DEP_2)
	v_lshrrev_b64 v[38:39], 1, v[36:37]
	v_lshrrev_b64 v[36:37], 6, v[36:37]
	v_add_co_u32 v22, vcc_lo, v38, v17
	s_delay_alu instid0(VALU_DEP_3) | instskip(NEXT) | instid1(VALU_DEP_2)
	v_add_co_ci_u32_e32 v24, vcc_lo, v39, v18, vcc_lo
	v_add_co_u32 v36, vcc_lo, v22, v36
	s_delay_alu instid0(VALU_DEP_2) | instskip(NEXT) | instid1(VALU_DEP_1)
	v_add_co_ci_u32_e32 v37, vcc_lo, v24, v37, vcc_lo
	v_lshlrev_b64 v[38:39], 3, v[36:37]
	s_delay_alu instid0(VALU_DEP_1) | instskip(NEXT) | instid1(VALU_DEP_2)
	v_add_co_u32 v38, vcc_lo, s16, v38
	v_add_co_ci_u32_e32 v39, vcc_lo, s17, v39, vcc_lo
	v_add_co_u32 v22, vcc_lo, v36, 1
	v_add_co_ci_u32_e32 v24, vcc_lo, 0, v37, vcc_lo
	global_load_b64 v[38:39], v[38:39], off
	s_waitcnt vmcnt(0)
	v_cmp_lt_i64_e64 s15, v[38:39], v[15:16]
	s_delay_alu instid0(VALU_DEP_1) | instskip(SKIP_3) | instid1(VALU_DEP_1)
	v_cndmask_b32_e64 v20, v37, v20, s15
	v_cndmask_b32_e64 v19, v36, v19, s15
	;; [unrolled: 1-line block ×4, first 2 shown]
	v_cmp_ge_u64_e32 vcc_lo, v[17:18], v[19:20]
	s_or_b32 s27, vcc_lo, s27
	s_delay_alu instid0(SALU_CYCLE_1)
	s_and_not1_b32 exec_lo, exec_lo, s27
	s_cbranch_execnz .LBB508_205
; %bb.206:
	s_set_inst_prefetch_distance 0x2
	s_or_b32 exec_lo, exec_lo, s27
.LBB508_207:
	s_mov_b32 s27, 0
	s_mov_b32 s15, exec_lo
	v_cmpx_ne_u64_e64 s[18:19], v[17:18]
	s_cbranch_execz .LBB508_209
; %bb.208:
	v_lshlrev_b64 v[17:18], 3, v[17:18]
	s_delay_alu instid0(VALU_DEP_1) | instskip(NEXT) | instid1(VALU_DEP_2)
	v_add_co_u32 v17, vcc_lo, s16, v17
	v_add_co_ci_u32_e32 v18, vcc_lo, s17, v18, vcc_lo
	global_load_b64 v[17:18], v[17:18], off
	s_waitcnt vmcnt(0)
	v_cmp_le_i64_e32 vcc_lo, v[17:18], v[15:16]
	s_and_b32 s27, vcc_lo, exec_lo
.LBB508_209:
	s_or_b32 exec_lo, exec_lo, s15
	v_cndmask_b32_e64 v19, 0, 1, s27
	s_or_b32 exec_lo, exec_lo, s26
                                        ; implicit-def: $vgpr17
	s_and_saveexec_b32 s26, s9
	s_cbranch_execz .LBB508_141
.LBB508_210:
	s_waitcnt vmcnt(0) lgkmcnt(0)
	v_mov_b32_e32 v15, 0
	v_mov_b32_e32 v16, 0
	s_and_not1_b32 vcc_lo, exec_lo, s25
	s_cbranch_vccnz .LBB508_214
; %bb.211:
	v_dual_mov_b32 v17, s18 :: v_dual_mov_b32 v18, s19
	s_mov_b32 s27, 0
	s_set_inst_prefetch_distance 0x1
	.p2align	6
.LBB508_212:                            ; =>This Inner Loop Header: Depth=1
	s_delay_alu instid0(VALU_DEP_1) | instskip(NEXT) | instid1(VALU_DEP_2)
	v_sub_co_u32 v36, vcc_lo, v17, v15
	v_sub_co_ci_u32_e32 v37, vcc_lo, v18, v16, vcc_lo
	s_delay_alu instid0(VALU_DEP_1) | instskip(SKIP_1) | instid1(VALU_DEP_2)
	v_lshrrev_b64 v[38:39], 1, v[36:37]
	v_lshrrev_b64 v[36:37], 6, v[36:37]
	v_add_co_u32 v20, vcc_lo, v38, v15
	s_delay_alu instid0(VALU_DEP_3) | instskip(NEXT) | instid1(VALU_DEP_2)
	v_add_co_ci_u32_e32 v22, vcc_lo, v39, v16, vcc_lo
	v_add_co_u32 v36, vcc_lo, v20, v36
	s_delay_alu instid0(VALU_DEP_2) | instskip(NEXT) | instid1(VALU_DEP_1)
	v_add_co_ci_u32_e32 v37, vcc_lo, v22, v37, vcc_lo
	v_lshlrev_b64 v[38:39], 3, v[36:37]
	s_delay_alu instid0(VALU_DEP_1) | instskip(NEXT) | instid1(VALU_DEP_2)
	v_add_co_u32 v38, vcc_lo, s16, v38
	v_add_co_ci_u32_e32 v39, vcc_lo, s17, v39, vcc_lo
	v_add_co_u32 v20, vcc_lo, v36, 1
	v_add_co_ci_u32_e32 v22, vcc_lo, 0, v37, vcc_lo
	global_load_b64 v[38:39], v[38:39], off
	s_waitcnt vmcnt(0)
	v_cmp_lt_i64_e64 s15, v[38:39], v[13:14]
	s_delay_alu instid0(VALU_DEP_1) | instskip(SKIP_3) | instid1(VALU_DEP_1)
	v_cndmask_b32_e64 v18, v37, v18, s15
	v_cndmask_b32_e64 v17, v36, v17, s15
	;; [unrolled: 1-line block ×4, first 2 shown]
	v_cmp_ge_u64_e32 vcc_lo, v[15:16], v[17:18]
	s_or_b32 s27, vcc_lo, s27
	s_delay_alu instid0(SALU_CYCLE_1)
	s_and_not1_b32 exec_lo, exec_lo, s27
	s_cbranch_execnz .LBB508_212
; %bb.213:
	s_set_inst_prefetch_distance 0x2
	s_or_b32 exec_lo, exec_lo, s27
.LBB508_214:
	s_mov_b32 s27, 0
	s_mov_b32 s15, exec_lo
	v_cmpx_ne_u64_e64 s[18:19], v[15:16]
	s_cbranch_execz .LBB508_216
; %bb.215:
	v_lshlrev_b64 v[15:16], 3, v[15:16]
	s_delay_alu instid0(VALU_DEP_1) | instskip(NEXT) | instid1(VALU_DEP_2)
	v_add_co_u32 v15, vcc_lo, s16, v15
	v_add_co_ci_u32_e32 v16, vcc_lo, s17, v16, vcc_lo
	global_load_b64 v[15:16], v[15:16], off
	s_waitcnt vmcnt(0)
	v_cmp_le_i64_e32 vcc_lo, v[15:16], v[13:14]
	s_and_b32 s27, vcc_lo, exec_lo
.LBB508_216:
	s_or_b32 exec_lo, exec_lo, s15
	v_cndmask_b32_e64 v17, 0, 1, s27
	s_or_b32 exec_lo, exec_lo, s26
                                        ; implicit-def: $vgpr15
	s_and_saveexec_b32 s26, s10
	s_cbranch_execz .LBB508_142
.LBB508_217:
	s_waitcnt vmcnt(0) lgkmcnt(0)
	v_mov_b32_e32 v13, 0
	v_mov_b32_e32 v14, 0
	s_and_not1_b32 vcc_lo, exec_lo, s25
	s_cbranch_vccnz .LBB508_221
; %bb.218:
	v_dual_mov_b32 v15, s18 :: v_dual_mov_b32 v16, s19
	s_mov_b32 s27, 0
	s_set_inst_prefetch_distance 0x1
	.p2align	6
.LBB508_219:                            ; =>This Inner Loop Header: Depth=1
	s_delay_alu instid0(VALU_DEP_1) | instskip(NEXT) | instid1(VALU_DEP_2)
	v_sub_co_u32 v36, vcc_lo, v15, v13
	v_sub_co_ci_u32_e32 v37, vcc_lo, v16, v14, vcc_lo
	s_delay_alu instid0(VALU_DEP_1) | instskip(SKIP_1) | instid1(VALU_DEP_2)
	v_lshrrev_b64 v[38:39], 1, v[36:37]
	v_lshrrev_b64 v[36:37], 6, v[36:37]
	v_add_co_u32 v18, vcc_lo, v38, v13
	s_delay_alu instid0(VALU_DEP_3) | instskip(NEXT) | instid1(VALU_DEP_2)
	v_add_co_ci_u32_e32 v20, vcc_lo, v39, v14, vcc_lo
	v_add_co_u32 v36, vcc_lo, v18, v36
	s_delay_alu instid0(VALU_DEP_2) | instskip(NEXT) | instid1(VALU_DEP_1)
	v_add_co_ci_u32_e32 v37, vcc_lo, v20, v37, vcc_lo
	v_lshlrev_b64 v[38:39], 3, v[36:37]
	s_delay_alu instid0(VALU_DEP_1) | instskip(NEXT) | instid1(VALU_DEP_2)
	v_add_co_u32 v38, vcc_lo, s16, v38
	v_add_co_ci_u32_e32 v39, vcc_lo, s17, v39, vcc_lo
	v_add_co_u32 v18, vcc_lo, v36, 1
	v_add_co_ci_u32_e32 v20, vcc_lo, 0, v37, vcc_lo
	global_load_b64 v[38:39], v[38:39], off
	s_waitcnt vmcnt(0)
	v_cmp_lt_i64_e64 s15, v[38:39], v[11:12]
	s_delay_alu instid0(VALU_DEP_1) | instskip(SKIP_3) | instid1(VALU_DEP_1)
	v_cndmask_b32_e64 v16, v37, v16, s15
	v_cndmask_b32_e64 v15, v36, v15, s15
	;; [unrolled: 1-line block ×4, first 2 shown]
	v_cmp_ge_u64_e32 vcc_lo, v[13:14], v[15:16]
	s_or_b32 s27, vcc_lo, s27
	s_delay_alu instid0(SALU_CYCLE_1)
	s_and_not1_b32 exec_lo, exec_lo, s27
	s_cbranch_execnz .LBB508_219
; %bb.220:
	s_set_inst_prefetch_distance 0x2
	s_or_b32 exec_lo, exec_lo, s27
.LBB508_221:
	s_mov_b32 s27, 0
	s_mov_b32 s15, exec_lo
	v_cmpx_ne_u64_e64 s[18:19], v[13:14]
	s_cbranch_execz .LBB508_223
; %bb.222:
	v_lshlrev_b64 v[13:14], 3, v[13:14]
	s_delay_alu instid0(VALU_DEP_1) | instskip(NEXT) | instid1(VALU_DEP_2)
	v_add_co_u32 v13, vcc_lo, s16, v13
	v_add_co_ci_u32_e32 v14, vcc_lo, s17, v14, vcc_lo
	global_load_b64 v[13:14], v[13:14], off
	s_waitcnt vmcnt(0)
	v_cmp_le_i64_e32 vcc_lo, v[13:14], v[11:12]
	s_and_b32 s27, vcc_lo, exec_lo
.LBB508_223:
	s_or_b32 exec_lo, exec_lo, s15
	v_cndmask_b32_e64 v15, 0, 1, s27
	s_or_b32 exec_lo, exec_lo, s26
                                        ; implicit-def: $vgpr13
	s_and_saveexec_b32 s26, s11
	s_cbranch_execz .LBB508_143
.LBB508_224:
	s_waitcnt vmcnt(0) lgkmcnt(0)
	v_mov_b32_e32 v11, 0
	v_mov_b32_e32 v12, 0
	s_and_not1_b32 vcc_lo, exec_lo, s25
	s_cbranch_vccnz .LBB508_228
; %bb.225:
	v_dual_mov_b32 v13, s18 :: v_dual_mov_b32 v14, s19
	s_mov_b32 s27, 0
	s_set_inst_prefetch_distance 0x1
	.p2align	6
.LBB508_226:                            ; =>This Inner Loop Header: Depth=1
	s_delay_alu instid0(VALU_DEP_1) | instskip(NEXT) | instid1(VALU_DEP_2)
	v_sub_co_u32 v36, vcc_lo, v13, v11
	v_sub_co_ci_u32_e32 v37, vcc_lo, v14, v12, vcc_lo
	s_delay_alu instid0(VALU_DEP_1) | instskip(SKIP_1) | instid1(VALU_DEP_2)
	v_lshrrev_b64 v[38:39], 1, v[36:37]
	v_lshrrev_b64 v[36:37], 6, v[36:37]
	v_add_co_u32 v16, vcc_lo, v38, v11
	s_delay_alu instid0(VALU_DEP_3) | instskip(NEXT) | instid1(VALU_DEP_2)
	v_add_co_ci_u32_e32 v18, vcc_lo, v39, v12, vcc_lo
	v_add_co_u32 v36, vcc_lo, v16, v36
	s_delay_alu instid0(VALU_DEP_2) | instskip(NEXT) | instid1(VALU_DEP_1)
	v_add_co_ci_u32_e32 v37, vcc_lo, v18, v37, vcc_lo
	v_lshlrev_b64 v[38:39], 3, v[36:37]
	s_delay_alu instid0(VALU_DEP_1) | instskip(NEXT) | instid1(VALU_DEP_2)
	v_add_co_u32 v38, vcc_lo, s16, v38
	v_add_co_ci_u32_e32 v39, vcc_lo, s17, v39, vcc_lo
	v_add_co_u32 v16, vcc_lo, v36, 1
	v_add_co_ci_u32_e32 v18, vcc_lo, 0, v37, vcc_lo
	global_load_b64 v[38:39], v[38:39], off
	s_waitcnt vmcnt(0)
	v_cmp_lt_i64_e64 s15, v[38:39], v[9:10]
	s_delay_alu instid0(VALU_DEP_1) | instskip(SKIP_3) | instid1(VALU_DEP_1)
	v_cndmask_b32_e64 v14, v37, v14, s15
	v_cndmask_b32_e64 v13, v36, v13, s15
	;; [unrolled: 1-line block ×4, first 2 shown]
	v_cmp_ge_u64_e32 vcc_lo, v[11:12], v[13:14]
	s_or_b32 s27, vcc_lo, s27
	s_delay_alu instid0(SALU_CYCLE_1)
	s_and_not1_b32 exec_lo, exec_lo, s27
	s_cbranch_execnz .LBB508_226
; %bb.227:
	s_set_inst_prefetch_distance 0x2
	s_or_b32 exec_lo, exec_lo, s27
.LBB508_228:
	s_mov_b32 s27, 0
	s_mov_b32 s15, exec_lo
	v_cmpx_ne_u64_e64 s[18:19], v[11:12]
	s_cbranch_execz .LBB508_230
; %bb.229:
	v_lshlrev_b64 v[11:12], 3, v[11:12]
	s_delay_alu instid0(VALU_DEP_1) | instskip(NEXT) | instid1(VALU_DEP_2)
	v_add_co_u32 v11, vcc_lo, s16, v11
	v_add_co_ci_u32_e32 v12, vcc_lo, s17, v12, vcc_lo
	global_load_b64 v[11:12], v[11:12], off
	s_waitcnt vmcnt(0)
	v_cmp_le_i64_e32 vcc_lo, v[11:12], v[9:10]
	s_and_b32 s27, vcc_lo, exec_lo
.LBB508_230:
	s_or_b32 exec_lo, exec_lo, s15
	v_cndmask_b32_e64 v13, 0, 1, s27
	s_or_b32 exec_lo, exec_lo, s26
                                        ; implicit-def: $vgpr11
	s_and_saveexec_b32 s26, s12
	s_cbranch_execz .LBB508_144
.LBB508_231:
	s_waitcnt vmcnt(0) lgkmcnt(0)
	v_mov_b32_e32 v9, 0
	v_mov_b32_e32 v10, 0
	s_and_not1_b32 vcc_lo, exec_lo, s25
	s_cbranch_vccnz .LBB508_235
; %bb.232:
	v_dual_mov_b32 v11, s18 :: v_dual_mov_b32 v12, s19
	s_mov_b32 s27, 0
	s_set_inst_prefetch_distance 0x1
	.p2align	6
.LBB508_233:                            ; =>This Inner Loop Header: Depth=1
	s_delay_alu instid0(VALU_DEP_1) | instskip(NEXT) | instid1(VALU_DEP_2)
	v_sub_co_u32 v36, vcc_lo, v11, v9
	v_sub_co_ci_u32_e32 v37, vcc_lo, v12, v10, vcc_lo
	s_delay_alu instid0(VALU_DEP_1) | instskip(SKIP_1) | instid1(VALU_DEP_2)
	v_lshrrev_b64 v[38:39], 1, v[36:37]
	v_lshrrev_b64 v[36:37], 6, v[36:37]
	v_add_co_u32 v14, vcc_lo, v38, v9
	s_delay_alu instid0(VALU_DEP_3) | instskip(NEXT) | instid1(VALU_DEP_2)
	v_add_co_ci_u32_e32 v16, vcc_lo, v39, v10, vcc_lo
	v_add_co_u32 v36, vcc_lo, v14, v36
	s_delay_alu instid0(VALU_DEP_2) | instskip(NEXT) | instid1(VALU_DEP_1)
	v_add_co_ci_u32_e32 v37, vcc_lo, v16, v37, vcc_lo
	v_lshlrev_b64 v[38:39], 3, v[36:37]
	s_delay_alu instid0(VALU_DEP_1) | instskip(NEXT) | instid1(VALU_DEP_2)
	v_add_co_u32 v38, vcc_lo, s16, v38
	v_add_co_ci_u32_e32 v39, vcc_lo, s17, v39, vcc_lo
	v_add_co_u32 v14, vcc_lo, v36, 1
	v_add_co_ci_u32_e32 v16, vcc_lo, 0, v37, vcc_lo
	global_load_b64 v[38:39], v[38:39], off
	s_waitcnt vmcnt(0)
	v_cmp_lt_i64_e64 s15, v[38:39], v[7:8]
	s_delay_alu instid0(VALU_DEP_1) | instskip(SKIP_3) | instid1(VALU_DEP_1)
	v_cndmask_b32_e64 v12, v37, v12, s15
	v_cndmask_b32_e64 v11, v36, v11, s15
	;; [unrolled: 1-line block ×4, first 2 shown]
	v_cmp_ge_u64_e32 vcc_lo, v[9:10], v[11:12]
	s_or_b32 s27, vcc_lo, s27
	s_delay_alu instid0(SALU_CYCLE_1)
	s_and_not1_b32 exec_lo, exec_lo, s27
	s_cbranch_execnz .LBB508_233
; %bb.234:
	s_set_inst_prefetch_distance 0x2
	s_or_b32 exec_lo, exec_lo, s27
.LBB508_235:
	s_mov_b32 s27, 0
	s_mov_b32 s15, exec_lo
	v_cmpx_ne_u64_e64 s[18:19], v[9:10]
	s_cbranch_execz .LBB508_237
; %bb.236:
	v_lshlrev_b64 v[9:10], 3, v[9:10]
	s_delay_alu instid0(VALU_DEP_1) | instskip(NEXT) | instid1(VALU_DEP_2)
	v_add_co_u32 v9, vcc_lo, s16, v9
	v_add_co_ci_u32_e32 v10, vcc_lo, s17, v10, vcc_lo
	global_load_b64 v[9:10], v[9:10], off
	s_waitcnt vmcnt(0)
	v_cmp_le_i64_e32 vcc_lo, v[9:10], v[7:8]
	s_and_b32 s27, vcc_lo, exec_lo
.LBB508_237:
	s_or_b32 exec_lo, exec_lo, s15
	v_cndmask_b32_e64 v11, 0, 1, s27
	s_or_b32 exec_lo, exec_lo, s26
                                        ; implicit-def: $vgpr9
	s_and_saveexec_b32 s26, s13
	s_cbranch_execz .LBB508_145
.LBB508_238:
	s_waitcnt vmcnt(0) lgkmcnt(0)
	v_mov_b32_e32 v7, 0
	v_mov_b32_e32 v8, 0
	s_and_not1_b32 vcc_lo, exec_lo, s25
	s_cbranch_vccnz .LBB508_242
; %bb.239:
	v_dual_mov_b32 v9, s18 :: v_dual_mov_b32 v10, s19
	s_mov_b32 s27, 0
	s_set_inst_prefetch_distance 0x1
	.p2align	6
.LBB508_240:                            ; =>This Inner Loop Header: Depth=1
	s_delay_alu instid0(VALU_DEP_1) | instskip(NEXT) | instid1(VALU_DEP_2)
	v_sub_co_u32 v36, vcc_lo, v9, v7
	v_sub_co_ci_u32_e32 v37, vcc_lo, v10, v8, vcc_lo
	s_delay_alu instid0(VALU_DEP_1) | instskip(SKIP_1) | instid1(VALU_DEP_2)
	v_lshrrev_b64 v[38:39], 1, v[36:37]
	v_lshrrev_b64 v[36:37], 6, v[36:37]
	v_add_co_u32 v12, vcc_lo, v38, v7
	s_delay_alu instid0(VALU_DEP_3) | instskip(NEXT) | instid1(VALU_DEP_2)
	v_add_co_ci_u32_e32 v14, vcc_lo, v39, v8, vcc_lo
	v_add_co_u32 v36, vcc_lo, v12, v36
	s_delay_alu instid0(VALU_DEP_2) | instskip(NEXT) | instid1(VALU_DEP_1)
	v_add_co_ci_u32_e32 v37, vcc_lo, v14, v37, vcc_lo
	v_lshlrev_b64 v[38:39], 3, v[36:37]
	s_delay_alu instid0(VALU_DEP_1) | instskip(NEXT) | instid1(VALU_DEP_2)
	v_add_co_u32 v38, vcc_lo, s16, v38
	v_add_co_ci_u32_e32 v39, vcc_lo, s17, v39, vcc_lo
	v_add_co_u32 v12, vcc_lo, v36, 1
	v_add_co_ci_u32_e32 v14, vcc_lo, 0, v37, vcc_lo
	global_load_b64 v[38:39], v[38:39], off
	s_waitcnt vmcnt(0)
	v_cmp_lt_i64_e64 s15, v[38:39], v[5:6]
	s_delay_alu instid0(VALU_DEP_1) | instskip(SKIP_3) | instid1(VALU_DEP_1)
	v_cndmask_b32_e64 v10, v37, v10, s15
	v_cndmask_b32_e64 v9, v36, v9, s15
	v_cndmask_b32_e64 v8, v8, v14, s15
	v_cndmask_b32_e64 v7, v7, v12, s15
	v_cmp_ge_u64_e32 vcc_lo, v[7:8], v[9:10]
	s_or_b32 s27, vcc_lo, s27
	s_delay_alu instid0(SALU_CYCLE_1)
	s_and_not1_b32 exec_lo, exec_lo, s27
	s_cbranch_execnz .LBB508_240
; %bb.241:
	s_set_inst_prefetch_distance 0x2
	s_or_b32 exec_lo, exec_lo, s27
.LBB508_242:
	s_mov_b32 s27, 0
	s_mov_b32 s15, exec_lo
	v_cmpx_ne_u64_e64 s[18:19], v[7:8]
	s_cbranch_execz .LBB508_244
; %bb.243:
	v_lshlrev_b64 v[7:8], 3, v[7:8]
	s_delay_alu instid0(VALU_DEP_1) | instskip(NEXT) | instid1(VALU_DEP_2)
	v_add_co_u32 v7, vcc_lo, s16, v7
	v_add_co_ci_u32_e32 v8, vcc_lo, s17, v8, vcc_lo
	global_load_b64 v[7:8], v[7:8], off
	s_waitcnt vmcnt(0)
	v_cmp_le_i64_e32 vcc_lo, v[7:8], v[5:6]
	s_and_b32 s27, vcc_lo, exec_lo
.LBB508_244:
	s_or_b32 exec_lo, exec_lo, s15
	v_cndmask_b32_e64 v9, 0, 1, s27
	s_or_b32 exec_lo, exec_lo, s26
                                        ; implicit-def: $vgpr7
	s_and_saveexec_b32 s26, s14
	s_cbranch_execz .LBB508_146
.LBB508_245:
	s_waitcnt vmcnt(0) lgkmcnt(0)
	v_mov_b32_e32 v5, 0
	v_mov_b32_e32 v6, 0
	s_and_not1_b32 vcc_lo, exec_lo, s25
	s_cbranch_vccnz .LBB508_249
; %bb.246:
	v_dual_mov_b32 v7, s18 :: v_dual_mov_b32 v8, s19
	s_mov_b32 s27, 0
	s_set_inst_prefetch_distance 0x1
	.p2align	6
.LBB508_247:                            ; =>This Inner Loop Header: Depth=1
	s_delay_alu instid0(VALU_DEP_1) | instskip(NEXT) | instid1(VALU_DEP_2)
	v_sub_co_u32 v36, vcc_lo, v7, v5
	v_sub_co_ci_u32_e32 v37, vcc_lo, v8, v6, vcc_lo
	s_delay_alu instid0(VALU_DEP_1) | instskip(SKIP_1) | instid1(VALU_DEP_2)
	v_lshrrev_b64 v[38:39], 1, v[36:37]
	v_lshrrev_b64 v[36:37], 6, v[36:37]
	v_add_co_u32 v10, vcc_lo, v38, v5
	s_delay_alu instid0(VALU_DEP_3) | instskip(NEXT) | instid1(VALU_DEP_2)
	v_add_co_ci_u32_e32 v12, vcc_lo, v39, v6, vcc_lo
	v_add_co_u32 v36, vcc_lo, v10, v36
	s_delay_alu instid0(VALU_DEP_2) | instskip(NEXT) | instid1(VALU_DEP_1)
	v_add_co_ci_u32_e32 v37, vcc_lo, v12, v37, vcc_lo
	v_lshlrev_b64 v[38:39], 3, v[36:37]
	s_delay_alu instid0(VALU_DEP_1) | instskip(NEXT) | instid1(VALU_DEP_2)
	v_add_co_u32 v38, vcc_lo, s16, v38
	v_add_co_ci_u32_e32 v39, vcc_lo, s17, v39, vcc_lo
	v_add_co_u32 v10, vcc_lo, v36, 1
	v_add_co_ci_u32_e32 v12, vcc_lo, 0, v37, vcc_lo
	global_load_b64 v[38:39], v[38:39], off
	s_waitcnt vmcnt(0)
	v_cmp_lt_i64_e64 s15, v[38:39], v[3:4]
	s_delay_alu instid0(VALU_DEP_1) | instskip(SKIP_3) | instid1(VALU_DEP_1)
	v_cndmask_b32_e64 v8, v37, v8, s15
	v_cndmask_b32_e64 v7, v36, v7, s15
	;; [unrolled: 1-line block ×4, first 2 shown]
	v_cmp_ge_u64_e32 vcc_lo, v[5:6], v[7:8]
	s_or_b32 s27, vcc_lo, s27
	s_delay_alu instid0(SALU_CYCLE_1)
	s_and_not1_b32 exec_lo, exec_lo, s27
	s_cbranch_execnz .LBB508_247
; %bb.248:
	s_set_inst_prefetch_distance 0x2
	s_or_b32 exec_lo, exec_lo, s27
.LBB508_249:
	s_mov_b32 s27, 0
	s_mov_b32 s15, exec_lo
	v_cmpx_ne_u64_e64 s[18:19], v[5:6]
	s_cbranch_execz .LBB508_251
; %bb.250:
	v_lshlrev_b64 v[5:6], 3, v[5:6]
	s_delay_alu instid0(VALU_DEP_1) | instskip(NEXT) | instid1(VALU_DEP_2)
	v_add_co_u32 v5, vcc_lo, s16, v5
	v_add_co_ci_u32_e32 v6, vcc_lo, s17, v6, vcc_lo
	global_load_b64 v[5:6], v[5:6], off
	s_waitcnt vmcnt(0)
	v_cmp_le_i64_e32 vcc_lo, v[5:6], v[3:4]
	s_and_b32 s27, vcc_lo, exec_lo
.LBB508_251:
	s_or_b32 exec_lo, exec_lo, s15
	v_cndmask_b32_e64 v7, 0, 1, s27
	s_or_b32 exec_lo, exec_lo, s26
                                        ; implicit-def: $vgpr5
	s_and_saveexec_b32 s26, s24
	s_cbranch_execz .LBB508_259
.LBB508_252:
	s_waitcnt vmcnt(0) lgkmcnt(0)
	v_mov_b32_e32 v3, 0
	v_mov_b32_e32 v4, 0
	s_and_not1_b32 vcc_lo, exec_lo, s25
	s_cbranch_vccnz .LBB508_256
; %bb.253:
	v_dual_mov_b32 v5, s18 :: v_dual_mov_b32 v6, s19
	s_mov_b32 s25, 0
	s_set_inst_prefetch_distance 0x1
	.p2align	6
.LBB508_254:                            ; =>This Inner Loop Header: Depth=1
	s_delay_alu instid0(VALU_DEP_1) | instskip(NEXT) | instid1(VALU_DEP_2)
	v_sub_co_u32 v36, vcc_lo, v5, v3
	v_sub_co_ci_u32_e32 v37, vcc_lo, v6, v4, vcc_lo
	s_delay_alu instid0(VALU_DEP_1) | instskip(SKIP_1) | instid1(VALU_DEP_2)
	v_lshrrev_b64 v[38:39], 1, v[36:37]
	v_lshrrev_b64 v[36:37], 6, v[36:37]
	v_add_co_u32 v8, vcc_lo, v38, v3
	s_delay_alu instid0(VALU_DEP_3) | instskip(NEXT) | instid1(VALU_DEP_2)
	v_add_co_ci_u32_e32 v10, vcc_lo, v39, v4, vcc_lo
	v_add_co_u32 v36, vcc_lo, v8, v36
	s_delay_alu instid0(VALU_DEP_2) | instskip(NEXT) | instid1(VALU_DEP_1)
	v_add_co_ci_u32_e32 v37, vcc_lo, v10, v37, vcc_lo
	v_lshlrev_b64 v[38:39], 3, v[36:37]
	s_delay_alu instid0(VALU_DEP_1) | instskip(NEXT) | instid1(VALU_DEP_2)
	v_add_co_u32 v38, vcc_lo, s16, v38
	v_add_co_ci_u32_e32 v39, vcc_lo, s17, v39, vcc_lo
	v_add_co_u32 v8, vcc_lo, v36, 1
	v_add_co_ci_u32_e32 v10, vcc_lo, 0, v37, vcc_lo
	global_load_b64 v[38:39], v[38:39], off
	s_waitcnt vmcnt(0)
	v_cmp_lt_i64_e64 s15, v[38:39], v[1:2]
	s_delay_alu instid0(VALU_DEP_1) | instskip(SKIP_3) | instid1(VALU_DEP_1)
	v_cndmask_b32_e64 v6, v37, v6, s15
	v_cndmask_b32_e64 v5, v36, v5, s15
	;; [unrolled: 1-line block ×4, first 2 shown]
	v_cmp_ge_u64_e32 vcc_lo, v[3:4], v[5:6]
	s_or_b32 s25, vcc_lo, s25
	s_delay_alu instid0(SALU_CYCLE_1)
	s_and_not1_b32 exec_lo, exec_lo, s25
	s_cbranch_execnz .LBB508_254
; %bb.255:
	s_set_inst_prefetch_distance 0x2
	s_or_b32 exec_lo, exec_lo, s25
.LBB508_256:
	s_delay_alu instid0(VALU_DEP_1)
	v_cmp_ne_u64_e32 vcc_lo, s[18:19], v[3:4]
	s_mov_b32 s18, 0
	s_and_saveexec_b32 s15, vcc_lo
	s_cbranch_execz .LBB508_258
; %bb.257:
	v_lshlrev_b64 v[3:4], 3, v[3:4]
	s_delay_alu instid0(VALU_DEP_1) | instskip(NEXT) | instid1(VALU_DEP_2)
	v_add_co_u32 v3, vcc_lo, s16, v3
	v_add_co_ci_u32_e32 v4, vcc_lo, s17, v4, vcc_lo
	global_load_b64 v[3:4], v[3:4], off
	s_waitcnt vmcnt(0)
	v_cmp_le_i64_e32 vcc_lo, v[3:4], v[1:2]
	s_and_b32 s18, vcc_lo, exec_lo
.LBB508_258:
	s_or_b32 exec_lo, exec_lo, s15
	v_cndmask_b32_e64 v5, 0, 1, s18
.LBB508_259:
	s_or_b32 exec_lo, exec_lo, s26
	v_lshlrev_b32_e32 v0, 2, v0
	s_lshl_b64 s[16:17], s[20:21], 2
	s_delay_alu instid0(SALU_CYCLE_1) | instskip(SKIP_3) | instid1(VALU_DEP_1)
	s_add_u32 s15, s22, s16
	s_addc_u32 s16, s23, s17
	s_waitcnt vmcnt(0) lgkmcnt(0)
	v_add_co_u32 v1, s15, s15, v0
	v_add_co_ci_u32_e64 v2, null, s16, 0, s15
	s_and_saveexec_b32 s15, s0
	s_delay_alu instid0(SALU_CYCLE_1)
	s_xor_b32 s0, exec_lo, s15
	s_cbranch_execnz .LBB508_279
; %bb.260:
	s_or_b32 exec_lo, exec_lo, s0
	s_and_saveexec_b32 s0, s1
	s_cbranch_execnz .LBB508_280
.LBB508_261:
	s_or_b32 exec_lo, exec_lo, s0
	s_and_saveexec_b32 s0, s2
	s_cbranch_execnz .LBB508_281
.LBB508_262:
	s_or_b32 exec_lo, exec_lo, s0
	s_and_saveexec_b32 s0, s3
	s_cbranch_execnz .LBB508_282
.LBB508_263:
	s_or_b32 exec_lo, exec_lo, s0
	s_and_saveexec_b32 s0, s4
	s_cbranch_execnz .LBB508_283
.LBB508_264:
	s_or_b32 exec_lo, exec_lo, s0
	s_and_saveexec_b32 s0, s5
	s_cbranch_execnz .LBB508_284
.LBB508_265:
	s_or_b32 exec_lo, exec_lo, s0
	s_and_saveexec_b32 s0, s6
	s_cbranch_execnz .LBB508_285
.LBB508_266:
	s_or_b32 exec_lo, exec_lo, s0
	s_and_saveexec_b32 s0, s7
	s_cbranch_execnz .LBB508_286
.LBB508_267:
	s_or_b32 exec_lo, exec_lo, s0
	s_and_saveexec_b32 s0, s8
	s_cbranch_execnz .LBB508_287
.LBB508_268:
	s_or_b32 exec_lo, exec_lo, s0
	s_and_saveexec_b32 s0, s9
	s_cbranch_execnz .LBB508_288
.LBB508_269:
	s_or_b32 exec_lo, exec_lo, s0
	s_and_saveexec_b32 s0, s10
	s_cbranch_execnz .LBB508_289
.LBB508_270:
	s_or_b32 exec_lo, exec_lo, s0
	s_and_saveexec_b32 s0, s11
	s_cbranch_execnz .LBB508_290
.LBB508_271:
	s_or_b32 exec_lo, exec_lo, s0
	s_and_saveexec_b32 s0, s12
	s_cbranch_execnz .LBB508_291
.LBB508_272:
	s_or_b32 exec_lo, exec_lo, s0
	s_and_saveexec_b32 s0, s13
	s_cbranch_execnz .LBB508_292
.LBB508_273:
	s_or_b32 exec_lo, exec_lo, s0
	s_and_saveexec_b32 s0, s14
	s_cbranch_execz .LBB508_275
.LBB508_274:
	v_add_co_u32 v3, vcc_lo, 0x3000, v1
	v_add_co_ci_u32_e32 v4, vcc_lo, 0, v2, vcc_lo
	flat_store_b32 v[3:4], v7 offset:2048
.LBB508_275:
	s_or_b32 exec_lo, exec_lo, s0
.LBB508_276:
	s_and_saveexec_b32 s0, s24
	s_cbranch_execnz .LBB508_278
; %bb.277:
	s_endpgm
.LBB508_278:
	v_add_co_u32 v0, vcc_lo, 0x3000, v1
	v_add_co_ci_u32_e32 v1, vcc_lo, 0, v2, vcc_lo
	flat_store_b32 v[0:1], v5 offset:3072
	s_endpgm
.LBB508_279:
	flat_store_b32 v[1:2], v35
	s_or_b32 exec_lo, exec_lo, s0
	s_and_saveexec_b32 s0, s1
	s_cbranch_execz .LBB508_261
.LBB508_280:
	flat_store_b32 v[1:2], v33 offset:1024
	s_or_b32 exec_lo, exec_lo, s0
	s_and_saveexec_b32 s0, s2
	s_cbranch_execz .LBB508_262
.LBB508_281:
	flat_store_b32 v[1:2], v31 offset:2048
	s_or_b32 exec_lo, exec_lo, s0
	s_and_saveexec_b32 s0, s3
	s_cbranch_execz .LBB508_263
.LBB508_282:
	flat_store_b32 v[1:2], v29 offset:3072
	s_or_b32 exec_lo, exec_lo, s0
	s_and_saveexec_b32 s0, s4
	s_cbranch_execz .LBB508_264
.LBB508_283:
	v_add_co_u32 v3, vcc_lo, 0x1000, v1
	v_add_co_ci_u32_e32 v4, vcc_lo, 0, v2, vcc_lo
	flat_store_b32 v[3:4], v27
	s_or_b32 exec_lo, exec_lo, s0
	s_and_saveexec_b32 s0, s5
	s_cbranch_execz .LBB508_265
.LBB508_284:
	v_add_co_u32 v3, vcc_lo, 0x1000, v1
	v_add_co_ci_u32_e32 v4, vcc_lo, 0, v2, vcc_lo
	flat_store_b32 v[3:4], v25 offset:1024
	s_or_b32 exec_lo, exec_lo, s0
	s_and_saveexec_b32 s0, s6
	s_cbranch_execz .LBB508_266
.LBB508_285:
	v_add_co_u32 v3, vcc_lo, 0x1000, v1
	v_add_co_ci_u32_e32 v4, vcc_lo, 0, v2, vcc_lo
	flat_store_b32 v[3:4], v23 offset:2048
	s_or_b32 exec_lo, exec_lo, s0
	s_and_saveexec_b32 s0, s7
	s_cbranch_execz .LBB508_267
.LBB508_286:
	v_add_co_u32 v3, vcc_lo, 0x1000, v1
	v_add_co_ci_u32_e32 v4, vcc_lo, 0, v2, vcc_lo
	flat_store_b32 v[3:4], v21 offset:3072
	s_or_b32 exec_lo, exec_lo, s0
	s_and_saveexec_b32 s0, s8
	s_cbranch_execz .LBB508_268
.LBB508_287:
	v_add_co_u32 v3, vcc_lo, 0x2000, v1
	v_add_co_ci_u32_e32 v4, vcc_lo, 0, v2, vcc_lo
	flat_store_b32 v[3:4], v19
	s_or_b32 exec_lo, exec_lo, s0
	s_and_saveexec_b32 s0, s9
	s_cbranch_execz .LBB508_269
.LBB508_288:
	v_add_co_u32 v3, vcc_lo, 0x2000, v1
	v_add_co_ci_u32_e32 v4, vcc_lo, 0, v2, vcc_lo
	flat_store_b32 v[3:4], v17 offset:1024
	s_or_b32 exec_lo, exec_lo, s0
	s_and_saveexec_b32 s0, s10
	s_cbranch_execz .LBB508_270
.LBB508_289:
	v_add_co_u32 v3, vcc_lo, 0x2000, v1
	v_add_co_ci_u32_e32 v4, vcc_lo, 0, v2, vcc_lo
	flat_store_b32 v[3:4], v15 offset:2048
	s_or_b32 exec_lo, exec_lo, s0
	s_and_saveexec_b32 s0, s11
	s_cbranch_execz .LBB508_271
.LBB508_290:
	v_add_co_u32 v3, vcc_lo, 0x2000, v1
	v_add_co_ci_u32_e32 v4, vcc_lo, 0, v2, vcc_lo
	flat_store_b32 v[3:4], v13 offset:3072
	s_or_b32 exec_lo, exec_lo, s0
	s_and_saveexec_b32 s0, s12
	s_cbranch_execz .LBB508_272
.LBB508_291:
	v_add_co_u32 v3, vcc_lo, 0x3000, v1
	v_add_co_ci_u32_e32 v4, vcc_lo, 0, v2, vcc_lo
	flat_store_b32 v[3:4], v11
	s_or_b32 exec_lo, exec_lo, s0
	s_and_saveexec_b32 s0, s13
	s_cbranch_execz .LBB508_273
.LBB508_292:
	v_add_co_u32 v3, vcc_lo, 0x3000, v1
	v_add_co_ci_u32_e32 v4, vcc_lo, 0, v2, vcc_lo
	flat_store_b32 v[3:4], v9 offset:1024
	s_or_b32 exec_lo, exec_lo, s0
	s_and_saveexec_b32 s0, s14
	s_cbranch_execnz .LBB508_274
	s_branch .LBB508_275
	.section	.rodata,"a",@progbits
	.p2align	6, 0x0
	.amdhsa_kernel _ZN7rocprim17ROCPRIM_400000_NS6detail17trampoline_kernelINS0_14default_configENS1_29binary_search_config_selectorIxiEEZNS1_14transform_implILb0ES3_S5_N6thrust23THRUST_200600_302600_NS6detail15normal_iteratorINS8_10device_ptrIxEEEENSA_INSB_IiEEEEZNS1_13binary_searchIS3_S5_SD_SD_SF_NS1_16binary_search_opENS9_16wrapped_functionINS0_4lessIvEEbEEEE10hipError_tPvRmT1_T2_T3_mmT4_T5_P12ihipStream_tbEUlRKxE_EESM_SQ_SR_mSS_SV_bEUlT_E_NS1_11comp_targetILNS1_3genE9ELNS1_11target_archE1100ELNS1_3gpuE3ELNS1_3repE0EEENS1_30default_config_static_selectorELNS0_4arch9wavefront6targetE0EEEvSP_
		.amdhsa_group_segment_fixed_size 0
		.amdhsa_private_segment_fixed_size 0
		.amdhsa_kernarg_size 312
		.amdhsa_user_sgpr_count 15
		.amdhsa_user_sgpr_dispatch_ptr 0
		.amdhsa_user_sgpr_queue_ptr 0
		.amdhsa_user_sgpr_kernarg_segment_ptr 1
		.amdhsa_user_sgpr_dispatch_id 0
		.amdhsa_user_sgpr_private_segment_size 0
		.amdhsa_wavefront_size32 1
		.amdhsa_uses_dynamic_stack 0
		.amdhsa_enable_private_segment 0
		.amdhsa_system_sgpr_workgroup_id_x 1
		.amdhsa_system_sgpr_workgroup_id_y 0
		.amdhsa_system_sgpr_workgroup_id_z 0
		.amdhsa_system_sgpr_workgroup_info 0
		.amdhsa_system_vgpr_workitem_id 0
		.amdhsa_next_free_vgpr 42
		.amdhsa_next_free_sgpr 28
		.amdhsa_reserve_vcc 1
		.amdhsa_float_round_mode_32 0
		.amdhsa_float_round_mode_16_64 0
		.amdhsa_float_denorm_mode_32 3
		.amdhsa_float_denorm_mode_16_64 3
		.amdhsa_dx10_clamp 1
		.amdhsa_ieee_mode 1
		.amdhsa_fp16_overflow 0
		.amdhsa_workgroup_processor_mode 1
		.amdhsa_memory_ordered 1
		.amdhsa_forward_progress 0
		.amdhsa_shared_vgpr_count 0
		.amdhsa_exception_fp_ieee_invalid_op 0
		.amdhsa_exception_fp_denorm_src 0
		.amdhsa_exception_fp_ieee_div_zero 0
		.amdhsa_exception_fp_ieee_overflow 0
		.amdhsa_exception_fp_ieee_underflow 0
		.amdhsa_exception_fp_ieee_inexact 0
		.amdhsa_exception_int_div_zero 0
	.end_amdhsa_kernel
	.section	.text._ZN7rocprim17ROCPRIM_400000_NS6detail17trampoline_kernelINS0_14default_configENS1_29binary_search_config_selectorIxiEEZNS1_14transform_implILb0ES3_S5_N6thrust23THRUST_200600_302600_NS6detail15normal_iteratorINS8_10device_ptrIxEEEENSA_INSB_IiEEEEZNS1_13binary_searchIS3_S5_SD_SD_SF_NS1_16binary_search_opENS9_16wrapped_functionINS0_4lessIvEEbEEEE10hipError_tPvRmT1_T2_T3_mmT4_T5_P12ihipStream_tbEUlRKxE_EESM_SQ_SR_mSS_SV_bEUlT_E_NS1_11comp_targetILNS1_3genE9ELNS1_11target_archE1100ELNS1_3gpuE3ELNS1_3repE0EEENS1_30default_config_static_selectorELNS0_4arch9wavefront6targetE0EEEvSP_,"axG",@progbits,_ZN7rocprim17ROCPRIM_400000_NS6detail17trampoline_kernelINS0_14default_configENS1_29binary_search_config_selectorIxiEEZNS1_14transform_implILb0ES3_S5_N6thrust23THRUST_200600_302600_NS6detail15normal_iteratorINS8_10device_ptrIxEEEENSA_INSB_IiEEEEZNS1_13binary_searchIS3_S5_SD_SD_SF_NS1_16binary_search_opENS9_16wrapped_functionINS0_4lessIvEEbEEEE10hipError_tPvRmT1_T2_T3_mmT4_T5_P12ihipStream_tbEUlRKxE_EESM_SQ_SR_mSS_SV_bEUlT_E_NS1_11comp_targetILNS1_3genE9ELNS1_11target_archE1100ELNS1_3gpuE3ELNS1_3repE0EEENS1_30default_config_static_selectorELNS0_4arch9wavefront6targetE0EEEvSP_,comdat
.Lfunc_end508:
	.size	_ZN7rocprim17ROCPRIM_400000_NS6detail17trampoline_kernelINS0_14default_configENS1_29binary_search_config_selectorIxiEEZNS1_14transform_implILb0ES3_S5_N6thrust23THRUST_200600_302600_NS6detail15normal_iteratorINS8_10device_ptrIxEEEENSA_INSB_IiEEEEZNS1_13binary_searchIS3_S5_SD_SD_SF_NS1_16binary_search_opENS9_16wrapped_functionINS0_4lessIvEEbEEEE10hipError_tPvRmT1_T2_T3_mmT4_T5_P12ihipStream_tbEUlRKxE_EESM_SQ_SR_mSS_SV_bEUlT_E_NS1_11comp_targetILNS1_3genE9ELNS1_11target_archE1100ELNS1_3gpuE3ELNS1_3repE0EEENS1_30default_config_static_selectorELNS0_4arch9wavefront6targetE0EEEvSP_, .Lfunc_end508-_ZN7rocprim17ROCPRIM_400000_NS6detail17trampoline_kernelINS0_14default_configENS1_29binary_search_config_selectorIxiEEZNS1_14transform_implILb0ES3_S5_N6thrust23THRUST_200600_302600_NS6detail15normal_iteratorINS8_10device_ptrIxEEEENSA_INSB_IiEEEEZNS1_13binary_searchIS3_S5_SD_SD_SF_NS1_16binary_search_opENS9_16wrapped_functionINS0_4lessIvEEbEEEE10hipError_tPvRmT1_T2_T3_mmT4_T5_P12ihipStream_tbEUlRKxE_EESM_SQ_SR_mSS_SV_bEUlT_E_NS1_11comp_targetILNS1_3genE9ELNS1_11target_archE1100ELNS1_3gpuE3ELNS1_3repE0EEENS1_30default_config_static_selectorELNS0_4arch9wavefront6targetE0EEEvSP_
                                        ; -- End function
	.section	.AMDGPU.csdata,"",@progbits
; Kernel info:
; codeLenInByte = 12400
; NumSgprs: 30
; NumVgprs: 42
; ScratchSize: 0
; MemoryBound: 0
; FloatMode: 240
; IeeeMode: 1
; LDSByteSize: 0 bytes/workgroup (compile time only)
; SGPRBlocks: 3
; VGPRBlocks: 5
; NumSGPRsForWavesPerEU: 30
; NumVGPRsForWavesPerEU: 42
; Occupancy: 16
; WaveLimiterHint : 1
; COMPUTE_PGM_RSRC2:SCRATCH_EN: 0
; COMPUTE_PGM_RSRC2:USER_SGPR: 15
; COMPUTE_PGM_RSRC2:TRAP_HANDLER: 0
; COMPUTE_PGM_RSRC2:TGID_X_EN: 1
; COMPUTE_PGM_RSRC2:TGID_Y_EN: 0
; COMPUTE_PGM_RSRC2:TGID_Z_EN: 0
; COMPUTE_PGM_RSRC2:TIDIG_COMP_CNT: 0
	.section	.text._ZN7rocprim17ROCPRIM_400000_NS6detail17trampoline_kernelINS0_14default_configENS1_29binary_search_config_selectorIxiEEZNS1_14transform_implILb0ES3_S5_N6thrust23THRUST_200600_302600_NS6detail15normal_iteratorINS8_10device_ptrIxEEEENSA_INSB_IiEEEEZNS1_13binary_searchIS3_S5_SD_SD_SF_NS1_16binary_search_opENS9_16wrapped_functionINS0_4lessIvEEbEEEE10hipError_tPvRmT1_T2_T3_mmT4_T5_P12ihipStream_tbEUlRKxE_EESM_SQ_SR_mSS_SV_bEUlT_E_NS1_11comp_targetILNS1_3genE8ELNS1_11target_archE1030ELNS1_3gpuE2ELNS1_3repE0EEENS1_30default_config_static_selectorELNS0_4arch9wavefront6targetE0EEEvSP_,"axG",@progbits,_ZN7rocprim17ROCPRIM_400000_NS6detail17trampoline_kernelINS0_14default_configENS1_29binary_search_config_selectorIxiEEZNS1_14transform_implILb0ES3_S5_N6thrust23THRUST_200600_302600_NS6detail15normal_iteratorINS8_10device_ptrIxEEEENSA_INSB_IiEEEEZNS1_13binary_searchIS3_S5_SD_SD_SF_NS1_16binary_search_opENS9_16wrapped_functionINS0_4lessIvEEbEEEE10hipError_tPvRmT1_T2_T3_mmT4_T5_P12ihipStream_tbEUlRKxE_EESM_SQ_SR_mSS_SV_bEUlT_E_NS1_11comp_targetILNS1_3genE8ELNS1_11target_archE1030ELNS1_3gpuE2ELNS1_3repE0EEENS1_30default_config_static_selectorELNS0_4arch9wavefront6targetE0EEEvSP_,comdat
	.protected	_ZN7rocprim17ROCPRIM_400000_NS6detail17trampoline_kernelINS0_14default_configENS1_29binary_search_config_selectorIxiEEZNS1_14transform_implILb0ES3_S5_N6thrust23THRUST_200600_302600_NS6detail15normal_iteratorINS8_10device_ptrIxEEEENSA_INSB_IiEEEEZNS1_13binary_searchIS3_S5_SD_SD_SF_NS1_16binary_search_opENS9_16wrapped_functionINS0_4lessIvEEbEEEE10hipError_tPvRmT1_T2_T3_mmT4_T5_P12ihipStream_tbEUlRKxE_EESM_SQ_SR_mSS_SV_bEUlT_E_NS1_11comp_targetILNS1_3genE8ELNS1_11target_archE1030ELNS1_3gpuE2ELNS1_3repE0EEENS1_30default_config_static_selectorELNS0_4arch9wavefront6targetE0EEEvSP_ ; -- Begin function _ZN7rocprim17ROCPRIM_400000_NS6detail17trampoline_kernelINS0_14default_configENS1_29binary_search_config_selectorIxiEEZNS1_14transform_implILb0ES3_S5_N6thrust23THRUST_200600_302600_NS6detail15normal_iteratorINS8_10device_ptrIxEEEENSA_INSB_IiEEEEZNS1_13binary_searchIS3_S5_SD_SD_SF_NS1_16binary_search_opENS9_16wrapped_functionINS0_4lessIvEEbEEEE10hipError_tPvRmT1_T2_T3_mmT4_T5_P12ihipStream_tbEUlRKxE_EESM_SQ_SR_mSS_SV_bEUlT_E_NS1_11comp_targetILNS1_3genE8ELNS1_11target_archE1030ELNS1_3gpuE2ELNS1_3repE0EEENS1_30default_config_static_selectorELNS0_4arch9wavefront6targetE0EEEvSP_
	.globl	_ZN7rocprim17ROCPRIM_400000_NS6detail17trampoline_kernelINS0_14default_configENS1_29binary_search_config_selectorIxiEEZNS1_14transform_implILb0ES3_S5_N6thrust23THRUST_200600_302600_NS6detail15normal_iteratorINS8_10device_ptrIxEEEENSA_INSB_IiEEEEZNS1_13binary_searchIS3_S5_SD_SD_SF_NS1_16binary_search_opENS9_16wrapped_functionINS0_4lessIvEEbEEEE10hipError_tPvRmT1_T2_T3_mmT4_T5_P12ihipStream_tbEUlRKxE_EESM_SQ_SR_mSS_SV_bEUlT_E_NS1_11comp_targetILNS1_3genE8ELNS1_11target_archE1030ELNS1_3gpuE2ELNS1_3repE0EEENS1_30default_config_static_selectorELNS0_4arch9wavefront6targetE0EEEvSP_
	.p2align	8
	.type	_ZN7rocprim17ROCPRIM_400000_NS6detail17trampoline_kernelINS0_14default_configENS1_29binary_search_config_selectorIxiEEZNS1_14transform_implILb0ES3_S5_N6thrust23THRUST_200600_302600_NS6detail15normal_iteratorINS8_10device_ptrIxEEEENSA_INSB_IiEEEEZNS1_13binary_searchIS3_S5_SD_SD_SF_NS1_16binary_search_opENS9_16wrapped_functionINS0_4lessIvEEbEEEE10hipError_tPvRmT1_T2_T3_mmT4_T5_P12ihipStream_tbEUlRKxE_EESM_SQ_SR_mSS_SV_bEUlT_E_NS1_11comp_targetILNS1_3genE8ELNS1_11target_archE1030ELNS1_3gpuE2ELNS1_3repE0EEENS1_30default_config_static_selectorELNS0_4arch9wavefront6targetE0EEEvSP_,@function
_ZN7rocprim17ROCPRIM_400000_NS6detail17trampoline_kernelINS0_14default_configENS1_29binary_search_config_selectorIxiEEZNS1_14transform_implILb0ES3_S5_N6thrust23THRUST_200600_302600_NS6detail15normal_iteratorINS8_10device_ptrIxEEEENSA_INSB_IiEEEEZNS1_13binary_searchIS3_S5_SD_SD_SF_NS1_16binary_search_opENS9_16wrapped_functionINS0_4lessIvEEbEEEE10hipError_tPvRmT1_T2_T3_mmT4_T5_P12ihipStream_tbEUlRKxE_EESM_SQ_SR_mSS_SV_bEUlT_E_NS1_11comp_targetILNS1_3genE8ELNS1_11target_archE1030ELNS1_3gpuE2ELNS1_3repE0EEENS1_30default_config_static_selectorELNS0_4arch9wavefront6targetE0EEEvSP_: ; @_ZN7rocprim17ROCPRIM_400000_NS6detail17trampoline_kernelINS0_14default_configENS1_29binary_search_config_selectorIxiEEZNS1_14transform_implILb0ES3_S5_N6thrust23THRUST_200600_302600_NS6detail15normal_iteratorINS8_10device_ptrIxEEEENSA_INSB_IiEEEEZNS1_13binary_searchIS3_S5_SD_SD_SF_NS1_16binary_search_opENS9_16wrapped_functionINS0_4lessIvEEbEEEE10hipError_tPvRmT1_T2_T3_mmT4_T5_P12ihipStream_tbEUlRKxE_EESM_SQ_SR_mSS_SV_bEUlT_E_NS1_11comp_targetILNS1_3genE8ELNS1_11target_archE1030ELNS1_3gpuE2ELNS1_3repE0EEENS1_30default_config_static_selectorELNS0_4arch9wavefront6targetE0EEEvSP_
; %bb.0:
	.section	.rodata,"a",@progbits
	.p2align	6, 0x0
	.amdhsa_kernel _ZN7rocprim17ROCPRIM_400000_NS6detail17trampoline_kernelINS0_14default_configENS1_29binary_search_config_selectorIxiEEZNS1_14transform_implILb0ES3_S5_N6thrust23THRUST_200600_302600_NS6detail15normal_iteratorINS8_10device_ptrIxEEEENSA_INSB_IiEEEEZNS1_13binary_searchIS3_S5_SD_SD_SF_NS1_16binary_search_opENS9_16wrapped_functionINS0_4lessIvEEbEEEE10hipError_tPvRmT1_T2_T3_mmT4_T5_P12ihipStream_tbEUlRKxE_EESM_SQ_SR_mSS_SV_bEUlT_E_NS1_11comp_targetILNS1_3genE8ELNS1_11target_archE1030ELNS1_3gpuE2ELNS1_3repE0EEENS1_30default_config_static_selectorELNS0_4arch9wavefront6targetE0EEEvSP_
		.amdhsa_group_segment_fixed_size 0
		.amdhsa_private_segment_fixed_size 0
		.amdhsa_kernarg_size 56
		.amdhsa_user_sgpr_count 15
		.amdhsa_user_sgpr_dispatch_ptr 0
		.amdhsa_user_sgpr_queue_ptr 0
		.amdhsa_user_sgpr_kernarg_segment_ptr 1
		.amdhsa_user_sgpr_dispatch_id 0
		.amdhsa_user_sgpr_private_segment_size 0
		.amdhsa_wavefront_size32 1
		.amdhsa_uses_dynamic_stack 0
		.amdhsa_enable_private_segment 0
		.amdhsa_system_sgpr_workgroup_id_x 1
		.amdhsa_system_sgpr_workgroup_id_y 0
		.amdhsa_system_sgpr_workgroup_id_z 0
		.amdhsa_system_sgpr_workgroup_info 0
		.amdhsa_system_vgpr_workitem_id 0
		.amdhsa_next_free_vgpr 1
		.amdhsa_next_free_sgpr 1
		.amdhsa_reserve_vcc 0
		.amdhsa_float_round_mode_32 0
		.amdhsa_float_round_mode_16_64 0
		.amdhsa_float_denorm_mode_32 3
		.amdhsa_float_denorm_mode_16_64 3
		.amdhsa_dx10_clamp 1
		.amdhsa_ieee_mode 1
		.amdhsa_fp16_overflow 0
		.amdhsa_workgroup_processor_mode 1
		.amdhsa_memory_ordered 1
		.amdhsa_forward_progress 0
		.amdhsa_shared_vgpr_count 0
		.amdhsa_exception_fp_ieee_invalid_op 0
		.amdhsa_exception_fp_denorm_src 0
		.amdhsa_exception_fp_ieee_div_zero 0
		.amdhsa_exception_fp_ieee_overflow 0
		.amdhsa_exception_fp_ieee_underflow 0
		.amdhsa_exception_fp_ieee_inexact 0
		.amdhsa_exception_int_div_zero 0
	.end_amdhsa_kernel
	.section	.text._ZN7rocprim17ROCPRIM_400000_NS6detail17trampoline_kernelINS0_14default_configENS1_29binary_search_config_selectorIxiEEZNS1_14transform_implILb0ES3_S5_N6thrust23THRUST_200600_302600_NS6detail15normal_iteratorINS8_10device_ptrIxEEEENSA_INSB_IiEEEEZNS1_13binary_searchIS3_S5_SD_SD_SF_NS1_16binary_search_opENS9_16wrapped_functionINS0_4lessIvEEbEEEE10hipError_tPvRmT1_T2_T3_mmT4_T5_P12ihipStream_tbEUlRKxE_EESM_SQ_SR_mSS_SV_bEUlT_E_NS1_11comp_targetILNS1_3genE8ELNS1_11target_archE1030ELNS1_3gpuE2ELNS1_3repE0EEENS1_30default_config_static_selectorELNS0_4arch9wavefront6targetE0EEEvSP_,"axG",@progbits,_ZN7rocprim17ROCPRIM_400000_NS6detail17trampoline_kernelINS0_14default_configENS1_29binary_search_config_selectorIxiEEZNS1_14transform_implILb0ES3_S5_N6thrust23THRUST_200600_302600_NS6detail15normal_iteratorINS8_10device_ptrIxEEEENSA_INSB_IiEEEEZNS1_13binary_searchIS3_S5_SD_SD_SF_NS1_16binary_search_opENS9_16wrapped_functionINS0_4lessIvEEbEEEE10hipError_tPvRmT1_T2_T3_mmT4_T5_P12ihipStream_tbEUlRKxE_EESM_SQ_SR_mSS_SV_bEUlT_E_NS1_11comp_targetILNS1_3genE8ELNS1_11target_archE1030ELNS1_3gpuE2ELNS1_3repE0EEENS1_30default_config_static_selectorELNS0_4arch9wavefront6targetE0EEEvSP_,comdat
.Lfunc_end509:
	.size	_ZN7rocprim17ROCPRIM_400000_NS6detail17trampoline_kernelINS0_14default_configENS1_29binary_search_config_selectorIxiEEZNS1_14transform_implILb0ES3_S5_N6thrust23THRUST_200600_302600_NS6detail15normal_iteratorINS8_10device_ptrIxEEEENSA_INSB_IiEEEEZNS1_13binary_searchIS3_S5_SD_SD_SF_NS1_16binary_search_opENS9_16wrapped_functionINS0_4lessIvEEbEEEE10hipError_tPvRmT1_T2_T3_mmT4_T5_P12ihipStream_tbEUlRKxE_EESM_SQ_SR_mSS_SV_bEUlT_E_NS1_11comp_targetILNS1_3genE8ELNS1_11target_archE1030ELNS1_3gpuE2ELNS1_3repE0EEENS1_30default_config_static_selectorELNS0_4arch9wavefront6targetE0EEEvSP_, .Lfunc_end509-_ZN7rocprim17ROCPRIM_400000_NS6detail17trampoline_kernelINS0_14default_configENS1_29binary_search_config_selectorIxiEEZNS1_14transform_implILb0ES3_S5_N6thrust23THRUST_200600_302600_NS6detail15normal_iteratorINS8_10device_ptrIxEEEENSA_INSB_IiEEEEZNS1_13binary_searchIS3_S5_SD_SD_SF_NS1_16binary_search_opENS9_16wrapped_functionINS0_4lessIvEEbEEEE10hipError_tPvRmT1_T2_T3_mmT4_T5_P12ihipStream_tbEUlRKxE_EESM_SQ_SR_mSS_SV_bEUlT_E_NS1_11comp_targetILNS1_3genE8ELNS1_11target_archE1030ELNS1_3gpuE2ELNS1_3repE0EEENS1_30default_config_static_selectorELNS0_4arch9wavefront6targetE0EEEvSP_
                                        ; -- End function
	.section	.AMDGPU.csdata,"",@progbits
; Kernel info:
; codeLenInByte = 0
; NumSgprs: 0
; NumVgprs: 0
; ScratchSize: 0
; MemoryBound: 0
; FloatMode: 240
; IeeeMode: 1
; LDSByteSize: 0 bytes/workgroup (compile time only)
; SGPRBlocks: 0
; VGPRBlocks: 0
; NumSGPRsForWavesPerEU: 1
; NumVGPRsForWavesPerEU: 1
; Occupancy: 16
; WaveLimiterHint : 0
; COMPUTE_PGM_RSRC2:SCRATCH_EN: 0
; COMPUTE_PGM_RSRC2:USER_SGPR: 15
; COMPUTE_PGM_RSRC2:TRAP_HANDLER: 0
; COMPUTE_PGM_RSRC2:TGID_X_EN: 1
; COMPUTE_PGM_RSRC2:TGID_Y_EN: 0
; COMPUTE_PGM_RSRC2:TGID_Z_EN: 0
; COMPUTE_PGM_RSRC2:TIDIG_COMP_CNT: 0
	.section	.text._ZN7rocprim17ROCPRIM_400000_NS6detail17trampoline_kernelINS0_14default_configENS1_29binary_search_config_selectorIibEEZNS1_14transform_implILb0ES3_S5_N6thrust23THRUST_200600_302600_NS6detail15normal_iteratorINS8_10device_ptrIiEEEENSA_INSB_IbEEEEZNS1_13binary_searchIS3_S5_SD_SD_SF_NS1_16binary_search_opENS9_16wrapped_functionINS0_4lessIvEEbEEEE10hipError_tPvRmT1_T2_T3_mmT4_T5_P12ihipStream_tbEUlRKiE_EESM_SQ_SR_mSS_SV_bEUlT_E_NS1_11comp_targetILNS1_3genE0ELNS1_11target_archE4294967295ELNS1_3gpuE0ELNS1_3repE0EEENS1_30default_config_static_selectorELNS0_4arch9wavefront6targetE0EEEvSP_,"axG",@progbits,_ZN7rocprim17ROCPRIM_400000_NS6detail17trampoline_kernelINS0_14default_configENS1_29binary_search_config_selectorIibEEZNS1_14transform_implILb0ES3_S5_N6thrust23THRUST_200600_302600_NS6detail15normal_iteratorINS8_10device_ptrIiEEEENSA_INSB_IbEEEEZNS1_13binary_searchIS3_S5_SD_SD_SF_NS1_16binary_search_opENS9_16wrapped_functionINS0_4lessIvEEbEEEE10hipError_tPvRmT1_T2_T3_mmT4_T5_P12ihipStream_tbEUlRKiE_EESM_SQ_SR_mSS_SV_bEUlT_E_NS1_11comp_targetILNS1_3genE0ELNS1_11target_archE4294967295ELNS1_3gpuE0ELNS1_3repE0EEENS1_30default_config_static_selectorELNS0_4arch9wavefront6targetE0EEEvSP_,comdat
	.protected	_ZN7rocprim17ROCPRIM_400000_NS6detail17trampoline_kernelINS0_14default_configENS1_29binary_search_config_selectorIibEEZNS1_14transform_implILb0ES3_S5_N6thrust23THRUST_200600_302600_NS6detail15normal_iteratorINS8_10device_ptrIiEEEENSA_INSB_IbEEEEZNS1_13binary_searchIS3_S5_SD_SD_SF_NS1_16binary_search_opENS9_16wrapped_functionINS0_4lessIvEEbEEEE10hipError_tPvRmT1_T2_T3_mmT4_T5_P12ihipStream_tbEUlRKiE_EESM_SQ_SR_mSS_SV_bEUlT_E_NS1_11comp_targetILNS1_3genE0ELNS1_11target_archE4294967295ELNS1_3gpuE0ELNS1_3repE0EEENS1_30default_config_static_selectorELNS0_4arch9wavefront6targetE0EEEvSP_ ; -- Begin function _ZN7rocprim17ROCPRIM_400000_NS6detail17trampoline_kernelINS0_14default_configENS1_29binary_search_config_selectorIibEEZNS1_14transform_implILb0ES3_S5_N6thrust23THRUST_200600_302600_NS6detail15normal_iteratorINS8_10device_ptrIiEEEENSA_INSB_IbEEEEZNS1_13binary_searchIS3_S5_SD_SD_SF_NS1_16binary_search_opENS9_16wrapped_functionINS0_4lessIvEEbEEEE10hipError_tPvRmT1_T2_T3_mmT4_T5_P12ihipStream_tbEUlRKiE_EESM_SQ_SR_mSS_SV_bEUlT_E_NS1_11comp_targetILNS1_3genE0ELNS1_11target_archE4294967295ELNS1_3gpuE0ELNS1_3repE0EEENS1_30default_config_static_selectorELNS0_4arch9wavefront6targetE0EEEvSP_
	.globl	_ZN7rocprim17ROCPRIM_400000_NS6detail17trampoline_kernelINS0_14default_configENS1_29binary_search_config_selectorIibEEZNS1_14transform_implILb0ES3_S5_N6thrust23THRUST_200600_302600_NS6detail15normal_iteratorINS8_10device_ptrIiEEEENSA_INSB_IbEEEEZNS1_13binary_searchIS3_S5_SD_SD_SF_NS1_16binary_search_opENS9_16wrapped_functionINS0_4lessIvEEbEEEE10hipError_tPvRmT1_T2_T3_mmT4_T5_P12ihipStream_tbEUlRKiE_EESM_SQ_SR_mSS_SV_bEUlT_E_NS1_11comp_targetILNS1_3genE0ELNS1_11target_archE4294967295ELNS1_3gpuE0ELNS1_3repE0EEENS1_30default_config_static_selectorELNS0_4arch9wavefront6targetE0EEEvSP_
	.p2align	8
	.type	_ZN7rocprim17ROCPRIM_400000_NS6detail17trampoline_kernelINS0_14default_configENS1_29binary_search_config_selectorIibEEZNS1_14transform_implILb0ES3_S5_N6thrust23THRUST_200600_302600_NS6detail15normal_iteratorINS8_10device_ptrIiEEEENSA_INSB_IbEEEEZNS1_13binary_searchIS3_S5_SD_SD_SF_NS1_16binary_search_opENS9_16wrapped_functionINS0_4lessIvEEbEEEE10hipError_tPvRmT1_T2_T3_mmT4_T5_P12ihipStream_tbEUlRKiE_EESM_SQ_SR_mSS_SV_bEUlT_E_NS1_11comp_targetILNS1_3genE0ELNS1_11target_archE4294967295ELNS1_3gpuE0ELNS1_3repE0EEENS1_30default_config_static_selectorELNS0_4arch9wavefront6targetE0EEEvSP_,@function
_ZN7rocprim17ROCPRIM_400000_NS6detail17trampoline_kernelINS0_14default_configENS1_29binary_search_config_selectorIibEEZNS1_14transform_implILb0ES3_S5_N6thrust23THRUST_200600_302600_NS6detail15normal_iteratorINS8_10device_ptrIiEEEENSA_INSB_IbEEEEZNS1_13binary_searchIS3_S5_SD_SD_SF_NS1_16binary_search_opENS9_16wrapped_functionINS0_4lessIvEEbEEEE10hipError_tPvRmT1_T2_T3_mmT4_T5_P12ihipStream_tbEUlRKiE_EESM_SQ_SR_mSS_SV_bEUlT_E_NS1_11comp_targetILNS1_3genE0ELNS1_11target_archE4294967295ELNS1_3gpuE0ELNS1_3repE0EEENS1_30default_config_static_selectorELNS0_4arch9wavefront6targetE0EEEvSP_: ; @_ZN7rocprim17ROCPRIM_400000_NS6detail17trampoline_kernelINS0_14default_configENS1_29binary_search_config_selectorIibEEZNS1_14transform_implILb0ES3_S5_N6thrust23THRUST_200600_302600_NS6detail15normal_iteratorINS8_10device_ptrIiEEEENSA_INSB_IbEEEEZNS1_13binary_searchIS3_S5_SD_SD_SF_NS1_16binary_search_opENS9_16wrapped_functionINS0_4lessIvEEbEEEE10hipError_tPvRmT1_T2_T3_mmT4_T5_P12ihipStream_tbEUlRKiE_EESM_SQ_SR_mSS_SV_bEUlT_E_NS1_11comp_targetILNS1_3genE0ELNS1_11target_archE4294967295ELNS1_3gpuE0ELNS1_3repE0EEENS1_30default_config_static_selectorELNS0_4arch9wavefront6targetE0EEEvSP_
; %bb.0:
	.section	.rodata,"a",@progbits
	.p2align	6, 0x0
	.amdhsa_kernel _ZN7rocprim17ROCPRIM_400000_NS6detail17trampoline_kernelINS0_14default_configENS1_29binary_search_config_selectorIibEEZNS1_14transform_implILb0ES3_S5_N6thrust23THRUST_200600_302600_NS6detail15normal_iteratorINS8_10device_ptrIiEEEENSA_INSB_IbEEEEZNS1_13binary_searchIS3_S5_SD_SD_SF_NS1_16binary_search_opENS9_16wrapped_functionINS0_4lessIvEEbEEEE10hipError_tPvRmT1_T2_T3_mmT4_T5_P12ihipStream_tbEUlRKiE_EESM_SQ_SR_mSS_SV_bEUlT_E_NS1_11comp_targetILNS1_3genE0ELNS1_11target_archE4294967295ELNS1_3gpuE0ELNS1_3repE0EEENS1_30default_config_static_selectorELNS0_4arch9wavefront6targetE0EEEvSP_
		.amdhsa_group_segment_fixed_size 0
		.amdhsa_private_segment_fixed_size 0
		.amdhsa_kernarg_size 56
		.amdhsa_user_sgpr_count 15
		.amdhsa_user_sgpr_dispatch_ptr 0
		.amdhsa_user_sgpr_queue_ptr 0
		.amdhsa_user_sgpr_kernarg_segment_ptr 1
		.amdhsa_user_sgpr_dispatch_id 0
		.amdhsa_user_sgpr_private_segment_size 0
		.amdhsa_wavefront_size32 1
		.amdhsa_uses_dynamic_stack 0
		.amdhsa_enable_private_segment 0
		.amdhsa_system_sgpr_workgroup_id_x 1
		.amdhsa_system_sgpr_workgroup_id_y 0
		.amdhsa_system_sgpr_workgroup_id_z 0
		.amdhsa_system_sgpr_workgroup_info 0
		.amdhsa_system_vgpr_workitem_id 0
		.amdhsa_next_free_vgpr 1
		.amdhsa_next_free_sgpr 1
		.amdhsa_reserve_vcc 0
		.amdhsa_float_round_mode_32 0
		.amdhsa_float_round_mode_16_64 0
		.amdhsa_float_denorm_mode_32 3
		.amdhsa_float_denorm_mode_16_64 3
		.amdhsa_dx10_clamp 1
		.amdhsa_ieee_mode 1
		.amdhsa_fp16_overflow 0
		.amdhsa_workgroup_processor_mode 1
		.amdhsa_memory_ordered 1
		.amdhsa_forward_progress 0
		.amdhsa_shared_vgpr_count 0
		.amdhsa_exception_fp_ieee_invalid_op 0
		.amdhsa_exception_fp_denorm_src 0
		.amdhsa_exception_fp_ieee_div_zero 0
		.amdhsa_exception_fp_ieee_overflow 0
		.amdhsa_exception_fp_ieee_underflow 0
		.amdhsa_exception_fp_ieee_inexact 0
		.amdhsa_exception_int_div_zero 0
	.end_amdhsa_kernel
	.section	.text._ZN7rocprim17ROCPRIM_400000_NS6detail17trampoline_kernelINS0_14default_configENS1_29binary_search_config_selectorIibEEZNS1_14transform_implILb0ES3_S5_N6thrust23THRUST_200600_302600_NS6detail15normal_iteratorINS8_10device_ptrIiEEEENSA_INSB_IbEEEEZNS1_13binary_searchIS3_S5_SD_SD_SF_NS1_16binary_search_opENS9_16wrapped_functionINS0_4lessIvEEbEEEE10hipError_tPvRmT1_T2_T3_mmT4_T5_P12ihipStream_tbEUlRKiE_EESM_SQ_SR_mSS_SV_bEUlT_E_NS1_11comp_targetILNS1_3genE0ELNS1_11target_archE4294967295ELNS1_3gpuE0ELNS1_3repE0EEENS1_30default_config_static_selectorELNS0_4arch9wavefront6targetE0EEEvSP_,"axG",@progbits,_ZN7rocprim17ROCPRIM_400000_NS6detail17trampoline_kernelINS0_14default_configENS1_29binary_search_config_selectorIibEEZNS1_14transform_implILb0ES3_S5_N6thrust23THRUST_200600_302600_NS6detail15normal_iteratorINS8_10device_ptrIiEEEENSA_INSB_IbEEEEZNS1_13binary_searchIS3_S5_SD_SD_SF_NS1_16binary_search_opENS9_16wrapped_functionINS0_4lessIvEEbEEEE10hipError_tPvRmT1_T2_T3_mmT4_T5_P12ihipStream_tbEUlRKiE_EESM_SQ_SR_mSS_SV_bEUlT_E_NS1_11comp_targetILNS1_3genE0ELNS1_11target_archE4294967295ELNS1_3gpuE0ELNS1_3repE0EEENS1_30default_config_static_selectorELNS0_4arch9wavefront6targetE0EEEvSP_,comdat
.Lfunc_end510:
	.size	_ZN7rocprim17ROCPRIM_400000_NS6detail17trampoline_kernelINS0_14default_configENS1_29binary_search_config_selectorIibEEZNS1_14transform_implILb0ES3_S5_N6thrust23THRUST_200600_302600_NS6detail15normal_iteratorINS8_10device_ptrIiEEEENSA_INSB_IbEEEEZNS1_13binary_searchIS3_S5_SD_SD_SF_NS1_16binary_search_opENS9_16wrapped_functionINS0_4lessIvEEbEEEE10hipError_tPvRmT1_T2_T3_mmT4_T5_P12ihipStream_tbEUlRKiE_EESM_SQ_SR_mSS_SV_bEUlT_E_NS1_11comp_targetILNS1_3genE0ELNS1_11target_archE4294967295ELNS1_3gpuE0ELNS1_3repE0EEENS1_30default_config_static_selectorELNS0_4arch9wavefront6targetE0EEEvSP_, .Lfunc_end510-_ZN7rocprim17ROCPRIM_400000_NS6detail17trampoline_kernelINS0_14default_configENS1_29binary_search_config_selectorIibEEZNS1_14transform_implILb0ES3_S5_N6thrust23THRUST_200600_302600_NS6detail15normal_iteratorINS8_10device_ptrIiEEEENSA_INSB_IbEEEEZNS1_13binary_searchIS3_S5_SD_SD_SF_NS1_16binary_search_opENS9_16wrapped_functionINS0_4lessIvEEbEEEE10hipError_tPvRmT1_T2_T3_mmT4_T5_P12ihipStream_tbEUlRKiE_EESM_SQ_SR_mSS_SV_bEUlT_E_NS1_11comp_targetILNS1_3genE0ELNS1_11target_archE4294967295ELNS1_3gpuE0ELNS1_3repE0EEENS1_30default_config_static_selectorELNS0_4arch9wavefront6targetE0EEEvSP_
                                        ; -- End function
	.section	.AMDGPU.csdata,"",@progbits
; Kernel info:
; codeLenInByte = 0
; NumSgprs: 0
; NumVgprs: 0
; ScratchSize: 0
; MemoryBound: 0
; FloatMode: 240
; IeeeMode: 1
; LDSByteSize: 0 bytes/workgroup (compile time only)
; SGPRBlocks: 0
; VGPRBlocks: 0
; NumSGPRsForWavesPerEU: 1
; NumVGPRsForWavesPerEU: 1
; Occupancy: 16
; WaveLimiterHint : 0
; COMPUTE_PGM_RSRC2:SCRATCH_EN: 0
; COMPUTE_PGM_RSRC2:USER_SGPR: 15
; COMPUTE_PGM_RSRC2:TRAP_HANDLER: 0
; COMPUTE_PGM_RSRC2:TGID_X_EN: 1
; COMPUTE_PGM_RSRC2:TGID_Y_EN: 0
; COMPUTE_PGM_RSRC2:TGID_Z_EN: 0
; COMPUTE_PGM_RSRC2:TIDIG_COMP_CNT: 0
	.section	.text._ZN7rocprim17ROCPRIM_400000_NS6detail17trampoline_kernelINS0_14default_configENS1_29binary_search_config_selectorIibEEZNS1_14transform_implILb0ES3_S5_N6thrust23THRUST_200600_302600_NS6detail15normal_iteratorINS8_10device_ptrIiEEEENSA_INSB_IbEEEEZNS1_13binary_searchIS3_S5_SD_SD_SF_NS1_16binary_search_opENS9_16wrapped_functionINS0_4lessIvEEbEEEE10hipError_tPvRmT1_T2_T3_mmT4_T5_P12ihipStream_tbEUlRKiE_EESM_SQ_SR_mSS_SV_bEUlT_E_NS1_11comp_targetILNS1_3genE5ELNS1_11target_archE942ELNS1_3gpuE9ELNS1_3repE0EEENS1_30default_config_static_selectorELNS0_4arch9wavefront6targetE0EEEvSP_,"axG",@progbits,_ZN7rocprim17ROCPRIM_400000_NS6detail17trampoline_kernelINS0_14default_configENS1_29binary_search_config_selectorIibEEZNS1_14transform_implILb0ES3_S5_N6thrust23THRUST_200600_302600_NS6detail15normal_iteratorINS8_10device_ptrIiEEEENSA_INSB_IbEEEEZNS1_13binary_searchIS3_S5_SD_SD_SF_NS1_16binary_search_opENS9_16wrapped_functionINS0_4lessIvEEbEEEE10hipError_tPvRmT1_T2_T3_mmT4_T5_P12ihipStream_tbEUlRKiE_EESM_SQ_SR_mSS_SV_bEUlT_E_NS1_11comp_targetILNS1_3genE5ELNS1_11target_archE942ELNS1_3gpuE9ELNS1_3repE0EEENS1_30default_config_static_selectorELNS0_4arch9wavefront6targetE0EEEvSP_,comdat
	.protected	_ZN7rocprim17ROCPRIM_400000_NS6detail17trampoline_kernelINS0_14default_configENS1_29binary_search_config_selectorIibEEZNS1_14transform_implILb0ES3_S5_N6thrust23THRUST_200600_302600_NS6detail15normal_iteratorINS8_10device_ptrIiEEEENSA_INSB_IbEEEEZNS1_13binary_searchIS3_S5_SD_SD_SF_NS1_16binary_search_opENS9_16wrapped_functionINS0_4lessIvEEbEEEE10hipError_tPvRmT1_T2_T3_mmT4_T5_P12ihipStream_tbEUlRKiE_EESM_SQ_SR_mSS_SV_bEUlT_E_NS1_11comp_targetILNS1_3genE5ELNS1_11target_archE942ELNS1_3gpuE9ELNS1_3repE0EEENS1_30default_config_static_selectorELNS0_4arch9wavefront6targetE0EEEvSP_ ; -- Begin function _ZN7rocprim17ROCPRIM_400000_NS6detail17trampoline_kernelINS0_14default_configENS1_29binary_search_config_selectorIibEEZNS1_14transform_implILb0ES3_S5_N6thrust23THRUST_200600_302600_NS6detail15normal_iteratorINS8_10device_ptrIiEEEENSA_INSB_IbEEEEZNS1_13binary_searchIS3_S5_SD_SD_SF_NS1_16binary_search_opENS9_16wrapped_functionINS0_4lessIvEEbEEEE10hipError_tPvRmT1_T2_T3_mmT4_T5_P12ihipStream_tbEUlRKiE_EESM_SQ_SR_mSS_SV_bEUlT_E_NS1_11comp_targetILNS1_3genE5ELNS1_11target_archE942ELNS1_3gpuE9ELNS1_3repE0EEENS1_30default_config_static_selectorELNS0_4arch9wavefront6targetE0EEEvSP_
	.globl	_ZN7rocprim17ROCPRIM_400000_NS6detail17trampoline_kernelINS0_14default_configENS1_29binary_search_config_selectorIibEEZNS1_14transform_implILb0ES3_S5_N6thrust23THRUST_200600_302600_NS6detail15normal_iteratorINS8_10device_ptrIiEEEENSA_INSB_IbEEEEZNS1_13binary_searchIS3_S5_SD_SD_SF_NS1_16binary_search_opENS9_16wrapped_functionINS0_4lessIvEEbEEEE10hipError_tPvRmT1_T2_T3_mmT4_T5_P12ihipStream_tbEUlRKiE_EESM_SQ_SR_mSS_SV_bEUlT_E_NS1_11comp_targetILNS1_3genE5ELNS1_11target_archE942ELNS1_3gpuE9ELNS1_3repE0EEENS1_30default_config_static_selectorELNS0_4arch9wavefront6targetE0EEEvSP_
	.p2align	8
	.type	_ZN7rocprim17ROCPRIM_400000_NS6detail17trampoline_kernelINS0_14default_configENS1_29binary_search_config_selectorIibEEZNS1_14transform_implILb0ES3_S5_N6thrust23THRUST_200600_302600_NS6detail15normal_iteratorINS8_10device_ptrIiEEEENSA_INSB_IbEEEEZNS1_13binary_searchIS3_S5_SD_SD_SF_NS1_16binary_search_opENS9_16wrapped_functionINS0_4lessIvEEbEEEE10hipError_tPvRmT1_T2_T3_mmT4_T5_P12ihipStream_tbEUlRKiE_EESM_SQ_SR_mSS_SV_bEUlT_E_NS1_11comp_targetILNS1_3genE5ELNS1_11target_archE942ELNS1_3gpuE9ELNS1_3repE0EEENS1_30default_config_static_selectorELNS0_4arch9wavefront6targetE0EEEvSP_,@function
_ZN7rocprim17ROCPRIM_400000_NS6detail17trampoline_kernelINS0_14default_configENS1_29binary_search_config_selectorIibEEZNS1_14transform_implILb0ES3_S5_N6thrust23THRUST_200600_302600_NS6detail15normal_iteratorINS8_10device_ptrIiEEEENSA_INSB_IbEEEEZNS1_13binary_searchIS3_S5_SD_SD_SF_NS1_16binary_search_opENS9_16wrapped_functionINS0_4lessIvEEbEEEE10hipError_tPvRmT1_T2_T3_mmT4_T5_P12ihipStream_tbEUlRKiE_EESM_SQ_SR_mSS_SV_bEUlT_E_NS1_11comp_targetILNS1_3genE5ELNS1_11target_archE942ELNS1_3gpuE9ELNS1_3repE0EEENS1_30default_config_static_selectorELNS0_4arch9wavefront6targetE0EEEvSP_: ; @_ZN7rocprim17ROCPRIM_400000_NS6detail17trampoline_kernelINS0_14default_configENS1_29binary_search_config_selectorIibEEZNS1_14transform_implILb0ES3_S5_N6thrust23THRUST_200600_302600_NS6detail15normal_iteratorINS8_10device_ptrIiEEEENSA_INSB_IbEEEEZNS1_13binary_searchIS3_S5_SD_SD_SF_NS1_16binary_search_opENS9_16wrapped_functionINS0_4lessIvEEbEEEE10hipError_tPvRmT1_T2_T3_mmT4_T5_P12ihipStream_tbEUlRKiE_EESM_SQ_SR_mSS_SV_bEUlT_E_NS1_11comp_targetILNS1_3genE5ELNS1_11target_archE942ELNS1_3gpuE9ELNS1_3repE0EEENS1_30default_config_static_selectorELNS0_4arch9wavefront6targetE0EEEvSP_
; %bb.0:
	.section	.rodata,"a",@progbits
	.p2align	6, 0x0
	.amdhsa_kernel _ZN7rocprim17ROCPRIM_400000_NS6detail17trampoline_kernelINS0_14default_configENS1_29binary_search_config_selectorIibEEZNS1_14transform_implILb0ES3_S5_N6thrust23THRUST_200600_302600_NS6detail15normal_iteratorINS8_10device_ptrIiEEEENSA_INSB_IbEEEEZNS1_13binary_searchIS3_S5_SD_SD_SF_NS1_16binary_search_opENS9_16wrapped_functionINS0_4lessIvEEbEEEE10hipError_tPvRmT1_T2_T3_mmT4_T5_P12ihipStream_tbEUlRKiE_EESM_SQ_SR_mSS_SV_bEUlT_E_NS1_11comp_targetILNS1_3genE5ELNS1_11target_archE942ELNS1_3gpuE9ELNS1_3repE0EEENS1_30default_config_static_selectorELNS0_4arch9wavefront6targetE0EEEvSP_
		.amdhsa_group_segment_fixed_size 0
		.amdhsa_private_segment_fixed_size 0
		.amdhsa_kernarg_size 56
		.amdhsa_user_sgpr_count 15
		.amdhsa_user_sgpr_dispatch_ptr 0
		.amdhsa_user_sgpr_queue_ptr 0
		.amdhsa_user_sgpr_kernarg_segment_ptr 1
		.amdhsa_user_sgpr_dispatch_id 0
		.amdhsa_user_sgpr_private_segment_size 0
		.amdhsa_wavefront_size32 1
		.amdhsa_uses_dynamic_stack 0
		.amdhsa_enable_private_segment 0
		.amdhsa_system_sgpr_workgroup_id_x 1
		.amdhsa_system_sgpr_workgroup_id_y 0
		.amdhsa_system_sgpr_workgroup_id_z 0
		.amdhsa_system_sgpr_workgroup_info 0
		.amdhsa_system_vgpr_workitem_id 0
		.amdhsa_next_free_vgpr 1
		.amdhsa_next_free_sgpr 1
		.amdhsa_reserve_vcc 0
		.amdhsa_float_round_mode_32 0
		.amdhsa_float_round_mode_16_64 0
		.amdhsa_float_denorm_mode_32 3
		.amdhsa_float_denorm_mode_16_64 3
		.amdhsa_dx10_clamp 1
		.amdhsa_ieee_mode 1
		.amdhsa_fp16_overflow 0
		.amdhsa_workgroup_processor_mode 1
		.amdhsa_memory_ordered 1
		.amdhsa_forward_progress 0
		.amdhsa_shared_vgpr_count 0
		.amdhsa_exception_fp_ieee_invalid_op 0
		.amdhsa_exception_fp_denorm_src 0
		.amdhsa_exception_fp_ieee_div_zero 0
		.amdhsa_exception_fp_ieee_overflow 0
		.amdhsa_exception_fp_ieee_underflow 0
		.amdhsa_exception_fp_ieee_inexact 0
		.amdhsa_exception_int_div_zero 0
	.end_amdhsa_kernel
	.section	.text._ZN7rocprim17ROCPRIM_400000_NS6detail17trampoline_kernelINS0_14default_configENS1_29binary_search_config_selectorIibEEZNS1_14transform_implILb0ES3_S5_N6thrust23THRUST_200600_302600_NS6detail15normal_iteratorINS8_10device_ptrIiEEEENSA_INSB_IbEEEEZNS1_13binary_searchIS3_S5_SD_SD_SF_NS1_16binary_search_opENS9_16wrapped_functionINS0_4lessIvEEbEEEE10hipError_tPvRmT1_T2_T3_mmT4_T5_P12ihipStream_tbEUlRKiE_EESM_SQ_SR_mSS_SV_bEUlT_E_NS1_11comp_targetILNS1_3genE5ELNS1_11target_archE942ELNS1_3gpuE9ELNS1_3repE0EEENS1_30default_config_static_selectorELNS0_4arch9wavefront6targetE0EEEvSP_,"axG",@progbits,_ZN7rocprim17ROCPRIM_400000_NS6detail17trampoline_kernelINS0_14default_configENS1_29binary_search_config_selectorIibEEZNS1_14transform_implILb0ES3_S5_N6thrust23THRUST_200600_302600_NS6detail15normal_iteratorINS8_10device_ptrIiEEEENSA_INSB_IbEEEEZNS1_13binary_searchIS3_S5_SD_SD_SF_NS1_16binary_search_opENS9_16wrapped_functionINS0_4lessIvEEbEEEE10hipError_tPvRmT1_T2_T3_mmT4_T5_P12ihipStream_tbEUlRKiE_EESM_SQ_SR_mSS_SV_bEUlT_E_NS1_11comp_targetILNS1_3genE5ELNS1_11target_archE942ELNS1_3gpuE9ELNS1_3repE0EEENS1_30default_config_static_selectorELNS0_4arch9wavefront6targetE0EEEvSP_,comdat
.Lfunc_end511:
	.size	_ZN7rocprim17ROCPRIM_400000_NS6detail17trampoline_kernelINS0_14default_configENS1_29binary_search_config_selectorIibEEZNS1_14transform_implILb0ES3_S5_N6thrust23THRUST_200600_302600_NS6detail15normal_iteratorINS8_10device_ptrIiEEEENSA_INSB_IbEEEEZNS1_13binary_searchIS3_S5_SD_SD_SF_NS1_16binary_search_opENS9_16wrapped_functionINS0_4lessIvEEbEEEE10hipError_tPvRmT1_T2_T3_mmT4_T5_P12ihipStream_tbEUlRKiE_EESM_SQ_SR_mSS_SV_bEUlT_E_NS1_11comp_targetILNS1_3genE5ELNS1_11target_archE942ELNS1_3gpuE9ELNS1_3repE0EEENS1_30default_config_static_selectorELNS0_4arch9wavefront6targetE0EEEvSP_, .Lfunc_end511-_ZN7rocprim17ROCPRIM_400000_NS6detail17trampoline_kernelINS0_14default_configENS1_29binary_search_config_selectorIibEEZNS1_14transform_implILb0ES3_S5_N6thrust23THRUST_200600_302600_NS6detail15normal_iteratorINS8_10device_ptrIiEEEENSA_INSB_IbEEEEZNS1_13binary_searchIS3_S5_SD_SD_SF_NS1_16binary_search_opENS9_16wrapped_functionINS0_4lessIvEEbEEEE10hipError_tPvRmT1_T2_T3_mmT4_T5_P12ihipStream_tbEUlRKiE_EESM_SQ_SR_mSS_SV_bEUlT_E_NS1_11comp_targetILNS1_3genE5ELNS1_11target_archE942ELNS1_3gpuE9ELNS1_3repE0EEENS1_30default_config_static_selectorELNS0_4arch9wavefront6targetE0EEEvSP_
                                        ; -- End function
	.section	.AMDGPU.csdata,"",@progbits
; Kernel info:
; codeLenInByte = 0
; NumSgprs: 0
; NumVgprs: 0
; ScratchSize: 0
; MemoryBound: 0
; FloatMode: 240
; IeeeMode: 1
; LDSByteSize: 0 bytes/workgroup (compile time only)
; SGPRBlocks: 0
; VGPRBlocks: 0
; NumSGPRsForWavesPerEU: 1
; NumVGPRsForWavesPerEU: 1
; Occupancy: 16
; WaveLimiterHint : 0
; COMPUTE_PGM_RSRC2:SCRATCH_EN: 0
; COMPUTE_PGM_RSRC2:USER_SGPR: 15
; COMPUTE_PGM_RSRC2:TRAP_HANDLER: 0
; COMPUTE_PGM_RSRC2:TGID_X_EN: 1
; COMPUTE_PGM_RSRC2:TGID_Y_EN: 0
; COMPUTE_PGM_RSRC2:TGID_Z_EN: 0
; COMPUTE_PGM_RSRC2:TIDIG_COMP_CNT: 0
	.section	.text._ZN7rocprim17ROCPRIM_400000_NS6detail17trampoline_kernelINS0_14default_configENS1_29binary_search_config_selectorIibEEZNS1_14transform_implILb0ES3_S5_N6thrust23THRUST_200600_302600_NS6detail15normal_iteratorINS8_10device_ptrIiEEEENSA_INSB_IbEEEEZNS1_13binary_searchIS3_S5_SD_SD_SF_NS1_16binary_search_opENS9_16wrapped_functionINS0_4lessIvEEbEEEE10hipError_tPvRmT1_T2_T3_mmT4_T5_P12ihipStream_tbEUlRKiE_EESM_SQ_SR_mSS_SV_bEUlT_E_NS1_11comp_targetILNS1_3genE4ELNS1_11target_archE910ELNS1_3gpuE8ELNS1_3repE0EEENS1_30default_config_static_selectorELNS0_4arch9wavefront6targetE0EEEvSP_,"axG",@progbits,_ZN7rocprim17ROCPRIM_400000_NS6detail17trampoline_kernelINS0_14default_configENS1_29binary_search_config_selectorIibEEZNS1_14transform_implILb0ES3_S5_N6thrust23THRUST_200600_302600_NS6detail15normal_iteratorINS8_10device_ptrIiEEEENSA_INSB_IbEEEEZNS1_13binary_searchIS3_S5_SD_SD_SF_NS1_16binary_search_opENS9_16wrapped_functionINS0_4lessIvEEbEEEE10hipError_tPvRmT1_T2_T3_mmT4_T5_P12ihipStream_tbEUlRKiE_EESM_SQ_SR_mSS_SV_bEUlT_E_NS1_11comp_targetILNS1_3genE4ELNS1_11target_archE910ELNS1_3gpuE8ELNS1_3repE0EEENS1_30default_config_static_selectorELNS0_4arch9wavefront6targetE0EEEvSP_,comdat
	.protected	_ZN7rocprim17ROCPRIM_400000_NS6detail17trampoline_kernelINS0_14default_configENS1_29binary_search_config_selectorIibEEZNS1_14transform_implILb0ES3_S5_N6thrust23THRUST_200600_302600_NS6detail15normal_iteratorINS8_10device_ptrIiEEEENSA_INSB_IbEEEEZNS1_13binary_searchIS3_S5_SD_SD_SF_NS1_16binary_search_opENS9_16wrapped_functionINS0_4lessIvEEbEEEE10hipError_tPvRmT1_T2_T3_mmT4_T5_P12ihipStream_tbEUlRKiE_EESM_SQ_SR_mSS_SV_bEUlT_E_NS1_11comp_targetILNS1_3genE4ELNS1_11target_archE910ELNS1_3gpuE8ELNS1_3repE0EEENS1_30default_config_static_selectorELNS0_4arch9wavefront6targetE0EEEvSP_ ; -- Begin function _ZN7rocprim17ROCPRIM_400000_NS6detail17trampoline_kernelINS0_14default_configENS1_29binary_search_config_selectorIibEEZNS1_14transform_implILb0ES3_S5_N6thrust23THRUST_200600_302600_NS6detail15normal_iteratorINS8_10device_ptrIiEEEENSA_INSB_IbEEEEZNS1_13binary_searchIS3_S5_SD_SD_SF_NS1_16binary_search_opENS9_16wrapped_functionINS0_4lessIvEEbEEEE10hipError_tPvRmT1_T2_T3_mmT4_T5_P12ihipStream_tbEUlRKiE_EESM_SQ_SR_mSS_SV_bEUlT_E_NS1_11comp_targetILNS1_3genE4ELNS1_11target_archE910ELNS1_3gpuE8ELNS1_3repE0EEENS1_30default_config_static_selectorELNS0_4arch9wavefront6targetE0EEEvSP_
	.globl	_ZN7rocprim17ROCPRIM_400000_NS6detail17trampoline_kernelINS0_14default_configENS1_29binary_search_config_selectorIibEEZNS1_14transform_implILb0ES3_S5_N6thrust23THRUST_200600_302600_NS6detail15normal_iteratorINS8_10device_ptrIiEEEENSA_INSB_IbEEEEZNS1_13binary_searchIS3_S5_SD_SD_SF_NS1_16binary_search_opENS9_16wrapped_functionINS0_4lessIvEEbEEEE10hipError_tPvRmT1_T2_T3_mmT4_T5_P12ihipStream_tbEUlRKiE_EESM_SQ_SR_mSS_SV_bEUlT_E_NS1_11comp_targetILNS1_3genE4ELNS1_11target_archE910ELNS1_3gpuE8ELNS1_3repE0EEENS1_30default_config_static_selectorELNS0_4arch9wavefront6targetE0EEEvSP_
	.p2align	8
	.type	_ZN7rocprim17ROCPRIM_400000_NS6detail17trampoline_kernelINS0_14default_configENS1_29binary_search_config_selectorIibEEZNS1_14transform_implILb0ES3_S5_N6thrust23THRUST_200600_302600_NS6detail15normal_iteratorINS8_10device_ptrIiEEEENSA_INSB_IbEEEEZNS1_13binary_searchIS3_S5_SD_SD_SF_NS1_16binary_search_opENS9_16wrapped_functionINS0_4lessIvEEbEEEE10hipError_tPvRmT1_T2_T3_mmT4_T5_P12ihipStream_tbEUlRKiE_EESM_SQ_SR_mSS_SV_bEUlT_E_NS1_11comp_targetILNS1_3genE4ELNS1_11target_archE910ELNS1_3gpuE8ELNS1_3repE0EEENS1_30default_config_static_selectorELNS0_4arch9wavefront6targetE0EEEvSP_,@function
_ZN7rocprim17ROCPRIM_400000_NS6detail17trampoline_kernelINS0_14default_configENS1_29binary_search_config_selectorIibEEZNS1_14transform_implILb0ES3_S5_N6thrust23THRUST_200600_302600_NS6detail15normal_iteratorINS8_10device_ptrIiEEEENSA_INSB_IbEEEEZNS1_13binary_searchIS3_S5_SD_SD_SF_NS1_16binary_search_opENS9_16wrapped_functionINS0_4lessIvEEbEEEE10hipError_tPvRmT1_T2_T3_mmT4_T5_P12ihipStream_tbEUlRKiE_EESM_SQ_SR_mSS_SV_bEUlT_E_NS1_11comp_targetILNS1_3genE4ELNS1_11target_archE910ELNS1_3gpuE8ELNS1_3repE0EEENS1_30default_config_static_selectorELNS0_4arch9wavefront6targetE0EEEvSP_: ; @_ZN7rocprim17ROCPRIM_400000_NS6detail17trampoline_kernelINS0_14default_configENS1_29binary_search_config_selectorIibEEZNS1_14transform_implILb0ES3_S5_N6thrust23THRUST_200600_302600_NS6detail15normal_iteratorINS8_10device_ptrIiEEEENSA_INSB_IbEEEEZNS1_13binary_searchIS3_S5_SD_SD_SF_NS1_16binary_search_opENS9_16wrapped_functionINS0_4lessIvEEbEEEE10hipError_tPvRmT1_T2_T3_mmT4_T5_P12ihipStream_tbEUlRKiE_EESM_SQ_SR_mSS_SV_bEUlT_E_NS1_11comp_targetILNS1_3genE4ELNS1_11target_archE910ELNS1_3gpuE8ELNS1_3repE0EEENS1_30default_config_static_selectorELNS0_4arch9wavefront6targetE0EEEvSP_
; %bb.0:
	.section	.rodata,"a",@progbits
	.p2align	6, 0x0
	.amdhsa_kernel _ZN7rocprim17ROCPRIM_400000_NS6detail17trampoline_kernelINS0_14default_configENS1_29binary_search_config_selectorIibEEZNS1_14transform_implILb0ES3_S5_N6thrust23THRUST_200600_302600_NS6detail15normal_iteratorINS8_10device_ptrIiEEEENSA_INSB_IbEEEEZNS1_13binary_searchIS3_S5_SD_SD_SF_NS1_16binary_search_opENS9_16wrapped_functionINS0_4lessIvEEbEEEE10hipError_tPvRmT1_T2_T3_mmT4_T5_P12ihipStream_tbEUlRKiE_EESM_SQ_SR_mSS_SV_bEUlT_E_NS1_11comp_targetILNS1_3genE4ELNS1_11target_archE910ELNS1_3gpuE8ELNS1_3repE0EEENS1_30default_config_static_selectorELNS0_4arch9wavefront6targetE0EEEvSP_
		.amdhsa_group_segment_fixed_size 0
		.amdhsa_private_segment_fixed_size 0
		.amdhsa_kernarg_size 56
		.amdhsa_user_sgpr_count 15
		.amdhsa_user_sgpr_dispatch_ptr 0
		.amdhsa_user_sgpr_queue_ptr 0
		.amdhsa_user_sgpr_kernarg_segment_ptr 1
		.amdhsa_user_sgpr_dispatch_id 0
		.amdhsa_user_sgpr_private_segment_size 0
		.amdhsa_wavefront_size32 1
		.amdhsa_uses_dynamic_stack 0
		.amdhsa_enable_private_segment 0
		.amdhsa_system_sgpr_workgroup_id_x 1
		.amdhsa_system_sgpr_workgroup_id_y 0
		.amdhsa_system_sgpr_workgroup_id_z 0
		.amdhsa_system_sgpr_workgroup_info 0
		.amdhsa_system_vgpr_workitem_id 0
		.amdhsa_next_free_vgpr 1
		.amdhsa_next_free_sgpr 1
		.amdhsa_reserve_vcc 0
		.amdhsa_float_round_mode_32 0
		.amdhsa_float_round_mode_16_64 0
		.amdhsa_float_denorm_mode_32 3
		.amdhsa_float_denorm_mode_16_64 3
		.amdhsa_dx10_clamp 1
		.amdhsa_ieee_mode 1
		.amdhsa_fp16_overflow 0
		.amdhsa_workgroup_processor_mode 1
		.amdhsa_memory_ordered 1
		.amdhsa_forward_progress 0
		.amdhsa_shared_vgpr_count 0
		.amdhsa_exception_fp_ieee_invalid_op 0
		.amdhsa_exception_fp_denorm_src 0
		.amdhsa_exception_fp_ieee_div_zero 0
		.amdhsa_exception_fp_ieee_overflow 0
		.amdhsa_exception_fp_ieee_underflow 0
		.amdhsa_exception_fp_ieee_inexact 0
		.amdhsa_exception_int_div_zero 0
	.end_amdhsa_kernel
	.section	.text._ZN7rocprim17ROCPRIM_400000_NS6detail17trampoline_kernelINS0_14default_configENS1_29binary_search_config_selectorIibEEZNS1_14transform_implILb0ES3_S5_N6thrust23THRUST_200600_302600_NS6detail15normal_iteratorINS8_10device_ptrIiEEEENSA_INSB_IbEEEEZNS1_13binary_searchIS3_S5_SD_SD_SF_NS1_16binary_search_opENS9_16wrapped_functionINS0_4lessIvEEbEEEE10hipError_tPvRmT1_T2_T3_mmT4_T5_P12ihipStream_tbEUlRKiE_EESM_SQ_SR_mSS_SV_bEUlT_E_NS1_11comp_targetILNS1_3genE4ELNS1_11target_archE910ELNS1_3gpuE8ELNS1_3repE0EEENS1_30default_config_static_selectorELNS0_4arch9wavefront6targetE0EEEvSP_,"axG",@progbits,_ZN7rocprim17ROCPRIM_400000_NS6detail17trampoline_kernelINS0_14default_configENS1_29binary_search_config_selectorIibEEZNS1_14transform_implILb0ES3_S5_N6thrust23THRUST_200600_302600_NS6detail15normal_iteratorINS8_10device_ptrIiEEEENSA_INSB_IbEEEEZNS1_13binary_searchIS3_S5_SD_SD_SF_NS1_16binary_search_opENS9_16wrapped_functionINS0_4lessIvEEbEEEE10hipError_tPvRmT1_T2_T3_mmT4_T5_P12ihipStream_tbEUlRKiE_EESM_SQ_SR_mSS_SV_bEUlT_E_NS1_11comp_targetILNS1_3genE4ELNS1_11target_archE910ELNS1_3gpuE8ELNS1_3repE0EEENS1_30default_config_static_selectorELNS0_4arch9wavefront6targetE0EEEvSP_,comdat
.Lfunc_end512:
	.size	_ZN7rocprim17ROCPRIM_400000_NS6detail17trampoline_kernelINS0_14default_configENS1_29binary_search_config_selectorIibEEZNS1_14transform_implILb0ES3_S5_N6thrust23THRUST_200600_302600_NS6detail15normal_iteratorINS8_10device_ptrIiEEEENSA_INSB_IbEEEEZNS1_13binary_searchIS3_S5_SD_SD_SF_NS1_16binary_search_opENS9_16wrapped_functionINS0_4lessIvEEbEEEE10hipError_tPvRmT1_T2_T3_mmT4_T5_P12ihipStream_tbEUlRKiE_EESM_SQ_SR_mSS_SV_bEUlT_E_NS1_11comp_targetILNS1_3genE4ELNS1_11target_archE910ELNS1_3gpuE8ELNS1_3repE0EEENS1_30default_config_static_selectorELNS0_4arch9wavefront6targetE0EEEvSP_, .Lfunc_end512-_ZN7rocprim17ROCPRIM_400000_NS6detail17trampoline_kernelINS0_14default_configENS1_29binary_search_config_selectorIibEEZNS1_14transform_implILb0ES3_S5_N6thrust23THRUST_200600_302600_NS6detail15normal_iteratorINS8_10device_ptrIiEEEENSA_INSB_IbEEEEZNS1_13binary_searchIS3_S5_SD_SD_SF_NS1_16binary_search_opENS9_16wrapped_functionINS0_4lessIvEEbEEEE10hipError_tPvRmT1_T2_T3_mmT4_T5_P12ihipStream_tbEUlRKiE_EESM_SQ_SR_mSS_SV_bEUlT_E_NS1_11comp_targetILNS1_3genE4ELNS1_11target_archE910ELNS1_3gpuE8ELNS1_3repE0EEENS1_30default_config_static_selectorELNS0_4arch9wavefront6targetE0EEEvSP_
                                        ; -- End function
	.section	.AMDGPU.csdata,"",@progbits
; Kernel info:
; codeLenInByte = 0
; NumSgprs: 0
; NumVgprs: 0
; ScratchSize: 0
; MemoryBound: 0
; FloatMode: 240
; IeeeMode: 1
; LDSByteSize: 0 bytes/workgroup (compile time only)
; SGPRBlocks: 0
; VGPRBlocks: 0
; NumSGPRsForWavesPerEU: 1
; NumVGPRsForWavesPerEU: 1
; Occupancy: 16
; WaveLimiterHint : 0
; COMPUTE_PGM_RSRC2:SCRATCH_EN: 0
; COMPUTE_PGM_RSRC2:USER_SGPR: 15
; COMPUTE_PGM_RSRC2:TRAP_HANDLER: 0
; COMPUTE_PGM_RSRC2:TGID_X_EN: 1
; COMPUTE_PGM_RSRC2:TGID_Y_EN: 0
; COMPUTE_PGM_RSRC2:TGID_Z_EN: 0
; COMPUTE_PGM_RSRC2:TIDIG_COMP_CNT: 0
	.section	.text._ZN7rocprim17ROCPRIM_400000_NS6detail17trampoline_kernelINS0_14default_configENS1_29binary_search_config_selectorIibEEZNS1_14transform_implILb0ES3_S5_N6thrust23THRUST_200600_302600_NS6detail15normal_iteratorINS8_10device_ptrIiEEEENSA_INSB_IbEEEEZNS1_13binary_searchIS3_S5_SD_SD_SF_NS1_16binary_search_opENS9_16wrapped_functionINS0_4lessIvEEbEEEE10hipError_tPvRmT1_T2_T3_mmT4_T5_P12ihipStream_tbEUlRKiE_EESM_SQ_SR_mSS_SV_bEUlT_E_NS1_11comp_targetILNS1_3genE3ELNS1_11target_archE908ELNS1_3gpuE7ELNS1_3repE0EEENS1_30default_config_static_selectorELNS0_4arch9wavefront6targetE0EEEvSP_,"axG",@progbits,_ZN7rocprim17ROCPRIM_400000_NS6detail17trampoline_kernelINS0_14default_configENS1_29binary_search_config_selectorIibEEZNS1_14transform_implILb0ES3_S5_N6thrust23THRUST_200600_302600_NS6detail15normal_iteratorINS8_10device_ptrIiEEEENSA_INSB_IbEEEEZNS1_13binary_searchIS3_S5_SD_SD_SF_NS1_16binary_search_opENS9_16wrapped_functionINS0_4lessIvEEbEEEE10hipError_tPvRmT1_T2_T3_mmT4_T5_P12ihipStream_tbEUlRKiE_EESM_SQ_SR_mSS_SV_bEUlT_E_NS1_11comp_targetILNS1_3genE3ELNS1_11target_archE908ELNS1_3gpuE7ELNS1_3repE0EEENS1_30default_config_static_selectorELNS0_4arch9wavefront6targetE0EEEvSP_,comdat
	.protected	_ZN7rocprim17ROCPRIM_400000_NS6detail17trampoline_kernelINS0_14default_configENS1_29binary_search_config_selectorIibEEZNS1_14transform_implILb0ES3_S5_N6thrust23THRUST_200600_302600_NS6detail15normal_iteratorINS8_10device_ptrIiEEEENSA_INSB_IbEEEEZNS1_13binary_searchIS3_S5_SD_SD_SF_NS1_16binary_search_opENS9_16wrapped_functionINS0_4lessIvEEbEEEE10hipError_tPvRmT1_T2_T3_mmT4_T5_P12ihipStream_tbEUlRKiE_EESM_SQ_SR_mSS_SV_bEUlT_E_NS1_11comp_targetILNS1_3genE3ELNS1_11target_archE908ELNS1_3gpuE7ELNS1_3repE0EEENS1_30default_config_static_selectorELNS0_4arch9wavefront6targetE0EEEvSP_ ; -- Begin function _ZN7rocprim17ROCPRIM_400000_NS6detail17trampoline_kernelINS0_14default_configENS1_29binary_search_config_selectorIibEEZNS1_14transform_implILb0ES3_S5_N6thrust23THRUST_200600_302600_NS6detail15normal_iteratorINS8_10device_ptrIiEEEENSA_INSB_IbEEEEZNS1_13binary_searchIS3_S5_SD_SD_SF_NS1_16binary_search_opENS9_16wrapped_functionINS0_4lessIvEEbEEEE10hipError_tPvRmT1_T2_T3_mmT4_T5_P12ihipStream_tbEUlRKiE_EESM_SQ_SR_mSS_SV_bEUlT_E_NS1_11comp_targetILNS1_3genE3ELNS1_11target_archE908ELNS1_3gpuE7ELNS1_3repE0EEENS1_30default_config_static_selectorELNS0_4arch9wavefront6targetE0EEEvSP_
	.globl	_ZN7rocprim17ROCPRIM_400000_NS6detail17trampoline_kernelINS0_14default_configENS1_29binary_search_config_selectorIibEEZNS1_14transform_implILb0ES3_S5_N6thrust23THRUST_200600_302600_NS6detail15normal_iteratorINS8_10device_ptrIiEEEENSA_INSB_IbEEEEZNS1_13binary_searchIS3_S5_SD_SD_SF_NS1_16binary_search_opENS9_16wrapped_functionINS0_4lessIvEEbEEEE10hipError_tPvRmT1_T2_T3_mmT4_T5_P12ihipStream_tbEUlRKiE_EESM_SQ_SR_mSS_SV_bEUlT_E_NS1_11comp_targetILNS1_3genE3ELNS1_11target_archE908ELNS1_3gpuE7ELNS1_3repE0EEENS1_30default_config_static_selectorELNS0_4arch9wavefront6targetE0EEEvSP_
	.p2align	8
	.type	_ZN7rocprim17ROCPRIM_400000_NS6detail17trampoline_kernelINS0_14default_configENS1_29binary_search_config_selectorIibEEZNS1_14transform_implILb0ES3_S5_N6thrust23THRUST_200600_302600_NS6detail15normal_iteratorINS8_10device_ptrIiEEEENSA_INSB_IbEEEEZNS1_13binary_searchIS3_S5_SD_SD_SF_NS1_16binary_search_opENS9_16wrapped_functionINS0_4lessIvEEbEEEE10hipError_tPvRmT1_T2_T3_mmT4_T5_P12ihipStream_tbEUlRKiE_EESM_SQ_SR_mSS_SV_bEUlT_E_NS1_11comp_targetILNS1_3genE3ELNS1_11target_archE908ELNS1_3gpuE7ELNS1_3repE0EEENS1_30default_config_static_selectorELNS0_4arch9wavefront6targetE0EEEvSP_,@function
_ZN7rocprim17ROCPRIM_400000_NS6detail17trampoline_kernelINS0_14default_configENS1_29binary_search_config_selectorIibEEZNS1_14transform_implILb0ES3_S5_N6thrust23THRUST_200600_302600_NS6detail15normal_iteratorINS8_10device_ptrIiEEEENSA_INSB_IbEEEEZNS1_13binary_searchIS3_S5_SD_SD_SF_NS1_16binary_search_opENS9_16wrapped_functionINS0_4lessIvEEbEEEE10hipError_tPvRmT1_T2_T3_mmT4_T5_P12ihipStream_tbEUlRKiE_EESM_SQ_SR_mSS_SV_bEUlT_E_NS1_11comp_targetILNS1_3genE3ELNS1_11target_archE908ELNS1_3gpuE7ELNS1_3repE0EEENS1_30default_config_static_selectorELNS0_4arch9wavefront6targetE0EEEvSP_: ; @_ZN7rocprim17ROCPRIM_400000_NS6detail17trampoline_kernelINS0_14default_configENS1_29binary_search_config_selectorIibEEZNS1_14transform_implILb0ES3_S5_N6thrust23THRUST_200600_302600_NS6detail15normal_iteratorINS8_10device_ptrIiEEEENSA_INSB_IbEEEEZNS1_13binary_searchIS3_S5_SD_SD_SF_NS1_16binary_search_opENS9_16wrapped_functionINS0_4lessIvEEbEEEE10hipError_tPvRmT1_T2_T3_mmT4_T5_P12ihipStream_tbEUlRKiE_EESM_SQ_SR_mSS_SV_bEUlT_E_NS1_11comp_targetILNS1_3genE3ELNS1_11target_archE908ELNS1_3gpuE7ELNS1_3repE0EEENS1_30default_config_static_selectorELNS0_4arch9wavefront6targetE0EEEvSP_
; %bb.0:
	.section	.rodata,"a",@progbits
	.p2align	6, 0x0
	.amdhsa_kernel _ZN7rocprim17ROCPRIM_400000_NS6detail17trampoline_kernelINS0_14default_configENS1_29binary_search_config_selectorIibEEZNS1_14transform_implILb0ES3_S5_N6thrust23THRUST_200600_302600_NS6detail15normal_iteratorINS8_10device_ptrIiEEEENSA_INSB_IbEEEEZNS1_13binary_searchIS3_S5_SD_SD_SF_NS1_16binary_search_opENS9_16wrapped_functionINS0_4lessIvEEbEEEE10hipError_tPvRmT1_T2_T3_mmT4_T5_P12ihipStream_tbEUlRKiE_EESM_SQ_SR_mSS_SV_bEUlT_E_NS1_11comp_targetILNS1_3genE3ELNS1_11target_archE908ELNS1_3gpuE7ELNS1_3repE0EEENS1_30default_config_static_selectorELNS0_4arch9wavefront6targetE0EEEvSP_
		.amdhsa_group_segment_fixed_size 0
		.amdhsa_private_segment_fixed_size 0
		.amdhsa_kernarg_size 56
		.amdhsa_user_sgpr_count 15
		.amdhsa_user_sgpr_dispatch_ptr 0
		.amdhsa_user_sgpr_queue_ptr 0
		.amdhsa_user_sgpr_kernarg_segment_ptr 1
		.amdhsa_user_sgpr_dispatch_id 0
		.amdhsa_user_sgpr_private_segment_size 0
		.amdhsa_wavefront_size32 1
		.amdhsa_uses_dynamic_stack 0
		.amdhsa_enable_private_segment 0
		.amdhsa_system_sgpr_workgroup_id_x 1
		.amdhsa_system_sgpr_workgroup_id_y 0
		.amdhsa_system_sgpr_workgroup_id_z 0
		.amdhsa_system_sgpr_workgroup_info 0
		.amdhsa_system_vgpr_workitem_id 0
		.amdhsa_next_free_vgpr 1
		.amdhsa_next_free_sgpr 1
		.amdhsa_reserve_vcc 0
		.amdhsa_float_round_mode_32 0
		.amdhsa_float_round_mode_16_64 0
		.amdhsa_float_denorm_mode_32 3
		.amdhsa_float_denorm_mode_16_64 3
		.amdhsa_dx10_clamp 1
		.amdhsa_ieee_mode 1
		.amdhsa_fp16_overflow 0
		.amdhsa_workgroup_processor_mode 1
		.amdhsa_memory_ordered 1
		.amdhsa_forward_progress 0
		.amdhsa_shared_vgpr_count 0
		.amdhsa_exception_fp_ieee_invalid_op 0
		.amdhsa_exception_fp_denorm_src 0
		.amdhsa_exception_fp_ieee_div_zero 0
		.amdhsa_exception_fp_ieee_overflow 0
		.amdhsa_exception_fp_ieee_underflow 0
		.amdhsa_exception_fp_ieee_inexact 0
		.amdhsa_exception_int_div_zero 0
	.end_amdhsa_kernel
	.section	.text._ZN7rocprim17ROCPRIM_400000_NS6detail17trampoline_kernelINS0_14default_configENS1_29binary_search_config_selectorIibEEZNS1_14transform_implILb0ES3_S5_N6thrust23THRUST_200600_302600_NS6detail15normal_iteratorINS8_10device_ptrIiEEEENSA_INSB_IbEEEEZNS1_13binary_searchIS3_S5_SD_SD_SF_NS1_16binary_search_opENS9_16wrapped_functionINS0_4lessIvEEbEEEE10hipError_tPvRmT1_T2_T3_mmT4_T5_P12ihipStream_tbEUlRKiE_EESM_SQ_SR_mSS_SV_bEUlT_E_NS1_11comp_targetILNS1_3genE3ELNS1_11target_archE908ELNS1_3gpuE7ELNS1_3repE0EEENS1_30default_config_static_selectorELNS0_4arch9wavefront6targetE0EEEvSP_,"axG",@progbits,_ZN7rocprim17ROCPRIM_400000_NS6detail17trampoline_kernelINS0_14default_configENS1_29binary_search_config_selectorIibEEZNS1_14transform_implILb0ES3_S5_N6thrust23THRUST_200600_302600_NS6detail15normal_iteratorINS8_10device_ptrIiEEEENSA_INSB_IbEEEEZNS1_13binary_searchIS3_S5_SD_SD_SF_NS1_16binary_search_opENS9_16wrapped_functionINS0_4lessIvEEbEEEE10hipError_tPvRmT1_T2_T3_mmT4_T5_P12ihipStream_tbEUlRKiE_EESM_SQ_SR_mSS_SV_bEUlT_E_NS1_11comp_targetILNS1_3genE3ELNS1_11target_archE908ELNS1_3gpuE7ELNS1_3repE0EEENS1_30default_config_static_selectorELNS0_4arch9wavefront6targetE0EEEvSP_,comdat
.Lfunc_end513:
	.size	_ZN7rocprim17ROCPRIM_400000_NS6detail17trampoline_kernelINS0_14default_configENS1_29binary_search_config_selectorIibEEZNS1_14transform_implILb0ES3_S5_N6thrust23THRUST_200600_302600_NS6detail15normal_iteratorINS8_10device_ptrIiEEEENSA_INSB_IbEEEEZNS1_13binary_searchIS3_S5_SD_SD_SF_NS1_16binary_search_opENS9_16wrapped_functionINS0_4lessIvEEbEEEE10hipError_tPvRmT1_T2_T3_mmT4_T5_P12ihipStream_tbEUlRKiE_EESM_SQ_SR_mSS_SV_bEUlT_E_NS1_11comp_targetILNS1_3genE3ELNS1_11target_archE908ELNS1_3gpuE7ELNS1_3repE0EEENS1_30default_config_static_selectorELNS0_4arch9wavefront6targetE0EEEvSP_, .Lfunc_end513-_ZN7rocprim17ROCPRIM_400000_NS6detail17trampoline_kernelINS0_14default_configENS1_29binary_search_config_selectorIibEEZNS1_14transform_implILb0ES3_S5_N6thrust23THRUST_200600_302600_NS6detail15normal_iteratorINS8_10device_ptrIiEEEENSA_INSB_IbEEEEZNS1_13binary_searchIS3_S5_SD_SD_SF_NS1_16binary_search_opENS9_16wrapped_functionINS0_4lessIvEEbEEEE10hipError_tPvRmT1_T2_T3_mmT4_T5_P12ihipStream_tbEUlRKiE_EESM_SQ_SR_mSS_SV_bEUlT_E_NS1_11comp_targetILNS1_3genE3ELNS1_11target_archE908ELNS1_3gpuE7ELNS1_3repE0EEENS1_30default_config_static_selectorELNS0_4arch9wavefront6targetE0EEEvSP_
                                        ; -- End function
	.section	.AMDGPU.csdata,"",@progbits
; Kernel info:
; codeLenInByte = 0
; NumSgprs: 0
; NumVgprs: 0
; ScratchSize: 0
; MemoryBound: 0
; FloatMode: 240
; IeeeMode: 1
; LDSByteSize: 0 bytes/workgroup (compile time only)
; SGPRBlocks: 0
; VGPRBlocks: 0
; NumSGPRsForWavesPerEU: 1
; NumVGPRsForWavesPerEU: 1
; Occupancy: 16
; WaveLimiterHint : 0
; COMPUTE_PGM_RSRC2:SCRATCH_EN: 0
; COMPUTE_PGM_RSRC2:USER_SGPR: 15
; COMPUTE_PGM_RSRC2:TRAP_HANDLER: 0
; COMPUTE_PGM_RSRC2:TGID_X_EN: 1
; COMPUTE_PGM_RSRC2:TGID_Y_EN: 0
; COMPUTE_PGM_RSRC2:TGID_Z_EN: 0
; COMPUTE_PGM_RSRC2:TIDIG_COMP_CNT: 0
	.section	.text._ZN7rocprim17ROCPRIM_400000_NS6detail17trampoline_kernelINS0_14default_configENS1_29binary_search_config_selectorIibEEZNS1_14transform_implILb0ES3_S5_N6thrust23THRUST_200600_302600_NS6detail15normal_iteratorINS8_10device_ptrIiEEEENSA_INSB_IbEEEEZNS1_13binary_searchIS3_S5_SD_SD_SF_NS1_16binary_search_opENS9_16wrapped_functionINS0_4lessIvEEbEEEE10hipError_tPvRmT1_T2_T3_mmT4_T5_P12ihipStream_tbEUlRKiE_EESM_SQ_SR_mSS_SV_bEUlT_E_NS1_11comp_targetILNS1_3genE2ELNS1_11target_archE906ELNS1_3gpuE6ELNS1_3repE0EEENS1_30default_config_static_selectorELNS0_4arch9wavefront6targetE0EEEvSP_,"axG",@progbits,_ZN7rocprim17ROCPRIM_400000_NS6detail17trampoline_kernelINS0_14default_configENS1_29binary_search_config_selectorIibEEZNS1_14transform_implILb0ES3_S5_N6thrust23THRUST_200600_302600_NS6detail15normal_iteratorINS8_10device_ptrIiEEEENSA_INSB_IbEEEEZNS1_13binary_searchIS3_S5_SD_SD_SF_NS1_16binary_search_opENS9_16wrapped_functionINS0_4lessIvEEbEEEE10hipError_tPvRmT1_T2_T3_mmT4_T5_P12ihipStream_tbEUlRKiE_EESM_SQ_SR_mSS_SV_bEUlT_E_NS1_11comp_targetILNS1_3genE2ELNS1_11target_archE906ELNS1_3gpuE6ELNS1_3repE0EEENS1_30default_config_static_selectorELNS0_4arch9wavefront6targetE0EEEvSP_,comdat
	.protected	_ZN7rocprim17ROCPRIM_400000_NS6detail17trampoline_kernelINS0_14default_configENS1_29binary_search_config_selectorIibEEZNS1_14transform_implILb0ES3_S5_N6thrust23THRUST_200600_302600_NS6detail15normal_iteratorINS8_10device_ptrIiEEEENSA_INSB_IbEEEEZNS1_13binary_searchIS3_S5_SD_SD_SF_NS1_16binary_search_opENS9_16wrapped_functionINS0_4lessIvEEbEEEE10hipError_tPvRmT1_T2_T3_mmT4_T5_P12ihipStream_tbEUlRKiE_EESM_SQ_SR_mSS_SV_bEUlT_E_NS1_11comp_targetILNS1_3genE2ELNS1_11target_archE906ELNS1_3gpuE6ELNS1_3repE0EEENS1_30default_config_static_selectorELNS0_4arch9wavefront6targetE0EEEvSP_ ; -- Begin function _ZN7rocprim17ROCPRIM_400000_NS6detail17trampoline_kernelINS0_14default_configENS1_29binary_search_config_selectorIibEEZNS1_14transform_implILb0ES3_S5_N6thrust23THRUST_200600_302600_NS6detail15normal_iteratorINS8_10device_ptrIiEEEENSA_INSB_IbEEEEZNS1_13binary_searchIS3_S5_SD_SD_SF_NS1_16binary_search_opENS9_16wrapped_functionINS0_4lessIvEEbEEEE10hipError_tPvRmT1_T2_T3_mmT4_T5_P12ihipStream_tbEUlRKiE_EESM_SQ_SR_mSS_SV_bEUlT_E_NS1_11comp_targetILNS1_3genE2ELNS1_11target_archE906ELNS1_3gpuE6ELNS1_3repE0EEENS1_30default_config_static_selectorELNS0_4arch9wavefront6targetE0EEEvSP_
	.globl	_ZN7rocprim17ROCPRIM_400000_NS6detail17trampoline_kernelINS0_14default_configENS1_29binary_search_config_selectorIibEEZNS1_14transform_implILb0ES3_S5_N6thrust23THRUST_200600_302600_NS6detail15normal_iteratorINS8_10device_ptrIiEEEENSA_INSB_IbEEEEZNS1_13binary_searchIS3_S5_SD_SD_SF_NS1_16binary_search_opENS9_16wrapped_functionINS0_4lessIvEEbEEEE10hipError_tPvRmT1_T2_T3_mmT4_T5_P12ihipStream_tbEUlRKiE_EESM_SQ_SR_mSS_SV_bEUlT_E_NS1_11comp_targetILNS1_3genE2ELNS1_11target_archE906ELNS1_3gpuE6ELNS1_3repE0EEENS1_30default_config_static_selectorELNS0_4arch9wavefront6targetE0EEEvSP_
	.p2align	8
	.type	_ZN7rocprim17ROCPRIM_400000_NS6detail17trampoline_kernelINS0_14default_configENS1_29binary_search_config_selectorIibEEZNS1_14transform_implILb0ES3_S5_N6thrust23THRUST_200600_302600_NS6detail15normal_iteratorINS8_10device_ptrIiEEEENSA_INSB_IbEEEEZNS1_13binary_searchIS3_S5_SD_SD_SF_NS1_16binary_search_opENS9_16wrapped_functionINS0_4lessIvEEbEEEE10hipError_tPvRmT1_T2_T3_mmT4_T5_P12ihipStream_tbEUlRKiE_EESM_SQ_SR_mSS_SV_bEUlT_E_NS1_11comp_targetILNS1_3genE2ELNS1_11target_archE906ELNS1_3gpuE6ELNS1_3repE0EEENS1_30default_config_static_selectorELNS0_4arch9wavefront6targetE0EEEvSP_,@function
_ZN7rocprim17ROCPRIM_400000_NS6detail17trampoline_kernelINS0_14default_configENS1_29binary_search_config_selectorIibEEZNS1_14transform_implILb0ES3_S5_N6thrust23THRUST_200600_302600_NS6detail15normal_iteratorINS8_10device_ptrIiEEEENSA_INSB_IbEEEEZNS1_13binary_searchIS3_S5_SD_SD_SF_NS1_16binary_search_opENS9_16wrapped_functionINS0_4lessIvEEbEEEE10hipError_tPvRmT1_T2_T3_mmT4_T5_P12ihipStream_tbEUlRKiE_EESM_SQ_SR_mSS_SV_bEUlT_E_NS1_11comp_targetILNS1_3genE2ELNS1_11target_archE906ELNS1_3gpuE6ELNS1_3repE0EEENS1_30default_config_static_selectorELNS0_4arch9wavefront6targetE0EEEvSP_: ; @_ZN7rocprim17ROCPRIM_400000_NS6detail17trampoline_kernelINS0_14default_configENS1_29binary_search_config_selectorIibEEZNS1_14transform_implILb0ES3_S5_N6thrust23THRUST_200600_302600_NS6detail15normal_iteratorINS8_10device_ptrIiEEEENSA_INSB_IbEEEEZNS1_13binary_searchIS3_S5_SD_SD_SF_NS1_16binary_search_opENS9_16wrapped_functionINS0_4lessIvEEbEEEE10hipError_tPvRmT1_T2_T3_mmT4_T5_P12ihipStream_tbEUlRKiE_EESM_SQ_SR_mSS_SV_bEUlT_E_NS1_11comp_targetILNS1_3genE2ELNS1_11target_archE906ELNS1_3gpuE6ELNS1_3repE0EEENS1_30default_config_static_selectorELNS0_4arch9wavefront6targetE0EEEvSP_
; %bb.0:
	.section	.rodata,"a",@progbits
	.p2align	6, 0x0
	.amdhsa_kernel _ZN7rocprim17ROCPRIM_400000_NS6detail17trampoline_kernelINS0_14default_configENS1_29binary_search_config_selectorIibEEZNS1_14transform_implILb0ES3_S5_N6thrust23THRUST_200600_302600_NS6detail15normal_iteratorINS8_10device_ptrIiEEEENSA_INSB_IbEEEEZNS1_13binary_searchIS3_S5_SD_SD_SF_NS1_16binary_search_opENS9_16wrapped_functionINS0_4lessIvEEbEEEE10hipError_tPvRmT1_T2_T3_mmT4_T5_P12ihipStream_tbEUlRKiE_EESM_SQ_SR_mSS_SV_bEUlT_E_NS1_11comp_targetILNS1_3genE2ELNS1_11target_archE906ELNS1_3gpuE6ELNS1_3repE0EEENS1_30default_config_static_selectorELNS0_4arch9wavefront6targetE0EEEvSP_
		.amdhsa_group_segment_fixed_size 0
		.amdhsa_private_segment_fixed_size 0
		.amdhsa_kernarg_size 56
		.amdhsa_user_sgpr_count 15
		.amdhsa_user_sgpr_dispatch_ptr 0
		.amdhsa_user_sgpr_queue_ptr 0
		.amdhsa_user_sgpr_kernarg_segment_ptr 1
		.amdhsa_user_sgpr_dispatch_id 0
		.amdhsa_user_sgpr_private_segment_size 0
		.amdhsa_wavefront_size32 1
		.amdhsa_uses_dynamic_stack 0
		.amdhsa_enable_private_segment 0
		.amdhsa_system_sgpr_workgroup_id_x 1
		.amdhsa_system_sgpr_workgroup_id_y 0
		.amdhsa_system_sgpr_workgroup_id_z 0
		.amdhsa_system_sgpr_workgroup_info 0
		.amdhsa_system_vgpr_workitem_id 0
		.amdhsa_next_free_vgpr 1
		.amdhsa_next_free_sgpr 1
		.amdhsa_reserve_vcc 0
		.amdhsa_float_round_mode_32 0
		.amdhsa_float_round_mode_16_64 0
		.amdhsa_float_denorm_mode_32 3
		.amdhsa_float_denorm_mode_16_64 3
		.amdhsa_dx10_clamp 1
		.amdhsa_ieee_mode 1
		.amdhsa_fp16_overflow 0
		.amdhsa_workgroup_processor_mode 1
		.amdhsa_memory_ordered 1
		.amdhsa_forward_progress 0
		.amdhsa_shared_vgpr_count 0
		.amdhsa_exception_fp_ieee_invalid_op 0
		.amdhsa_exception_fp_denorm_src 0
		.amdhsa_exception_fp_ieee_div_zero 0
		.amdhsa_exception_fp_ieee_overflow 0
		.amdhsa_exception_fp_ieee_underflow 0
		.amdhsa_exception_fp_ieee_inexact 0
		.amdhsa_exception_int_div_zero 0
	.end_amdhsa_kernel
	.section	.text._ZN7rocprim17ROCPRIM_400000_NS6detail17trampoline_kernelINS0_14default_configENS1_29binary_search_config_selectorIibEEZNS1_14transform_implILb0ES3_S5_N6thrust23THRUST_200600_302600_NS6detail15normal_iteratorINS8_10device_ptrIiEEEENSA_INSB_IbEEEEZNS1_13binary_searchIS3_S5_SD_SD_SF_NS1_16binary_search_opENS9_16wrapped_functionINS0_4lessIvEEbEEEE10hipError_tPvRmT1_T2_T3_mmT4_T5_P12ihipStream_tbEUlRKiE_EESM_SQ_SR_mSS_SV_bEUlT_E_NS1_11comp_targetILNS1_3genE2ELNS1_11target_archE906ELNS1_3gpuE6ELNS1_3repE0EEENS1_30default_config_static_selectorELNS0_4arch9wavefront6targetE0EEEvSP_,"axG",@progbits,_ZN7rocprim17ROCPRIM_400000_NS6detail17trampoline_kernelINS0_14default_configENS1_29binary_search_config_selectorIibEEZNS1_14transform_implILb0ES3_S5_N6thrust23THRUST_200600_302600_NS6detail15normal_iteratorINS8_10device_ptrIiEEEENSA_INSB_IbEEEEZNS1_13binary_searchIS3_S5_SD_SD_SF_NS1_16binary_search_opENS9_16wrapped_functionINS0_4lessIvEEbEEEE10hipError_tPvRmT1_T2_T3_mmT4_T5_P12ihipStream_tbEUlRKiE_EESM_SQ_SR_mSS_SV_bEUlT_E_NS1_11comp_targetILNS1_3genE2ELNS1_11target_archE906ELNS1_3gpuE6ELNS1_3repE0EEENS1_30default_config_static_selectorELNS0_4arch9wavefront6targetE0EEEvSP_,comdat
.Lfunc_end514:
	.size	_ZN7rocprim17ROCPRIM_400000_NS6detail17trampoline_kernelINS0_14default_configENS1_29binary_search_config_selectorIibEEZNS1_14transform_implILb0ES3_S5_N6thrust23THRUST_200600_302600_NS6detail15normal_iteratorINS8_10device_ptrIiEEEENSA_INSB_IbEEEEZNS1_13binary_searchIS3_S5_SD_SD_SF_NS1_16binary_search_opENS9_16wrapped_functionINS0_4lessIvEEbEEEE10hipError_tPvRmT1_T2_T3_mmT4_T5_P12ihipStream_tbEUlRKiE_EESM_SQ_SR_mSS_SV_bEUlT_E_NS1_11comp_targetILNS1_3genE2ELNS1_11target_archE906ELNS1_3gpuE6ELNS1_3repE0EEENS1_30default_config_static_selectorELNS0_4arch9wavefront6targetE0EEEvSP_, .Lfunc_end514-_ZN7rocprim17ROCPRIM_400000_NS6detail17trampoline_kernelINS0_14default_configENS1_29binary_search_config_selectorIibEEZNS1_14transform_implILb0ES3_S5_N6thrust23THRUST_200600_302600_NS6detail15normal_iteratorINS8_10device_ptrIiEEEENSA_INSB_IbEEEEZNS1_13binary_searchIS3_S5_SD_SD_SF_NS1_16binary_search_opENS9_16wrapped_functionINS0_4lessIvEEbEEEE10hipError_tPvRmT1_T2_T3_mmT4_T5_P12ihipStream_tbEUlRKiE_EESM_SQ_SR_mSS_SV_bEUlT_E_NS1_11comp_targetILNS1_3genE2ELNS1_11target_archE906ELNS1_3gpuE6ELNS1_3repE0EEENS1_30default_config_static_selectorELNS0_4arch9wavefront6targetE0EEEvSP_
                                        ; -- End function
	.section	.AMDGPU.csdata,"",@progbits
; Kernel info:
; codeLenInByte = 0
; NumSgprs: 0
; NumVgprs: 0
; ScratchSize: 0
; MemoryBound: 0
; FloatMode: 240
; IeeeMode: 1
; LDSByteSize: 0 bytes/workgroup (compile time only)
; SGPRBlocks: 0
; VGPRBlocks: 0
; NumSGPRsForWavesPerEU: 1
; NumVGPRsForWavesPerEU: 1
; Occupancy: 16
; WaveLimiterHint : 0
; COMPUTE_PGM_RSRC2:SCRATCH_EN: 0
; COMPUTE_PGM_RSRC2:USER_SGPR: 15
; COMPUTE_PGM_RSRC2:TRAP_HANDLER: 0
; COMPUTE_PGM_RSRC2:TGID_X_EN: 1
; COMPUTE_PGM_RSRC2:TGID_Y_EN: 0
; COMPUTE_PGM_RSRC2:TGID_Z_EN: 0
; COMPUTE_PGM_RSRC2:TIDIG_COMP_CNT: 0
	.section	.text._ZN7rocprim17ROCPRIM_400000_NS6detail17trampoline_kernelINS0_14default_configENS1_29binary_search_config_selectorIibEEZNS1_14transform_implILb0ES3_S5_N6thrust23THRUST_200600_302600_NS6detail15normal_iteratorINS8_10device_ptrIiEEEENSA_INSB_IbEEEEZNS1_13binary_searchIS3_S5_SD_SD_SF_NS1_16binary_search_opENS9_16wrapped_functionINS0_4lessIvEEbEEEE10hipError_tPvRmT1_T2_T3_mmT4_T5_P12ihipStream_tbEUlRKiE_EESM_SQ_SR_mSS_SV_bEUlT_E_NS1_11comp_targetILNS1_3genE10ELNS1_11target_archE1201ELNS1_3gpuE5ELNS1_3repE0EEENS1_30default_config_static_selectorELNS0_4arch9wavefront6targetE0EEEvSP_,"axG",@progbits,_ZN7rocprim17ROCPRIM_400000_NS6detail17trampoline_kernelINS0_14default_configENS1_29binary_search_config_selectorIibEEZNS1_14transform_implILb0ES3_S5_N6thrust23THRUST_200600_302600_NS6detail15normal_iteratorINS8_10device_ptrIiEEEENSA_INSB_IbEEEEZNS1_13binary_searchIS3_S5_SD_SD_SF_NS1_16binary_search_opENS9_16wrapped_functionINS0_4lessIvEEbEEEE10hipError_tPvRmT1_T2_T3_mmT4_T5_P12ihipStream_tbEUlRKiE_EESM_SQ_SR_mSS_SV_bEUlT_E_NS1_11comp_targetILNS1_3genE10ELNS1_11target_archE1201ELNS1_3gpuE5ELNS1_3repE0EEENS1_30default_config_static_selectorELNS0_4arch9wavefront6targetE0EEEvSP_,comdat
	.protected	_ZN7rocprim17ROCPRIM_400000_NS6detail17trampoline_kernelINS0_14default_configENS1_29binary_search_config_selectorIibEEZNS1_14transform_implILb0ES3_S5_N6thrust23THRUST_200600_302600_NS6detail15normal_iteratorINS8_10device_ptrIiEEEENSA_INSB_IbEEEEZNS1_13binary_searchIS3_S5_SD_SD_SF_NS1_16binary_search_opENS9_16wrapped_functionINS0_4lessIvEEbEEEE10hipError_tPvRmT1_T2_T3_mmT4_T5_P12ihipStream_tbEUlRKiE_EESM_SQ_SR_mSS_SV_bEUlT_E_NS1_11comp_targetILNS1_3genE10ELNS1_11target_archE1201ELNS1_3gpuE5ELNS1_3repE0EEENS1_30default_config_static_selectorELNS0_4arch9wavefront6targetE0EEEvSP_ ; -- Begin function _ZN7rocprim17ROCPRIM_400000_NS6detail17trampoline_kernelINS0_14default_configENS1_29binary_search_config_selectorIibEEZNS1_14transform_implILb0ES3_S5_N6thrust23THRUST_200600_302600_NS6detail15normal_iteratorINS8_10device_ptrIiEEEENSA_INSB_IbEEEEZNS1_13binary_searchIS3_S5_SD_SD_SF_NS1_16binary_search_opENS9_16wrapped_functionINS0_4lessIvEEbEEEE10hipError_tPvRmT1_T2_T3_mmT4_T5_P12ihipStream_tbEUlRKiE_EESM_SQ_SR_mSS_SV_bEUlT_E_NS1_11comp_targetILNS1_3genE10ELNS1_11target_archE1201ELNS1_3gpuE5ELNS1_3repE0EEENS1_30default_config_static_selectorELNS0_4arch9wavefront6targetE0EEEvSP_
	.globl	_ZN7rocprim17ROCPRIM_400000_NS6detail17trampoline_kernelINS0_14default_configENS1_29binary_search_config_selectorIibEEZNS1_14transform_implILb0ES3_S5_N6thrust23THRUST_200600_302600_NS6detail15normal_iteratorINS8_10device_ptrIiEEEENSA_INSB_IbEEEEZNS1_13binary_searchIS3_S5_SD_SD_SF_NS1_16binary_search_opENS9_16wrapped_functionINS0_4lessIvEEbEEEE10hipError_tPvRmT1_T2_T3_mmT4_T5_P12ihipStream_tbEUlRKiE_EESM_SQ_SR_mSS_SV_bEUlT_E_NS1_11comp_targetILNS1_3genE10ELNS1_11target_archE1201ELNS1_3gpuE5ELNS1_3repE0EEENS1_30default_config_static_selectorELNS0_4arch9wavefront6targetE0EEEvSP_
	.p2align	8
	.type	_ZN7rocprim17ROCPRIM_400000_NS6detail17trampoline_kernelINS0_14default_configENS1_29binary_search_config_selectorIibEEZNS1_14transform_implILb0ES3_S5_N6thrust23THRUST_200600_302600_NS6detail15normal_iteratorINS8_10device_ptrIiEEEENSA_INSB_IbEEEEZNS1_13binary_searchIS3_S5_SD_SD_SF_NS1_16binary_search_opENS9_16wrapped_functionINS0_4lessIvEEbEEEE10hipError_tPvRmT1_T2_T3_mmT4_T5_P12ihipStream_tbEUlRKiE_EESM_SQ_SR_mSS_SV_bEUlT_E_NS1_11comp_targetILNS1_3genE10ELNS1_11target_archE1201ELNS1_3gpuE5ELNS1_3repE0EEENS1_30default_config_static_selectorELNS0_4arch9wavefront6targetE0EEEvSP_,@function
_ZN7rocprim17ROCPRIM_400000_NS6detail17trampoline_kernelINS0_14default_configENS1_29binary_search_config_selectorIibEEZNS1_14transform_implILb0ES3_S5_N6thrust23THRUST_200600_302600_NS6detail15normal_iteratorINS8_10device_ptrIiEEEENSA_INSB_IbEEEEZNS1_13binary_searchIS3_S5_SD_SD_SF_NS1_16binary_search_opENS9_16wrapped_functionINS0_4lessIvEEbEEEE10hipError_tPvRmT1_T2_T3_mmT4_T5_P12ihipStream_tbEUlRKiE_EESM_SQ_SR_mSS_SV_bEUlT_E_NS1_11comp_targetILNS1_3genE10ELNS1_11target_archE1201ELNS1_3gpuE5ELNS1_3repE0EEENS1_30default_config_static_selectorELNS0_4arch9wavefront6targetE0EEEvSP_: ; @_ZN7rocprim17ROCPRIM_400000_NS6detail17trampoline_kernelINS0_14default_configENS1_29binary_search_config_selectorIibEEZNS1_14transform_implILb0ES3_S5_N6thrust23THRUST_200600_302600_NS6detail15normal_iteratorINS8_10device_ptrIiEEEENSA_INSB_IbEEEEZNS1_13binary_searchIS3_S5_SD_SD_SF_NS1_16binary_search_opENS9_16wrapped_functionINS0_4lessIvEEbEEEE10hipError_tPvRmT1_T2_T3_mmT4_T5_P12ihipStream_tbEUlRKiE_EESM_SQ_SR_mSS_SV_bEUlT_E_NS1_11comp_targetILNS1_3genE10ELNS1_11target_archE1201ELNS1_3gpuE5ELNS1_3repE0EEENS1_30default_config_static_selectorELNS0_4arch9wavefront6targetE0EEEvSP_
; %bb.0:
	.section	.rodata,"a",@progbits
	.p2align	6, 0x0
	.amdhsa_kernel _ZN7rocprim17ROCPRIM_400000_NS6detail17trampoline_kernelINS0_14default_configENS1_29binary_search_config_selectorIibEEZNS1_14transform_implILb0ES3_S5_N6thrust23THRUST_200600_302600_NS6detail15normal_iteratorINS8_10device_ptrIiEEEENSA_INSB_IbEEEEZNS1_13binary_searchIS3_S5_SD_SD_SF_NS1_16binary_search_opENS9_16wrapped_functionINS0_4lessIvEEbEEEE10hipError_tPvRmT1_T2_T3_mmT4_T5_P12ihipStream_tbEUlRKiE_EESM_SQ_SR_mSS_SV_bEUlT_E_NS1_11comp_targetILNS1_3genE10ELNS1_11target_archE1201ELNS1_3gpuE5ELNS1_3repE0EEENS1_30default_config_static_selectorELNS0_4arch9wavefront6targetE0EEEvSP_
		.amdhsa_group_segment_fixed_size 0
		.amdhsa_private_segment_fixed_size 0
		.amdhsa_kernarg_size 56
		.amdhsa_user_sgpr_count 15
		.amdhsa_user_sgpr_dispatch_ptr 0
		.amdhsa_user_sgpr_queue_ptr 0
		.amdhsa_user_sgpr_kernarg_segment_ptr 1
		.amdhsa_user_sgpr_dispatch_id 0
		.amdhsa_user_sgpr_private_segment_size 0
		.amdhsa_wavefront_size32 1
		.amdhsa_uses_dynamic_stack 0
		.amdhsa_enable_private_segment 0
		.amdhsa_system_sgpr_workgroup_id_x 1
		.amdhsa_system_sgpr_workgroup_id_y 0
		.amdhsa_system_sgpr_workgroup_id_z 0
		.amdhsa_system_sgpr_workgroup_info 0
		.amdhsa_system_vgpr_workitem_id 0
		.amdhsa_next_free_vgpr 1
		.amdhsa_next_free_sgpr 1
		.amdhsa_reserve_vcc 0
		.amdhsa_float_round_mode_32 0
		.amdhsa_float_round_mode_16_64 0
		.amdhsa_float_denorm_mode_32 3
		.amdhsa_float_denorm_mode_16_64 3
		.amdhsa_dx10_clamp 1
		.amdhsa_ieee_mode 1
		.amdhsa_fp16_overflow 0
		.amdhsa_workgroup_processor_mode 1
		.amdhsa_memory_ordered 1
		.amdhsa_forward_progress 0
		.amdhsa_shared_vgpr_count 0
		.amdhsa_exception_fp_ieee_invalid_op 0
		.amdhsa_exception_fp_denorm_src 0
		.amdhsa_exception_fp_ieee_div_zero 0
		.amdhsa_exception_fp_ieee_overflow 0
		.amdhsa_exception_fp_ieee_underflow 0
		.amdhsa_exception_fp_ieee_inexact 0
		.amdhsa_exception_int_div_zero 0
	.end_amdhsa_kernel
	.section	.text._ZN7rocprim17ROCPRIM_400000_NS6detail17trampoline_kernelINS0_14default_configENS1_29binary_search_config_selectorIibEEZNS1_14transform_implILb0ES3_S5_N6thrust23THRUST_200600_302600_NS6detail15normal_iteratorINS8_10device_ptrIiEEEENSA_INSB_IbEEEEZNS1_13binary_searchIS3_S5_SD_SD_SF_NS1_16binary_search_opENS9_16wrapped_functionINS0_4lessIvEEbEEEE10hipError_tPvRmT1_T2_T3_mmT4_T5_P12ihipStream_tbEUlRKiE_EESM_SQ_SR_mSS_SV_bEUlT_E_NS1_11comp_targetILNS1_3genE10ELNS1_11target_archE1201ELNS1_3gpuE5ELNS1_3repE0EEENS1_30default_config_static_selectorELNS0_4arch9wavefront6targetE0EEEvSP_,"axG",@progbits,_ZN7rocprim17ROCPRIM_400000_NS6detail17trampoline_kernelINS0_14default_configENS1_29binary_search_config_selectorIibEEZNS1_14transform_implILb0ES3_S5_N6thrust23THRUST_200600_302600_NS6detail15normal_iteratorINS8_10device_ptrIiEEEENSA_INSB_IbEEEEZNS1_13binary_searchIS3_S5_SD_SD_SF_NS1_16binary_search_opENS9_16wrapped_functionINS0_4lessIvEEbEEEE10hipError_tPvRmT1_T2_T3_mmT4_T5_P12ihipStream_tbEUlRKiE_EESM_SQ_SR_mSS_SV_bEUlT_E_NS1_11comp_targetILNS1_3genE10ELNS1_11target_archE1201ELNS1_3gpuE5ELNS1_3repE0EEENS1_30default_config_static_selectorELNS0_4arch9wavefront6targetE0EEEvSP_,comdat
.Lfunc_end515:
	.size	_ZN7rocprim17ROCPRIM_400000_NS6detail17trampoline_kernelINS0_14default_configENS1_29binary_search_config_selectorIibEEZNS1_14transform_implILb0ES3_S5_N6thrust23THRUST_200600_302600_NS6detail15normal_iteratorINS8_10device_ptrIiEEEENSA_INSB_IbEEEEZNS1_13binary_searchIS3_S5_SD_SD_SF_NS1_16binary_search_opENS9_16wrapped_functionINS0_4lessIvEEbEEEE10hipError_tPvRmT1_T2_T3_mmT4_T5_P12ihipStream_tbEUlRKiE_EESM_SQ_SR_mSS_SV_bEUlT_E_NS1_11comp_targetILNS1_3genE10ELNS1_11target_archE1201ELNS1_3gpuE5ELNS1_3repE0EEENS1_30default_config_static_selectorELNS0_4arch9wavefront6targetE0EEEvSP_, .Lfunc_end515-_ZN7rocprim17ROCPRIM_400000_NS6detail17trampoline_kernelINS0_14default_configENS1_29binary_search_config_selectorIibEEZNS1_14transform_implILb0ES3_S5_N6thrust23THRUST_200600_302600_NS6detail15normal_iteratorINS8_10device_ptrIiEEEENSA_INSB_IbEEEEZNS1_13binary_searchIS3_S5_SD_SD_SF_NS1_16binary_search_opENS9_16wrapped_functionINS0_4lessIvEEbEEEE10hipError_tPvRmT1_T2_T3_mmT4_T5_P12ihipStream_tbEUlRKiE_EESM_SQ_SR_mSS_SV_bEUlT_E_NS1_11comp_targetILNS1_3genE10ELNS1_11target_archE1201ELNS1_3gpuE5ELNS1_3repE0EEENS1_30default_config_static_selectorELNS0_4arch9wavefront6targetE0EEEvSP_
                                        ; -- End function
	.section	.AMDGPU.csdata,"",@progbits
; Kernel info:
; codeLenInByte = 0
; NumSgprs: 0
; NumVgprs: 0
; ScratchSize: 0
; MemoryBound: 0
; FloatMode: 240
; IeeeMode: 1
; LDSByteSize: 0 bytes/workgroup (compile time only)
; SGPRBlocks: 0
; VGPRBlocks: 0
; NumSGPRsForWavesPerEU: 1
; NumVGPRsForWavesPerEU: 1
; Occupancy: 16
; WaveLimiterHint : 0
; COMPUTE_PGM_RSRC2:SCRATCH_EN: 0
; COMPUTE_PGM_RSRC2:USER_SGPR: 15
; COMPUTE_PGM_RSRC2:TRAP_HANDLER: 0
; COMPUTE_PGM_RSRC2:TGID_X_EN: 1
; COMPUTE_PGM_RSRC2:TGID_Y_EN: 0
; COMPUTE_PGM_RSRC2:TGID_Z_EN: 0
; COMPUTE_PGM_RSRC2:TIDIG_COMP_CNT: 0
	.section	.text._ZN7rocprim17ROCPRIM_400000_NS6detail17trampoline_kernelINS0_14default_configENS1_29binary_search_config_selectorIibEEZNS1_14transform_implILb0ES3_S5_N6thrust23THRUST_200600_302600_NS6detail15normal_iteratorINS8_10device_ptrIiEEEENSA_INSB_IbEEEEZNS1_13binary_searchIS3_S5_SD_SD_SF_NS1_16binary_search_opENS9_16wrapped_functionINS0_4lessIvEEbEEEE10hipError_tPvRmT1_T2_T3_mmT4_T5_P12ihipStream_tbEUlRKiE_EESM_SQ_SR_mSS_SV_bEUlT_E_NS1_11comp_targetILNS1_3genE10ELNS1_11target_archE1200ELNS1_3gpuE4ELNS1_3repE0EEENS1_30default_config_static_selectorELNS0_4arch9wavefront6targetE0EEEvSP_,"axG",@progbits,_ZN7rocprim17ROCPRIM_400000_NS6detail17trampoline_kernelINS0_14default_configENS1_29binary_search_config_selectorIibEEZNS1_14transform_implILb0ES3_S5_N6thrust23THRUST_200600_302600_NS6detail15normal_iteratorINS8_10device_ptrIiEEEENSA_INSB_IbEEEEZNS1_13binary_searchIS3_S5_SD_SD_SF_NS1_16binary_search_opENS9_16wrapped_functionINS0_4lessIvEEbEEEE10hipError_tPvRmT1_T2_T3_mmT4_T5_P12ihipStream_tbEUlRKiE_EESM_SQ_SR_mSS_SV_bEUlT_E_NS1_11comp_targetILNS1_3genE10ELNS1_11target_archE1200ELNS1_3gpuE4ELNS1_3repE0EEENS1_30default_config_static_selectorELNS0_4arch9wavefront6targetE0EEEvSP_,comdat
	.protected	_ZN7rocprim17ROCPRIM_400000_NS6detail17trampoline_kernelINS0_14default_configENS1_29binary_search_config_selectorIibEEZNS1_14transform_implILb0ES3_S5_N6thrust23THRUST_200600_302600_NS6detail15normal_iteratorINS8_10device_ptrIiEEEENSA_INSB_IbEEEEZNS1_13binary_searchIS3_S5_SD_SD_SF_NS1_16binary_search_opENS9_16wrapped_functionINS0_4lessIvEEbEEEE10hipError_tPvRmT1_T2_T3_mmT4_T5_P12ihipStream_tbEUlRKiE_EESM_SQ_SR_mSS_SV_bEUlT_E_NS1_11comp_targetILNS1_3genE10ELNS1_11target_archE1200ELNS1_3gpuE4ELNS1_3repE0EEENS1_30default_config_static_selectorELNS0_4arch9wavefront6targetE0EEEvSP_ ; -- Begin function _ZN7rocprim17ROCPRIM_400000_NS6detail17trampoline_kernelINS0_14default_configENS1_29binary_search_config_selectorIibEEZNS1_14transform_implILb0ES3_S5_N6thrust23THRUST_200600_302600_NS6detail15normal_iteratorINS8_10device_ptrIiEEEENSA_INSB_IbEEEEZNS1_13binary_searchIS3_S5_SD_SD_SF_NS1_16binary_search_opENS9_16wrapped_functionINS0_4lessIvEEbEEEE10hipError_tPvRmT1_T2_T3_mmT4_T5_P12ihipStream_tbEUlRKiE_EESM_SQ_SR_mSS_SV_bEUlT_E_NS1_11comp_targetILNS1_3genE10ELNS1_11target_archE1200ELNS1_3gpuE4ELNS1_3repE0EEENS1_30default_config_static_selectorELNS0_4arch9wavefront6targetE0EEEvSP_
	.globl	_ZN7rocprim17ROCPRIM_400000_NS6detail17trampoline_kernelINS0_14default_configENS1_29binary_search_config_selectorIibEEZNS1_14transform_implILb0ES3_S5_N6thrust23THRUST_200600_302600_NS6detail15normal_iteratorINS8_10device_ptrIiEEEENSA_INSB_IbEEEEZNS1_13binary_searchIS3_S5_SD_SD_SF_NS1_16binary_search_opENS9_16wrapped_functionINS0_4lessIvEEbEEEE10hipError_tPvRmT1_T2_T3_mmT4_T5_P12ihipStream_tbEUlRKiE_EESM_SQ_SR_mSS_SV_bEUlT_E_NS1_11comp_targetILNS1_3genE10ELNS1_11target_archE1200ELNS1_3gpuE4ELNS1_3repE0EEENS1_30default_config_static_selectorELNS0_4arch9wavefront6targetE0EEEvSP_
	.p2align	8
	.type	_ZN7rocprim17ROCPRIM_400000_NS6detail17trampoline_kernelINS0_14default_configENS1_29binary_search_config_selectorIibEEZNS1_14transform_implILb0ES3_S5_N6thrust23THRUST_200600_302600_NS6detail15normal_iteratorINS8_10device_ptrIiEEEENSA_INSB_IbEEEEZNS1_13binary_searchIS3_S5_SD_SD_SF_NS1_16binary_search_opENS9_16wrapped_functionINS0_4lessIvEEbEEEE10hipError_tPvRmT1_T2_T3_mmT4_T5_P12ihipStream_tbEUlRKiE_EESM_SQ_SR_mSS_SV_bEUlT_E_NS1_11comp_targetILNS1_3genE10ELNS1_11target_archE1200ELNS1_3gpuE4ELNS1_3repE0EEENS1_30default_config_static_selectorELNS0_4arch9wavefront6targetE0EEEvSP_,@function
_ZN7rocprim17ROCPRIM_400000_NS6detail17trampoline_kernelINS0_14default_configENS1_29binary_search_config_selectorIibEEZNS1_14transform_implILb0ES3_S5_N6thrust23THRUST_200600_302600_NS6detail15normal_iteratorINS8_10device_ptrIiEEEENSA_INSB_IbEEEEZNS1_13binary_searchIS3_S5_SD_SD_SF_NS1_16binary_search_opENS9_16wrapped_functionINS0_4lessIvEEbEEEE10hipError_tPvRmT1_T2_T3_mmT4_T5_P12ihipStream_tbEUlRKiE_EESM_SQ_SR_mSS_SV_bEUlT_E_NS1_11comp_targetILNS1_3genE10ELNS1_11target_archE1200ELNS1_3gpuE4ELNS1_3repE0EEENS1_30default_config_static_selectorELNS0_4arch9wavefront6targetE0EEEvSP_: ; @_ZN7rocprim17ROCPRIM_400000_NS6detail17trampoline_kernelINS0_14default_configENS1_29binary_search_config_selectorIibEEZNS1_14transform_implILb0ES3_S5_N6thrust23THRUST_200600_302600_NS6detail15normal_iteratorINS8_10device_ptrIiEEEENSA_INSB_IbEEEEZNS1_13binary_searchIS3_S5_SD_SD_SF_NS1_16binary_search_opENS9_16wrapped_functionINS0_4lessIvEEbEEEE10hipError_tPvRmT1_T2_T3_mmT4_T5_P12ihipStream_tbEUlRKiE_EESM_SQ_SR_mSS_SV_bEUlT_E_NS1_11comp_targetILNS1_3genE10ELNS1_11target_archE1200ELNS1_3gpuE4ELNS1_3repE0EEENS1_30default_config_static_selectorELNS0_4arch9wavefront6targetE0EEEvSP_
; %bb.0:
	.section	.rodata,"a",@progbits
	.p2align	6, 0x0
	.amdhsa_kernel _ZN7rocprim17ROCPRIM_400000_NS6detail17trampoline_kernelINS0_14default_configENS1_29binary_search_config_selectorIibEEZNS1_14transform_implILb0ES3_S5_N6thrust23THRUST_200600_302600_NS6detail15normal_iteratorINS8_10device_ptrIiEEEENSA_INSB_IbEEEEZNS1_13binary_searchIS3_S5_SD_SD_SF_NS1_16binary_search_opENS9_16wrapped_functionINS0_4lessIvEEbEEEE10hipError_tPvRmT1_T2_T3_mmT4_T5_P12ihipStream_tbEUlRKiE_EESM_SQ_SR_mSS_SV_bEUlT_E_NS1_11comp_targetILNS1_3genE10ELNS1_11target_archE1200ELNS1_3gpuE4ELNS1_3repE0EEENS1_30default_config_static_selectorELNS0_4arch9wavefront6targetE0EEEvSP_
		.amdhsa_group_segment_fixed_size 0
		.amdhsa_private_segment_fixed_size 0
		.amdhsa_kernarg_size 56
		.amdhsa_user_sgpr_count 15
		.amdhsa_user_sgpr_dispatch_ptr 0
		.amdhsa_user_sgpr_queue_ptr 0
		.amdhsa_user_sgpr_kernarg_segment_ptr 1
		.amdhsa_user_sgpr_dispatch_id 0
		.amdhsa_user_sgpr_private_segment_size 0
		.amdhsa_wavefront_size32 1
		.amdhsa_uses_dynamic_stack 0
		.amdhsa_enable_private_segment 0
		.amdhsa_system_sgpr_workgroup_id_x 1
		.amdhsa_system_sgpr_workgroup_id_y 0
		.amdhsa_system_sgpr_workgroup_id_z 0
		.amdhsa_system_sgpr_workgroup_info 0
		.amdhsa_system_vgpr_workitem_id 0
		.amdhsa_next_free_vgpr 1
		.amdhsa_next_free_sgpr 1
		.amdhsa_reserve_vcc 0
		.amdhsa_float_round_mode_32 0
		.amdhsa_float_round_mode_16_64 0
		.amdhsa_float_denorm_mode_32 3
		.amdhsa_float_denorm_mode_16_64 3
		.amdhsa_dx10_clamp 1
		.amdhsa_ieee_mode 1
		.amdhsa_fp16_overflow 0
		.amdhsa_workgroup_processor_mode 1
		.amdhsa_memory_ordered 1
		.amdhsa_forward_progress 0
		.amdhsa_shared_vgpr_count 0
		.amdhsa_exception_fp_ieee_invalid_op 0
		.amdhsa_exception_fp_denorm_src 0
		.amdhsa_exception_fp_ieee_div_zero 0
		.amdhsa_exception_fp_ieee_overflow 0
		.amdhsa_exception_fp_ieee_underflow 0
		.amdhsa_exception_fp_ieee_inexact 0
		.amdhsa_exception_int_div_zero 0
	.end_amdhsa_kernel
	.section	.text._ZN7rocprim17ROCPRIM_400000_NS6detail17trampoline_kernelINS0_14default_configENS1_29binary_search_config_selectorIibEEZNS1_14transform_implILb0ES3_S5_N6thrust23THRUST_200600_302600_NS6detail15normal_iteratorINS8_10device_ptrIiEEEENSA_INSB_IbEEEEZNS1_13binary_searchIS3_S5_SD_SD_SF_NS1_16binary_search_opENS9_16wrapped_functionINS0_4lessIvEEbEEEE10hipError_tPvRmT1_T2_T3_mmT4_T5_P12ihipStream_tbEUlRKiE_EESM_SQ_SR_mSS_SV_bEUlT_E_NS1_11comp_targetILNS1_3genE10ELNS1_11target_archE1200ELNS1_3gpuE4ELNS1_3repE0EEENS1_30default_config_static_selectorELNS0_4arch9wavefront6targetE0EEEvSP_,"axG",@progbits,_ZN7rocprim17ROCPRIM_400000_NS6detail17trampoline_kernelINS0_14default_configENS1_29binary_search_config_selectorIibEEZNS1_14transform_implILb0ES3_S5_N6thrust23THRUST_200600_302600_NS6detail15normal_iteratorINS8_10device_ptrIiEEEENSA_INSB_IbEEEEZNS1_13binary_searchIS3_S5_SD_SD_SF_NS1_16binary_search_opENS9_16wrapped_functionINS0_4lessIvEEbEEEE10hipError_tPvRmT1_T2_T3_mmT4_T5_P12ihipStream_tbEUlRKiE_EESM_SQ_SR_mSS_SV_bEUlT_E_NS1_11comp_targetILNS1_3genE10ELNS1_11target_archE1200ELNS1_3gpuE4ELNS1_3repE0EEENS1_30default_config_static_selectorELNS0_4arch9wavefront6targetE0EEEvSP_,comdat
.Lfunc_end516:
	.size	_ZN7rocprim17ROCPRIM_400000_NS6detail17trampoline_kernelINS0_14default_configENS1_29binary_search_config_selectorIibEEZNS1_14transform_implILb0ES3_S5_N6thrust23THRUST_200600_302600_NS6detail15normal_iteratorINS8_10device_ptrIiEEEENSA_INSB_IbEEEEZNS1_13binary_searchIS3_S5_SD_SD_SF_NS1_16binary_search_opENS9_16wrapped_functionINS0_4lessIvEEbEEEE10hipError_tPvRmT1_T2_T3_mmT4_T5_P12ihipStream_tbEUlRKiE_EESM_SQ_SR_mSS_SV_bEUlT_E_NS1_11comp_targetILNS1_3genE10ELNS1_11target_archE1200ELNS1_3gpuE4ELNS1_3repE0EEENS1_30default_config_static_selectorELNS0_4arch9wavefront6targetE0EEEvSP_, .Lfunc_end516-_ZN7rocprim17ROCPRIM_400000_NS6detail17trampoline_kernelINS0_14default_configENS1_29binary_search_config_selectorIibEEZNS1_14transform_implILb0ES3_S5_N6thrust23THRUST_200600_302600_NS6detail15normal_iteratorINS8_10device_ptrIiEEEENSA_INSB_IbEEEEZNS1_13binary_searchIS3_S5_SD_SD_SF_NS1_16binary_search_opENS9_16wrapped_functionINS0_4lessIvEEbEEEE10hipError_tPvRmT1_T2_T3_mmT4_T5_P12ihipStream_tbEUlRKiE_EESM_SQ_SR_mSS_SV_bEUlT_E_NS1_11comp_targetILNS1_3genE10ELNS1_11target_archE1200ELNS1_3gpuE4ELNS1_3repE0EEENS1_30default_config_static_selectorELNS0_4arch9wavefront6targetE0EEEvSP_
                                        ; -- End function
	.section	.AMDGPU.csdata,"",@progbits
; Kernel info:
; codeLenInByte = 0
; NumSgprs: 0
; NumVgprs: 0
; ScratchSize: 0
; MemoryBound: 0
; FloatMode: 240
; IeeeMode: 1
; LDSByteSize: 0 bytes/workgroup (compile time only)
; SGPRBlocks: 0
; VGPRBlocks: 0
; NumSGPRsForWavesPerEU: 1
; NumVGPRsForWavesPerEU: 1
; Occupancy: 16
; WaveLimiterHint : 0
; COMPUTE_PGM_RSRC2:SCRATCH_EN: 0
; COMPUTE_PGM_RSRC2:USER_SGPR: 15
; COMPUTE_PGM_RSRC2:TRAP_HANDLER: 0
; COMPUTE_PGM_RSRC2:TGID_X_EN: 1
; COMPUTE_PGM_RSRC2:TGID_Y_EN: 0
; COMPUTE_PGM_RSRC2:TGID_Z_EN: 0
; COMPUTE_PGM_RSRC2:TIDIG_COMP_CNT: 0
	.section	.text._ZN7rocprim17ROCPRIM_400000_NS6detail17trampoline_kernelINS0_14default_configENS1_29binary_search_config_selectorIibEEZNS1_14transform_implILb0ES3_S5_N6thrust23THRUST_200600_302600_NS6detail15normal_iteratorINS8_10device_ptrIiEEEENSA_INSB_IbEEEEZNS1_13binary_searchIS3_S5_SD_SD_SF_NS1_16binary_search_opENS9_16wrapped_functionINS0_4lessIvEEbEEEE10hipError_tPvRmT1_T2_T3_mmT4_T5_P12ihipStream_tbEUlRKiE_EESM_SQ_SR_mSS_SV_bEUlT_E_NS1_11comp_targetILNS1_3genE9ELNS1_11target_archE1100ELNS1_3gpuE3ELNS1_3repE0EEENS1_30default_config_static_selectorELNS0_4arch9wavefront6targetE0EEEvSP_,"axG",@progbits,_ZN7rocprim17ROCPRIM_400000_NS6detail17trampoline_kernelINS0_14default_configENS1_29binary_search_config_selectorIibEEZNS1_14transform_implILb0ES3_S5_N6thrust23THRUST_200600_302600_NS6detail15normal_iteratorINS8_10device_ptrIiEEEENSA_INSB_IbEEEEZNS1_13binary_searchIS3_S5_SD_SD_SF_NS1_16binary_search_opENS9_16wrapped_functionINS0_4lessIvEEbEEEE10hipError_tPvRmT1_T2_T3_mmT4_T5_P12ihipStream_tbEUlRKiE_EESM_SQ_SR_mSS_SV_bEUlT_E_NS1_11comp_targetILNS1_3genE9ELNS1_11target_archE1100ELNS1_3gpuE3ELNS1_3repE0EEENS1_30default_config_static_selectorELNS0_4arch9wavefront6targetE0EEEvSP_,comdat
	.protected	_ZN7rocprim17ROCPRIM_400000_NS6detail17trampoline_kernelINS0_14default_configENS1_29binary_search_config_selectorIibEEZNS1_14transform_implILb0ES3_S5_N6thrust23THRUST_200600_302600_NS6detail15normal_iteratorINS8_10device_ptrIiEEEENSA_INSB_IbEEEEZNS1_13binary_searchIS3_S5_SD_SD_SF_NS1_16binary_search_opENS9_16wrapped_functionINS0_4lessIvEEbEEEE10hipError_tPvRmT1_T2_T3_mmT4_T5_P12ihipStream_tbEUlRKiE_EESM_SQ_SR_mSS_SV_bEUlT_E_NS1_11comp_targetILNS1_3genE9ELNS1_11target_archE1100ELNS1_3gpuE3ELNS1_3repE0EEENS1_30default_config_static_selectorELNS0_4arch9wavefront6targetE0EEEvSP_ ; -- Begin function _ZN7rocprim17ROCPRIM_400000_NS6detail17trampoline_kernelINS0_14default_configENS1_29binary_search_config_selectorIibEEZNS1_14transform_implILb0ES3_S5_N6thrust23THRUST_200600_302600_NS6detail15normal_iteratorINS8_10device_ptrIiEEEENSA_INSB_IbEEEEZNS1_13binary_searchIS3_S5_SD_SD_SF_NS1_16binary_search_opENS9_16wrapped_functionINS0_4lessIvEEbEEEE10hipError_tPvRmT1_T2_T3_mmT4_T5_P12ihipStream_tbEUlRKiE_EESM_SQ_SR_mSS_SV_bEUlT_E_NS1_11comp_targetILNS1_3genE9ELNS1_11target_archE1100ELNS1_3gpuE3ELNS1_3repE0EEENS1_30default_config_static_selectorELNS0_4arch9wavefront6targetE0EEEvSP_
	.globl	_ZN7rocprim17ROCPRIM_400000_NS6detail17trampoline_kernelINS0_14default_configENS1_29binary_search_config_selectorIibEEZNS1_14transform_implILb0ES3_S5_N6thrust23THRUST_200600_302600_NS6detail15normal_iteratorINS8_10device_ptrIiEEEENSA_INSB_IbEEEEZNS1_13binary_searchIS3_S5_SD_SD_SF_NS1_16binary_search_opENS9_16wrapped_functionINS0_4lessIvEEbEEEE10hipError_tPvRmT1_T2_T3_mmT4_T5_P12ihipStream_tbEUlRKiE_EESM_SQ_SR_mSS_SV_bEUlT_E_NS1_11comp_targetILNS1_3genE9ELNS1_11target_archE1100ELNS1_3gpuE3ELNS1_3repE0EEENS1_30default_config_static_selectorELNS0_4arch9wavefront6targetE0EEEvSP_
	.p2align	8
	.type	_ZN7rocprim17ROCPRIM_400000_NS6detail17trampoline_kernelINS0_14default_configENS1_29binary_search_config_selectorIibEEZNS1_14transform_implILb0ES3_S5_N6thrust23THRUST_200600_302600_NS6detail15normal_iteratorINS8_10device_ptrIiEEEENSA_INSB_IbEEEEZNS1_13binary_searchIS3_S5_SD_SD_SF_NS1_16binary_search_opENS9_16wrapped_functionINS0_4lessIvEEbEEEE10hipError_tPvRmT1_T2_T3_mmT4_T5_P12ihipStream_tbEUlRKiE_EESM_SQ_SR_mSS_SV_bEUlT_E_NS1_11comp_targetILNS1_3genE9ELNS1_11target_archE1100ELNS1_3gpuE3ELNS1_3repE0EEENS1_30default_config_static_selectorELNS0_4arch9wavefront6targetE0EEEvSP_,@function
_ZN7rocprim17ROCPRIM_400000_NS6detail17trampoline_kernelINS0_14default_configENS1_29binary_search_config_selectorIibEEZNS1_14transform_implILb0ES3_S5_N6thrust23THRUST_200600_302600_NS6detail15normal_iteratorINS8_10device_ptrIiEEEENSA_INSB_IbEEEEZNS1_13binary_searchIS3_S5_SD_SD_SF_NS1_16binary_search_opENS9_16wrapped_functionINS0_4lessIvEEbEEEE10hipError_tPvRmT1_T2_T3_mmT4_T5_P12ihipStream_tbEUlRKiE_EESM_SQ_SR_mSS_SV_bEUlT_E_NS1_11comp_targetILNS1_3genE9ELNS1_11target_archE1100ELNS1_3gpuE3ELNS1_3repE0EEENS1_30default_config_static_selectorELNS0_4arch9wavefront6targetE0EEEvSP_: ; @_ZN7rocprim17ROCPRIM_400000_NS6detail17trampoline_kernelINS0_14default_configENS1_29binary_search_config_selectorIibEEZNS1_14transform_implILb0ES3_S5_N6thrust23THRUST_200600_302600_NS6detail15normal_iteratorINS8_10device_ptrIiEEEENSA_INSB_IbEEEEZNS1_13binary_searchIS3_S5_SD_SD_SF_NS1_16binary_search_opENS9_16wrapped_functionINS0_4lessIvEEbEEEE10hipError_tPvRmT1_T2_T3_mmT4_T5_P12ihipStream_tbEUlRKiE_EESM_SQ_SR_mSS_SV_bEUlT_E_NS1_11comp_targetILNS1_3genE9ELNS1_11target_archE1100ELNS1_3gpuE3ELNS1_3repE0EEENS1_30default_config_static_selectorELNS0_4arch9wavefront6targetE0EEEvSP_
; %bb.0:
	s_clause 0x3
	s_load_b128 s[16:19], s[0:1], 0x0
	s_load_b128 s[4:7], s[0:1], 0x18
	s_load_b32 s12, s[0:1], 0x38
	s_load_b64 s[8:9], s[0:1], 0x28
	s_waitcnt lgkmcnt(0)
	s_lshl_b64 s[2:3], s[18:19], 2
	s_delay_alu instid0(SALU_CYCLE_1)
	s_add_u32 s10, s16, s2
	s_addc_u32 s11, s17, s3
	s_add_u32 s4, s4, s18
	s_addc_u32 s5, s5, s19
	s_add_i32 s12, s12, -1
	s_lshl_b32 s2, s15, 8
	s_mov_b32 s3, 0
	s_cmp_lg_u32 s15, s12
	s_mov_b32 s12, -1
	s_cbranch_scc0 .LBB517_8
; %bb.1:
	v_lshlrev_b32_e32 v1, 2, v0
	s_lshl_b64 s[12:13], s[2:3], 2
	s_delay_alu instid0(SALU_CYCLE_1) | instskip(SKIP_1) | instid1(VALU_DEP_1)
	s_add_u32 s12, s10, s12
	s_addc_u32 s13, s11, s13
	v_add_co_u32 v1, s12, s12, v1
	s_delay_alu instid0(VALU_DEP_1)
	v_add_co_ci_u32_e64 v2, null, s13, 0, s12
	s_cmp_eq_u64 s[8:9], 0
	flat_load_b32 v5, v[1:2]
	v_mov_b32_e32 v1, 0
	v_mov_b32_e32 v2, 0
	s_cbranch_scc1 .LBB517_5
; %bb.2:
	v_mov_b32_e32 v1, 0
	v_dual_mov_b32 v2, 0 :: v_dual_mov_b32 v3, s8
	v_mov_b32_e32 v4, s9
	s_mov_b32 s12, s3
	.p2align	6
.LBB517_3:                              ; =>This Inner Loop Header: Depth=1
	s_delay_alu instid0(VALU_DEP_2) | instskip(NEXT) | instid1(VALU_DEP_2)
	v_sub_co_u32 v6, vcc_lo, v3, v1
	v_sub_co_ci_u32_e32 v7, vcc_lo, v4, v2, vcc_lo
	s_delay_alu instid0(VALU_DEP_1) | instskip(SKIP_1) | instid1(VALU_DEP_2)
	v_lshrrev_b64 v[8:9], 1, v[6:7]
	v_lshrrev_b64 v[6:7], 6, v[6:7]
	v_add_co_u32 v8, vcc_lo, v8, v1
	s_delay_alu instid0(VALU_DEP_3) | instskip(NEXT) | instid1(VALU_DEP_2)
	v_add_co_ci_u32_e32 v9, vcc_lo, v9, v2, vcc_lo
	v_add_co_u32 v6, vcc_lo, v8, v6
	s_delay_alu instid0(VALU_DEP_2) | instskip(NEXT) | instid1(VALU_DEP_1)
	v_add_co_ci_u32_e32 v7, vcc_lo, v9, v7, vcc_lo
	v_lshlrev_b64 v[8:9], 2, v[6:7]
	s_delay_alu instid0(VALU_DEP_1) | instskip(NEXT) | instid1(VALU_DEP_2)
	v_add_co_u32 v8, vcc_lo, s6, v8
	v_add_co_ci_u32_e32 v9, vcc_lo, s7, v9, vcc_lo
	global_load_b32 v8, v[8:9], off
	v_add_co_u32 v9, vcc_lo, v6, 1
	v_add_co_ci_u32_e32 v10, vcc_lo, 0, v7, vcc_lo
	s_waitcnt vmcnt(0) lgkmcnt(0)
	v_cmp_lt_i32_e32 vcc_lo, v8, v5
	v_dual_cndmask_b32 v4, v7, v4 :: v_dual_cndmask_b32 v3, v6, v3
	s_delay_alu instid0(VALU_DEP_3) | instskip(NEXT) | instid1(VALU_DEP_1)
	v_dual_cndmask_b32 v2, v2, v10 :: v_dual_cndmask_b32 v1, v1, v9
	v_cmp_ge_u64_e32 vcc_lo, v[1:2], v[3:4]
	s_or_b32 s12, vcc_lo, s12
	s_delay_alu instid0(SALU_CYCLE_1)
	s_and_not1_b32 exec_lo, exec_lo, s12
	s_cbranch_execnz .LBB517_3
; %bb.4:
	s_or_b32 exec_lo, exec_lo, s12
.LBB517_5:
	s_mov_b32 s12, 0
	s_mov_b32 s14, 0
	s_mov_b32 s13, exec_lo
	v_cmpx_ne_u64_e64 s[8:9], v[1:2]
	s_cbranch_execz .LBB517_7
; %bb.6:
	v_lshlrev_b64 v[1:2], 2, v[1:2]
	s_delay_alu instid0(VALU_DEP_1) | instskip(NEXT) | instid1(VALU_DEP_2)
	v_add_co_u32 v1, vcc_lo, s6, v1
	v_add_co_ci_u32_e32 v2, vcc_lo, s7, v2, vcc_lo
	global_load_b32 v1, v[1:2], off
	s_waitcnt vmcnt(0) lgkmcnt(0)
	v_cmp_le_i32_e32 vcc_lo, v1, v5
	s_and_b32 s14, vcc_lo, exec_lo
.LBB517_7:
	s_or_b32 exec_lo, exec_lo, s13
	s_add_u32 s13, s4, s2
	v_cndmask_b32_e64 v3, 0, 1, s14
	s_addc_u32 s14, s5, 0
	v_add_co_u32 v1, s13, s13, v0
	s_delay_alu instid0(VALU_DEP_1)
	v_add_co_ci_u32_e64 v2, null, s14, 0, s13
	flat_store_b8 v[1:2], v3
.LBB517_8:
	s_and_b32 vcc_lo, exec_lo, s12
	s_cbranch_vccz .LBB517_13
; %bb.9:
	s_load_b32 s0, s[0:1], 0x10
                                        ; implicit-def: $vgpr5
	s_waitcnt lgkmcnt(0)
	s_sub_i32 s0, s0, s2
	s_delay_alu instid0(SALU_CYCLE_1)
	v_cmp_gt_u32_e32 vcc_lo, s0, v0
	s_and_saveexec_b32 s0, vcc_lo
	s_cbranch_execnz .LBB517_14
; %bb.10:
	s_or_b32 exec_lo, exec_lo, s0
                                        ; implicit-def: $vgpr1
	s_and_saveexec_b32 s1, vcc_lo
	s_cbranch_execnz .LBB517_15
.LBB517_11:
	s_or_b32 exec_lo, exec_lo, s1
	s_and_saveexec_b32 s0, vcc_lo
	s_cbranch_execz .LBB517_13
.LBB517_12:
	s_add_u32 s0, s4, s2
	s_addc_u32 s1, s5, 0
	v_add_co_u32 v2, s0, s0, v0
	s_delay_alu instid0(VALU_DEP_1)
	v_add_co_ci_u32_e64 v3, null, s1, 0, s0
	flat_store_b8 v[2:3], v1
.LBB517_13:
	s_endpgm
.LBB517_14:
	v_lshlrev_b32_e32 v1, 2, v0
	s_lshl_b64 s[12:13], s[2:3], 2
	s_delay_alu instid0(SALU_CYCLE_1) | instskip(SKIP_1) | instid1(VALU_DEP_1)
	s_add_u32 s1, s10, s12
	s_addc_u32 s3, s11, s13
	v_add_co_u32 v1, s1, s1, v1
	s_delay_alu instid0(VALU_DEP_1)
	v_add_co_ci_u32_e64 v2, null, s3, 0, s1
	s_waitcnt vmcnt(0)
	flat_load_b32 v5, v[1:2]
	s_or_b32 exec_lo, exec_lo, s0
                                        ; implicit-def: $vgpr1
	s_and_saveexec_b32 s1, vcc_lo
	s_cbranch_execz .LBB517_11
.LBB517_15:
	v_mov_b32_e32 v1, 0
	v_mov_b32_e32 v2, 0
	s_cmp_eq_u64 s[8:9], 0
	s_cbranch_scc1 .LBB517_19
; %bb.16:
	v_mov_b32_e32 v1, 0
	v_dual_mov_b32 v2, 0 :: v_dual_mov_b32 v3, s8
	v_mov_b32_e32 v4, s9
	s_mov_b32 s3, 0
	s_set_inst_prefetch_distance 0x1
	.p2align	6
.LBB517_17:                             ; =>This Inner Loop Header: Depth=1
	s_delay_alu instid0(VALU_DEP_2) | instskip(NEXT) | instid1(VALU_DEP_1)
	v_sub_co_u32 v6, s0, v3, v1
	v_sub_co_ci_u32_e64 v7, s0, v4, v2, s0
	s_delay_alu instid0(VALU_DEP_1) | instskip(SKIP_1) | instid1(VALU_DEP_2)
	v_lshrrev_b64 v[8:9], 1, v[6:7]
	v_lshrrev_b64 v[6:7], 6, v[6:7]
	v_add_co_u32 v8, s0, v8, v1
	s_delay_alu instid0(VALU_DEP_1) | instskip(NEXT) | instid1(VALU_DEP_2)
	v_add_co_ci_u32_e64 v9, s0, v9, v2, s0
	v_add_co_u32 v6, s0, v8, v6
	s_delay_alu instid0(VALU_DEP_1) | instskip(NEXT) | instid1(VALU_DEP_1)
	v_add_co_ci_u32_e64 v7, s0, v9, v7, s0
	v_lshlrev_b64 v[8:9], 2, v[6:7]
	s_delay_alu instid0(VALU_DEP_1) | instskip(NEXT) | instid1(VALU_DEP_1)
	v_add_co_u32 v8, s0, s6, v8
	v_add_co_ci_u32_e64 v9, s0, s7, v9, s0
	global_load_b32 v8, v[8:9], off
	v_add_co_u32 v9, s0, v6, 1
	s_delay_alu instid0(VALU_DEP_1) | instskip(SKIP_2) | instid1(VALU_DEP_1)
	v_add_co_ci_u32_e64 v10, s0, 0, v7, s0
	s_waitcnt vmcnt(0) lgkmcnt(0)
	v_cmp_lt_i32_e64 s0, v8, v5
	v_cndmask_b32_e64 v4, v7, v4, s0
	v_cndmask_b32_e64 v3, v6, v3, s0
	;; [unrolled: 1-line block ×4, first 2 shown]
	s_delay_alu instid0(VALU_DEP_1) | instskip(NEXT) | instid1(VALU_DEP_1)
	v_cmp_ge_u64_e64 s0, v[1:2], v[3:4]
	s_or_b32 s3, s0, s3
	s_delay_alu instid0(SALU_CYCLE_1)
	s_and_not1_b32 exec_lo, exec_lo, s3
	s_cbranch_execnz .LBB517_17
; %bb.18:
	s_set_inst_prefetch_distance 0x2
	s_or_b32 exec_lo, exec_lo, s3
.LBB517_19:
	s_delay_alu instid0(VALU_DEP_1) | instskip(SKIP_1) | instid1(VALU_DEP_1)
	v_cmp_ne_u64_e64 s0, s[8:9], v[1:2]
	s_mov_b32 s8, 0
	s_and_saveexec_b32 s3, s0
	s_cbranch_execz .LBB517_21
; %bb.20:
	v_lshlrev_b64 v[1:2], 2, v[1:2]
	s_delay_alu instid0(VALU_DEP_1) | instskip(NEXT) | instid1(VALU_DEP_1)
	v_add_co_u32 v1, s0, s6, v1
	v_add_co_ci_u32_e64 v2, s0, s7, v2, s0
	global_load_b32 v1, v[1:2], off
	s_waitcnt vmcnt(0) lgkmcnt(0)
	v_cmp_le_i32_e64 s0, v1, v5
	s_delay_alu instid0(VALU_DEP_1)
	s_and_b32 s8, s0, exec_lo
.LBB517_21:
	s_or_b32 exec_lo, exec_lo, s3
	v_cndmask_b32_e64 v1, 0, 1, s8
	s_or_b32 exec_lo, exec_lo, s1
	s_and_saveexec_b32 s0, vcc_lo
	s_cbranch_execnz .LBB517_12
	s_branch .LBB517_13
	.section	.rodata,"a",@progbits
	.p2align	6, 0x0
	.amdhsa_kernel _ZN7rocprim17ROCPRIM_400000_NS6detail17trampoline_kernelINS0_14default_configENS1_29binary_search_config_selectorIibEEZNS1_14transform_implILb0ES3_S5_N6thrust23THRUST_200600_302600_NS6detail15normal_iteratorINS8_10device_ptrIiEEEENSA_INSB_IbEEEEZNS1_13binary_searchIS3_S5_SD_SD_SF_NS1_16binary_search_opENS9_16wrapped_functionINS0_4lessIvEEbEEEE10hipError_tPvRmT1_T2_T3_mmT4_T5_P12ihipStream_tbEUlRKiE_EESM_SQ_SR_mSS_SV_bEUlT_E_NS1_11comp_targetILNS1_3genE9ELNS1_11target_archE1100ELNS1_3gpuE3ELNS1_3repE0EEENS1_30default_config_static_selectorELNS0_4arch9wavefront6targetE0EEEvSP_
		.amdhsa_group_segment_fixed_size 0
		.amdhsa_private_segment_fixed_size 0
		.amdhsa_kernarg_size 312
		.amdhsa_user_sgpr_count 15
		.amdhsa_user_sgpr_dispatch_ptr 0
		.amdhsa_user_sgpr_queue_ptr 0
		.amdhsa_user_sgpr_kernarg_segment_ptr 1
		.amdhsa_user_sgpr_dispatch_id 0
		.amdhsa_user_sgpr_private_segment_size 0
		.amdhsa_wavefront_size32 1
		.amdhsa_uses_dynamic_stack 0
		.amdhsa_enable_private_segment 0
		.amdhsa_system_sgpr_workgroup_id_x 1
		.amdhsa_system_sgpr_workgroup_id_y 0
		.amdhsa_system_sgpr_workgroup_id_z 0
		.amdhsa_system_sgpr_workgroup_info 0
		.amdhsa_system_vgpr_workitem_id 0
		.amdhsa_next_free_vgpr 11
		.amdhsa_next_free_sgpr 20
		.amdhsa_reserve_vcc 1
		.amdhsa_float_round_mode_32 0
		.amdhsa_float_round_mode_16_64 0
		.amdhsa_float_denorm_mode_32 3
		.amdhsa_float_denorm_mode_16_64 3
		.amdhsa_dx10_clamp 1
		.amdhsa_ieee_mode 1
		.amdhsa_fp16_overflow 0
		.amdhsa_workgroup_processor_mode 1
		.amdhsa_memory_ordered 1
		.amdhsa_forward_progress 0
		.amdhsa_shared_vgpr_count 0
		.amdhsa_exception_fp_ieee_invalid_op 0
		.amdhsa_exception_fp_denorm_src 0
		.amdhsa_exception_fp_ieee_div_zero 0
		.amdhsa_exception_fp_ieee_overflow 0
		.amdhsa_exception_fp_ieee_underflow 0
		.amdhsa_exception_fp_ieee_inexact 0
		.amdhsa_exception_int_div_zero 0
	.end_amdhsa_kernel
	.section	.text._ZN7rocprim17ROCPRIM_400000_NS6detail17trampoline_kernelINS0_14default_configENS1_29binary_search_config_selectorIibEEZNS1_14transform_implILb0ES3_S5_N6thrust23THRUST_200600_302600_NS6detail15normal_iteratorINS8_10device_ptrIiEEEENSA_INSB_IbEEEEZNS1_13binary_searchIS3_S5_SD_SD_SF_NS1_16binary_search_opENS9_16wrapped_functionINS0_4lessIvEEbEEEE10hipError_tPvRmT1_T2_T3_mmT4_T5_P12ihipStream_tbEUlRKiE_EESM_SQ_SR_mSS_SV_bEUlT_E_NS1_11comp_targetILNS1_3genE9ELNS1_11target_archE1100ELNS1_3gpuE3ELNS1_3repE0EEENS1_30default_config_static_selectorELNS0_4arch9wavefront6targetE0EEEvSP_,"axG",@progbits,_ZN7rocprim17ROCPRIM_400000_NS6detail17trampoline_kernelINS0_14default_configENS1_29binary_search_config_selectorIibEEZNS1_14transform_implILb0ES3_S5_N6thrust23THRUST_200600_302600_NS6detail15normal_iteratorINS8_10device_ptrIiEEEENSA_INSB_IbEEEEZNS1_13binary_searchIS3_S5_SD_SD_SF_NS1_16binary_search_opENS9_16wrapped_functionINS0_4lessIvEEbEEEE10hipError_tPvRmT1_T2_T3_mmT4_T5_P12ihipStream_tbEUlRKiE_EESM_SQ_SR_mSS_SV_bEUlT_E_NS1_11comp_targetILNS1_3genE9ELNS1_11target_archE1100ELNS1_3gpuE3ELNS1_3repE0EEENS1_30default_config_static_selectorELNS0_4arch9wavefront6targetE0EEEvSP_,comdat
.Lfunc_end517:
	.size	_ZN7rocprim17ROCPRIM_400000_NS6detail17trampoline_kernelINS0_14default_configENS1_29binary_search_config_selectorIibEEZNS1_14transform_implILb0ES3_S5_N6thrust23THRUST_200600_302600_NS6detail15normal_iteratorINS8_10device_ptrIiEEEENSA_INSB_IbEEEEZNS1_13binary_searchIS3_S5_SD_SD_SF_NS1_16binary_search_opENS9_16wrapped_functionINS0_4lessIvEEbEEEE10hipError_tPvRmT1_T2_T3_mmT4_T5_P12ihipStream_tbEUlRKiE_EESM_SQ_SR_mSS_SV_bEUlT_E_NS1_11comp_targetILNS1_3genE9ELNS1_11target_archE1100ELNS1_3gpuE3ELNS1_3repE0EEENS1_30default_config_static_selectorELNS0_4arch9wavefront6targetE0EEEvSP_, .Lfunc_end517-_ZN7rocprim17ROCPRIM_400000_NS6detail17trampoline_kernelINS0_14default_configENS1_29binary_search_config_selectorIibEEZNS1_14transform_implILb0ES3_S5_N6thrust23THRUST_200600_302600_NS6detail15normal_iteratorINS8_10device_ptrIiEEEENSA_INSB_IbEEEEZNS1_13binary_searchIS3_S5_SD_SD_SF_NS1_16binary_search_opENS9_16wrapped_functionINS0_4lessIvEEbEEEE10hipError_tPvRmT1_T2_T3_mmT4_T5_P12ihipStream_tbEUlRKiE_EESM_SQ_SR_mSS_SV_bEUlT_E_NS1_11comp_targetILNS1_3genE9ELNS1_11target_archE1100ELNS1_3gpuE3ELNS1_3repE0EEENS1_30default_config_static_selectorELNS0_4arch9wavefront6targetE0EEEvSP_
                                        ; -- End function
	.section	.AMDGPU.csdata,"",@progbits
; Kernel info:
; codeLenInByte = 984
; NumSgprs: 22
; NumVgprs: 11
; ScratchSize: 0
; MemoryBound: 0
; FloatMode: 240
; IeeeMode: 1
; LDSByteSize: 0 bytes/workgroup (compile time only)
; SGPRBlocks: 2
; VGPRBlocks: 1
; NumSGPRsForWavesPerEU: 22
; NumVGPRsForWavesPerEU: 11
; Occupancy: 16
; WaveLimiterHint : 0
; COMPUTE_PGM_RSRC2:SCRATCH_EN: 0
; COMPUTE_PGM_RSRC2:USER_SGPR: 15
; COMPUTE_PGM_RSRC2:TRAP_HANDLER: 0
; COMPUTE_PGM_RSRC2:TGID_X_EN: 1
; COMPUTE_PGM_RSRC2:TGID_Y_EN: 0
; COMPUTE_PGM_RSRC2:TGID_Z_EN: 0
; COMPUTE_PGM_RSRC2:TIDIG_COMP_CNT: 0
	.section	.text._ZN7rocprim17ROCPRIM_400000_NS6detail17trampoline_kernelINS0_14default_configENS1_29binary_search_config_selectorIibEEZNS1_14transform_implILb0ES3_S5_N6thrust23THRUST_200600_302600_NS6detail15normal_iteratorINS8_10device_ptrIiEEEENSA_INSB_IbEEEEZNS1_13binary_searchIS3_S5_SD_SD_SF_NS1_16binary_search_opENS9_16wrapped_functionINS0_4lessIvEEbEEEE10hipError_tPvRmT1_T2_T3_mmT4_T5_P12ihipStream_tbEUlRKiE_EESM_SQ_SR_mSS_SV_bEUlT_E_NS1_11comp_targetILNS1_3genE8ELNS1_11target_archE1030ELNS1_3gpuE2ELNS1_3repE0EEENS1_30default_config_static_selectorELNS0_4arch9wavefront6targetE0EEEvSP_,"axG",@progbits,_ZN7rocprim17ROCPRIM_400000_NS6detail17trampoline_kernelINS0_14default_configENS1_29binary_search_config_selectorIibEEZNS1_14transform_implILb0ES3_S5_N6thrust23THRUST_200600_302600_NS6detail15normal_iteratorINS8_10device_ptrIiEEEENSA_INSB_IbEEEEZNS1_13binary_searchIS3_S5_SD_SD_SF_NS1_16binary_search_opENS9_16wrapped_functionINS0_4lessIvEEbEEEE10hipError_tPvRmT1_T2_T3_mmT4_T5_P12ihipStream_tbEUlRKiE_EESM_SQ_SR_mSS_SV_bEUlT_E_NS1_11comp_targetILNS1_3genE8ELNS1_11target_archE1030ELNS1_3gpuE2ELNS1_3repE0EEENS1_30default_config_static_selectorELNS0_4arch9wavefront6targetE0EEEvSP_,comdat
	.protected	_ZN7rocprim17ROCPRIM_400000_NS6detail17trampoline_kernelINS0_14default_configENS1_29binary_search_config_selectorIibEEZNS1_14transform_implILb0ES3_S5_N6thrust23THRUST_200600_302600_NS6detail15normal_iteratorINS8_10device_ptrIiEEEENSA_INSB_IbEEEEZNS1_13binary_searchIS3_S5_SD_SD_SF_NS1_16binary_search_opENS9_16wrapped_functionINS0_4lessIvEEbEEEE10hipError_tPvRmT1_T2_T3_mmT4_T5_P12ihipStream_tbEUlRKiE_EESM_SQ_SR_mSS_SV_bEUlT_E_NS1_11comp_targetILNS1_3genE8ELNS1_11target_archE1030ELNS1_3gpuE2ELNS1_3repE0EEENS1_30default_config_static_selectorELNS0_4arch9wavefront6targetE0EEEvSP_ ; -- Begin function _ZN7rocprim17ROCPRIM_400000_NS6detail17trampoline_kernelINS0_14default_configENS1_29binary_search_config_selectorIibEEZNS1_14transform_implILb0ES3_S5_N6thrust23THRUST_200600_302600_NS6detail15normal_iteratorINS8_10device_ptrIiEEEENSA_INSB_IbEEEEZNS1_13binary_searchIS3_S5_SD_SD_SF_NS1_16binary_search_opENS9_16wrapped_functionINS0_4lessIvEEbEEEE10hipError_tPvRmT1_T2_T3_mmT4_T5_P12ihipStream_tbEUlRKiE_EESM_SQ_SR_mSS_SV_bEUlT_E_NS1_11comp_targetILNS1_3genE8ELNS1_11target_archE1030ELNS1_3gpuE2ELNS1_3repE0EEENS1_30default_config_static_selectorELNS0_4arch9wavefront6targetE0EEEvSP_
	.globl	_ZN7rocprim17ROCPRIM_400000_NS6detail17trampoline_kernelINS0_14default_configENS1_29binary_search_config_selectorIibEEZNS1_14transform_implILb0ES3_S5_N6thrust23THRUST_200600_302600_NS6detail15normal_iteratorINS8_10device_ptrIiEEEENSA_INSB_IbEEEEZNS1_13binary_searchIS3_S5_SD_SD_SF_NS1_16binary_search_opENS9_16wrapped_functionINS0_4lessIvEEbEEEE10hipError_tPvRmT1_T2_T3_mmT4_T5_P12ihipStream_tbEUlRKiE_EESM_SQ_SR_mSS_SV_bEUlT_E_NS1_11comp_targetILNS1_3genE8ELNS1_11target_archE1030ELNS1_3gpuE2ELNS1_3repE0EEENS1_30default_config_static_selectorELNS0_4arch9wavefront6targetE0EEEvSP_
	.p2align	8
	.type	_ZN7rocprim17ROCPRIM_400000_NS6detail17trampoline_kernelINS0_14default_configENS1_29binary_search_config_selectorIibEEZNS1_14transform_implILb0ES3_S5_N6thrust23THRUST_200600_302600_NS6detail15normal_iteratorINS8_10device_ptrIiEEEENSA_INSB_IbEEEEZNS1_13binary_searchIS3_S5_SD_SD_SF_NS1_16binary_search_opENS9_16wrapped_functionINS0_4lessIvEEbEEEE10hipError_tPvRmT1_T2_T3_mmT4_T5_P12ihipStream_tbEUlRKiE_EESM_SQ_SR_mSS_SV_bEUlT_E_NS1_11comp_targetILNS1_3genE8ELNS1_11target_archE1030ELNS1_3gpuE2ELNS1_3repE0EEENS1_30default_config_static_selectorELNS0_4arch9wavefront6targetE0EEEvSP_,@function
_ZN7rocprim17ROCPRIM_400000_NS6detail17trampoline_kernelINS0_14default_configENS1_29binary_search_config_selectorIibEEZNS1_14transform_implILb0ES3_S5_N6thrust23THRUST_200600_302600_NS6detail15normal_iteratorINS8_10device_ptrIiEEEENSA_INSB_IbEEEEZNS1_13binary_searchIS3_S5_SD_SD_SF_NS1_16binary_search_opENS9_16wrapped_functionINS0_4lessIvEEbEEEE10hipError_tPvRmT1_T2_T3_mmT4_T5_P12ihipStream_tbEUlRKiE_EESM_SQ_SR_mSS_SV_bEUlT_E_NS1_11comp_targetILNS1_3genE8ELNS1_11target_archE1030ELNS1_3gpuE2ELNS1_3repE0EEENS1_30default_config_static_selectorELNS0_4arch9wavefront6targetE0EEEvSP_: ; @_ZN7rocprim17ROCPRIM_400000_NS6detail17trampoline_kernelINS0_14default_configENS1_29binary_search_config_selectorIibEEZNS1_14transform_implILb0ES3_S5_N6thrust23THRUST_200600_302600_NS6detail15normal_iteratorINS8_10device_ptrIiEEEENSA_INSB_IbEEEEZNS1_13binary_searchIS3_S5_SD_SD_SF_NS1_16binary_search_opENS9_16wrapped_functionINS0_4lessIvEEbEEEE10hipError_tPvRmT1_T2_T3_mmT4_T5_P12ihipStream_tbEUlRKiE_EESM_SQ_SR_mSS_SV_bEUlT_E_NS1_11comp_targetILNS1_3genE8ELNS1_11target_archE1030ELNS1_3gpuE2ELNS1_3repE0EEENS1_30default_config_static_selectorELNS0_4arch9wavefront6targetE0EEEvSP_
; %bb.0:
	.section	.rodata,"a",@progbits
	.p2align	6, 0x0
	.amdhsa_kernel _ZN7rocprim17ROCPRIM_400000_NS6detail17trampoline_kernelINS0_14default_configENS1_29binary_search_config_selectorIibEEZNS1_14transform_implILb0ES3_S5_N6thrust23THRUST_200600_302600_NS6detail15normal_iteratorINS8_10device_ptrIiEEEENSA_INSB_IbEEEEZNS1_13binary_searchIS3_S5_SD_SD_SF_NS1_16binary_search_opENS9_16wrapped_functionINS0_4lessIvEEbEEEE10hipError_tPvRmT1_T2_T3_mmT4_T5_P12ihipStream_tbEUlRKiE_EESM_SQ_SR_mSS_SV_bEUlT_E_NS1_11comp_targetILNS1_3genE8ELNS1_11target_archE1030ELNS1_3gpuE2ELNS1_3repE0EEENS1_30default_config_static_selectorELNS0_4arch9wavefront6targetE0EEEvSP_
		.amdhsa_group_segment_fixed_size 0
		.amdhsa_private_segment_fixed_size 0
		.amdhsa_kernarg_size 56
		.amdhsa_user_sgpr_count 15
		.amdhsa_user_sgpr_dispatch_ptr 0
		.amdhsa_user_sgpr_queue_ptr 0
		.amdhsa_user_sgpr_kernarg_segment_ptr 1
		.amdhsa_user_sgpr_dispatch_id 0
		.amdhsa_user_sgpr_private_segment_size 0
		.amdhsa_wavefront_size32 1
		.amdhsa_uses_dynamic_stack 0
		.amdhsa_enable_private_segment 0
		.amdhsa_system_sgpr_workgroup_id_x 1
		.amdhsa_system_sgpr_workgroup_id_y 0
		.amdhsa_system_sgpr_workgroup_id_z 0
		.amdhsa_system_sgpr_workgroup_info 0
		.amdhsa_system_vgpr_workitem_id 0
		.amdhsa_next_free_vgpr 1
		.amdhsa_next_free_sgpr 1
		.amdhsa_reserve_vcc 0
		.amdhsa_float_round_mode_32 0
		.amdhsa_float_round_mode_16_64 0
		.amdhsa_float_denorm_mode_32 3
		.amdhsa_float_denorm_mode_16_64 3
		.amdhsa_dx10_clamp 1
		.amdhsa_ieee_mode 1
		.amdhsa_fp16_overflow 0
		.amdhsa_workgroup_processor_mode 1
		.amdhsa_memory_ordered 1
		.amdhsa_forward_progress 0
		.amdhsa_shared_vgpr_count 0
		.amdhsa_exception_fp_ieee_invalid_op 0
		.amdhsa_exception_fp_denorm_src 0
		.amdhsa_exception_fp_ieee_div_zero 0
		.amdhsa_exception_fp_ieee_overflow 0
		.amdhsa_exception_fp_ieee_underflow 0
		.amdhsa_exception_fp_ieee_inexact 0
		.amdhsa_exception_int_div_zero 0
	.end_amdhsa_kernel
	.section	.text._ZN7rocprim17ROCPRIM_400000_NS6detail17trampoline_kernelINS0_14default_configENS1_29binary_search_config_selectorIibEEZNS1_14transform_implILb0ES3_S5_N6thrust23THRUST_200600_302600_NS6detail15normal_iteratorINS8_10device_ptrIiEEEENSA_INSB_IbEEEEZNS1_13binary_searchIS3_S5_SD_SD_SF_NS1_16binary_search_opENS9_16wrapped_functionINS0_4lessIvEEbEEEE10hipError_tPvRmT1_T2_T3_mmT4_T5_P12ihipStream_tbEUlRKiE_EESM_SQ_SR_mSS_SV_bEUlT_E_NS1_11comp_targetILNS1_3genE8ELNS1_11target_archE1030ELNS1_3gpuE2ELNS1_3repE0EEENS1_30default_config_static_selectorELNS0_4arch9wavefront6targetE0EEEvSP_,"axG",@progbits,_ZN7rocprim17ROCPRIM_400000_NS6detail17trampoline_kernelINS0_14default_configENS1_29binary_search_config_selectorIibEEZNS1_14transform_implILb0ES3_S5_N6thrust23THRUST_200600_302600_NS6detail15normal_iteratorINS8_10device_ptrIiEEEENSA_INSB_IbEEEEZNS1_13binary_searchIS3_S5_SD_SD_SF_NS1_16binary_search_opENS9_16wrapped_functionINS0_4lessIvEEbEEEE10hipError_tPvRmT1_T2_T3_mmT4_T5_P12ihipStream_tbEUlRKiE_EESM_SQ_SR_mSS_SV_bEUlT_E_NS1_11comp_targetILNS1_3genE8ELNS1_11target_archE1030ELNS1_3gpuE2ELNS1_3repE0EEENS1_30default_config_static_selectorELNS0_4arch9wavefront6targetE0EEEvSP_,comdat
.Lfunc_end518:
	.size	_ZN7rocprim17ROCPRIM_400000_NS6detail17trampoline_kernelINS0_14default_configENS1_29binary_search_config_selectorIibEEZNS1_14transform_implILb0ES3_S5_N6thrust23THRUST_200600_302600_NS6detail15normal_iteratorINS8_10device_ptrIiEEEENSA_INSB_IbEEEEZNS1_13binary_searchIS3_S5_SD_SD_SF_NS1_16binary_search_opENS9_16wrapped_functionINS0_4lessIvEEbEEEE10hipError_tPvRmT1_T2_T3_mmT4_T5_P12ihipStream_tbEUlRKiE_EESM_SQ_SR_mSS_SV_bEUlT_E_NS1_11comp_targetILNS1_3genE8ELNS1_11target_archE1030ELNS1_3gpuE2ELNS1_3repE0EEENS1_30default_config_static_selectorELNS0_4arch9wavefront6targetE0EEEvSP_, .Lfunc_end518-_ZN7rocprim17ROCPRIM_400000_NS6detail17trampoline_kernelINS0_14default_configENS1_29binary_search_config_selectorIibEEZNS1_14transform_implILb0ES3_S5_N6thrust23THRUST_200600_302600_NS6detail15normal_iteratorINS8_10device_ptrIiEEEENSA_INSB_IbEEEEZNS1_13binary_searchIS3_S5_SD_SD_SF_NS1_16binary_search_opENS9_16wrapped_functionINS0_4lessIvEEbEEEE10hipError_tPvRmT1_T2_T3_mmT4_T5_P12ihipStream_tbEUlRKiE_EESM_SQ_SR_mSS_SV_bEUlT_E_NS1_11comp_targetILNS1_3genE8ELNS1_11target_archE1030ELNS1_3gpuE2ELNS1_3repE0EEENS1_30default_config_static_selectorELNS0_4arch9wavefront6targetE0EEEvSP_
                                        ; -- End function
	.section	.AMDGPU.csdata,"",@progbits
; Kernel info:
; codeLenInByte = 0
; NumSgprs: 0
; NumVgprs: 0
; ScratchSize: 0
; MemoryBound: 0
; FloatMode: 240
; IeeeMode: 1
; LDSByteSize: 0 bytes/workgroup (compile time only)
; SGPRBlocks: 0
; VGPRBlocks: 0
; NumSGPRsForWavesPerEU: 1
; NumVGPRsForWavesPerEU: 1
; Occupancy: 16
; WaveLimiterHint : 0
; COMPUTE_PGM_RSRC2:SCRATCH_EN: 0
; COMPUTE_PGM_RSRC2:USER_SGPR: 15
; COMPUTE_PGM_RSRC2:TRAP_HANDLER: 0
; COMPUTE_PGM_RSRC2:TGID_X_EN: 1
; COMPUTE_PGM_RSRC2:TGID_Y_EN: 0
; COMPUTE_PGM_RSRC2:TGID_Z_EN: 0
; COMPUTE_PGM_RSRC2:TIDIG_COMP_CNT: 0
	.section	.text._ZN7rocprim17ROCPRIM_400000_NS6detail17trampoline_kernelINS0_14default_configENS1_29binary_search_config_selectorIiiEEZNS1_14transform_implILb0ES3_S5_N6thrust23THRUST_200600_302600_NS6detail15normal_iteratorINS8_10device_ptrIiEEEESD_ZNS1_13binary_searchIS3_S5_SD_SD_SD_NS1_16binary_search_opENS9_16wrapped_functionINS0_4lessIvEEbEEEE10hipError_tPvRmT1_T2_T3_mmT4_T5_P12ihipStream_tbEUlRKiE_EESK_SO_SP_mSQ_ST_bEUlT_E_NS1_11comp_targetILNS1_3genE0ELNS1_11target_archE4294967295ELNS1_3gpuE0ELNS1_3repE0EEENS1_30default_config_static_selectorELNS0_4arch9wavefront6targetE0EEEvSN_,"axG",@progbits,_ZN7rocprim17ROCPRIM_400000_NS6detail17trampoline_kernelINS0_14default_configENS1_29binary_search_config_selectorIiiEEZNS1_14transform_implILb0ES3_S5_N6thrust23THRUST_200600_302600_NS6detail15normal_iteratorINS8_10device_ptrIiEEEESD_ZNS1_13binary_searchIS3_S5_SD_SD_SD_NS1_16binary_search_opENS9_16wrapped_functionINS0_4lessIvEEbEEEE10hipError_tPvRmT1_T2_T3_mmT4_T5_P12ihipStream_tbEUlRKiE_EESK_SO_SP_mSQ_ST_bEUlT_E_NS1_11comp_targetILNS1_3genE0ELNS1_11target_archE4294967295ELNS1_3gpuE0ELNS1_3repE0EEENS1_30default_config_static_selectorELNS0_4arch9wavefront6targetE0EEEvSN_,comdat
	.protected	_ZN7rocprim17ROCPRIM_400000_NS6detail17trampoline_kernelINS0_14default_configENS1_29binary_search_config_selectorIiiEEZNS1_14transform_implILb0ES3_S5_N6thrust23THRUST_200600_302600_NS6detail15normal_iteratorINS8_10device_ptrIiEEEESD_ZNS1_13binary_searchIS3_S5_SD_SD_SD_NS1_16binary_search_opENS9_16wrapped_functionINS0_4lessIvEEbEEEE10hipError_tPvRmT1_T2_T3_mmT4_T5_P12ihipStream_tbEUlRKiE_EESK_SO_SP_mSQ_ST_bEUlT_E_NS1_11comp_targetILNS1_3genE0ELNS1_11target_archE4294967295ELNS1_3gpuE0ELNS1_3repE0EEENS1_30default_config_static_selectorELNS0_4arch9wavefront6targetE0EEEvSN_ ; -- Begin function _ZN7rocprim17ROCPRIM_400000_NS6detail17trampoline_kernelINS0_14default_configENS1_29binary_search_config_selectorIiiEEZNS1_14transform_implILb0ES3_S5_N6thrust23THRUST_200600_302600_NS6detail15normal_iteratorINS8_10device_ptrIiEEEESD_ZNS1_13binary_searchIS3_S5_SD_SD_SD_NS1_16binary_search_opENS9_16wrapped_functionINS0_4lessIvEEbEEEE10hipError_tPvRmT1_T2_T3_mmT4_T5_P12ihipStream_tbEUlRKiE_EESK_SO_SP_mSQ_ST_bEUlT_E_NS1_11comp_targetILNS1_3genE0ELNS1_11target_archE4294967295ELNS1_3gpuE0ELNS1_3repE0EEENS1_30default_config_static_selectorELNS0_4arch9wavefront6targetE0EEEvSN_
	.globl	_ZN7rocprim17ROCPRIM_400000_NS6detail17trampoline_kernelINS0_14default_configENS1_29binary_search_config_selectorIiiEEZNS1_14transform_implILb0ES3_S5_N6thrust23THRUST_200600_302600_NS6detail15normal_iteratorINS8_10device_ptrIiEEEESD_ZNS1_13binary_searchIS3_S5_SD_SD_SD_NS1_16binary_search_opENS9_16wrapped_functionINS0_4lessIvEEbEEEE10hipError_tPvRmT1_T2_T3_mmT4_T5_P12ihipStream_tbEUlRKiE_EESK_SO_SP_mSQ_ST_bEUlT_E_NS1_11comp_targetILNS1_3genE0ELNS1_11target_archE4294967295ELNS1_3gpuE0ELNS1_3repE0EEENS1_30default_config_static_selectorELNS0_4arch9wavefront6targetE0EEEvSN_
	.p2align	8
	.type	_ZN7rocprim17ROCPRIM_400000_NS6detail17trampoline_kernelINS0_14default_configENS1_29binary_search_config_selectorIiiEEZNS1_14transform_implILb0ES3_S5_N6thrust23THRUST_200600_302600_NS6detail15normal_iteratorINS8_10device_ptrIiEEEESD_ZNS1_13binary_searchIS3_S5_SD_SD_SD_NS1_16binary_search_opENS9_16wrapped_functionINS0_4lessIvEEbEEEE10hipError_tPvRmT1_T2_T3_mmT4_T5_P12ihipStream_tbEUlRKiE_EESK_SO_SP_mSQ_ST_bEUlT_E_NS1_11comp_targetILNS1_3genE0ELNS1_11target_archE4294967295ELNS1_3gpuE0ELNS1_3repE0EEENS1_30default_config_static_selectorELNS0_4arch9wavefront6targetE0EEEvSN_,@function
_ZN7rocprim17ROCPRIM_400000_NS6detail17trampoline_kernelINS0_14default_configENS1_29binary_search_config_selectorIiiEEZNS1_14transform_implILb0ES3_S5_N6thrust23THRUST_200600_302600_NS6detail15normal_iteratorINS8_10device_ptrIiEEEESD_ZNS1_13binary_searchIS3_S5_SD_SD_SD_NS1_16binary_search_opENS9_16wrapped_functionINS0_4lessIvEEbEEEE10hipError_tPvRmT1_T2_T3_mmT4_T5_P12ihipStream_tbEUlRKiE_EESK_SO_SP_mSQ_ST_bEUlT_E_NS1_11comp_targetILNS1_3genE0ELNS1_11target_archE4294967295ELNS1_3gpuE0ELNS1_3repE0EEENS1_30default_config_static_selectorELNS0_4arch9wavefront6targetE0EEEvSN_: ; @_ZN7rocprim17ROCPRIM_400000_NS6detail17trampoline_kernelINS0_14default_configENS1_29binary_search_config_selectorIiiEEZNS1_14transform_implILb0ES3_S5_N6thrust23THRUST_200600_302600_NS6detail15normal_iteratorINS8_10device_ptrIiEEEESD_ZNS1_13binary_searchIS3_S5_SD_SD_SD_NS1_16binary_search_opENS9_16wrapped_functionINS0_4lessIvEEbEEEE10hipError_tPvRmT1_T2_T3_mmT4_T5_P12ihipStream_tbEUlRKiE_EESK_SO_SP_mSQ_ST_bEUlT_E_NS1_11comp_targetILNS1_3genE0ELNS1_11target_archE4294967295ELNS1_3gpuE0ELNS1_3repE0EEENS1_30default_config_static_selectorELNS0_4arch9wavefront6targetE0EEEvSN_
; %bb.0:
	.section	.rodata,"a",@progbits
	.p2align	6, 0x0
	.amdhsa_kernel _ZN7rocprim17ROCPRIM_400000_NS6detail17trampoline_kernelINS0_14default_configENS1_29binary_search_config_selectorIiiEEZNS1_14transform_implILb0ES3_S5_N6thrust23THRUST_200600_302600_NS6detail15normal_iteratorINS8_10device_ptrIiEEEESD_ZNS1_13binary_searchIS3_S5_SD_SD_SD_NS1_16binary_search_opENS9_16wrapped_functionINS0_4lessIvEEbEEEE10hipError_tPvRmT1_T2_T3_mmT4_T5_P12ihipStream_tbEUlRKiE_EESK_SO_SP_mSQ_ST_bEUlT_E_NS1_11comp_targetILNS1_3genE0ELNS1_11target_archE4294967295ELNS1_3gpuE0ELNS1_3repE0EEENS1_30default_config_static_selectorELNS0_4arch9wavefront6targetE0EEEvSN_
		.amdhsa_group_segment_fixed_size 0
		.amdhsa_private_segment_fixed_size 0
		.amdhsa_kernarg_size 56
		.amdhsa_user_sgpr_count 15
		.amdhsa_user_sgpr_dispatch_ptr 0
		.amdhsa_user_sgpr_queue_ptr 0
		.amdhsa_user_sgpr_kernarg_segment_ptr 1
		.amdhsa_user_sgpr_dispatch_id 0
		.amdhsa_user_sgpr_private_segment_size 0
		.amdhsa_wavefront_size32 1
		.amdhsa_uses_dynamic_stack 0
		.amdhsa_enable_private_segment 0
		.amdhsa_system_sgpr_workgroup_id_x 1
		.amdhsa_system_sgpr_workgroup_id_y 0
		.amdhsa_system_sgpr_workgroup_id_z 0
		.amdhsa_system_sgpr_workgroup_info 0
		.amdhsa_system_vgpr_workitem_id 0
		.amdhsa_next_free_vgpr 1
		.amdhsa_next_free_sgpr 1
		.amdhsa_reserve_vcc 0
		.amdhsa_float_round_mode_32 0
		.amdhsa_float_round_mode_16_64 0
		.amdhsa_float_denorm_mode_32 3
		.amdhsa_float_denorm_mode_16_64 3
		.amdhsa_dx10_clamp 1
		.amdhsa_ieee_mode 1
		.amdhsa_fp16_overflow 0
		.amdhsa_workgroup_processor_mode 1
		.amdhsa_memory_ordered 1
		.amdhsa_forward_progress 0
		.amdhsa_shared_vgpr_count 0
		.amdhsa_exception_fp_ieee_invalid_op 0
		.amdhsa_exception_fp_denorm_src 0
		.amdhsa_exception_fp_ieee_div_zero 0
		.amdhsa_exception_fp_ieee_overflow 0
		.amdhsa_exception_fp_ieee_underflow 0
		.amdhsa_exception_fp_ieee_inexact 0
		.amdhsa_exception_int_div_zero 0
	.end_amdhsa_kernel
	.section	.text._ZN7rocprim17ROCPRIM_400000_NS6detail17trampoline_kernelINS0_14default_configENS1_29binary_search_config_selectorIiiEEZNS1_14transform_implILb0ES3_S5_N6thrust23THRUST_200600_302600_NS6detail15normal_iteratorINS8_10device_ptrIiEEEESD_ZNS1_13binary_searchIS3_S5_SD_SD_SD_NS1_16binary_search_opENS9_16wrapped_functionINS0_4lessIvEEbEEEE10hipError_tPvRmT1_T2_T3_mmT4_T5_P12ihipStream_tbEUlRKiE_EESK_SO_SP_mSQ_ST_bEUlT_E_NS1_11comp_targetILNS1_3genE0ELNS1_11target_archE4294967295ELNS1_3gpuE0ELNS1_3repE0EEENS1_30default_config_static_selectorELNS0_4arch9wavefront6targetE0EEEvSN_,"axG",@progbits,_ZN7rocprim17ROCPRIM_400000_NS6detail17trampoline_kernelINS0_14default_configENS1_29binary_search_config_selectorIiiEEZNS1_14transform_implILb0ES3_S5_N6thrust23THRUST_200600_302600_NS6detail15normal_iteratorINS8_10device_ptrIiEEEESD_ZNS1_13binary_searchIS3_S5_SD_SD_SD_NS1_16binary_search_opENS9_16wrapped_functionINS0_4lessIvEEbEEEE10hipError_tPvRmT1_T2_T3_mmT4_T5_P12ihipStream_tbEUlRKiE_EESK_SO_SP_mSQ_ST_bEUlT_E_NS1_11comp_targetILNS1_3genE0ELNS1_11target_archE4294967295ELNS1_3gpuE0ELNS1_3repE0EEENS1_30default_config_static_selectorELNS0_4arch9wavefront6targetE0EEEvSN_,comdat
.Lfunc_end519:
	.size	_ZN7rocprim17ROCPRIM_400000_NS6detail17trampoline_kernelINS0_14default_configENS1_29binary_search_config_selectorIiiEEZNS1_14transform_implILb0ES3_S5_N6thrust23THRUST_200600_302600_NS6detail15normal_iteratorINS8_10device_ptrIiEEEESD_ZNS1_13binary_searchIS3_S5_SD_SD_SD_NS1_16binary_search_opENS9_16wrapped_functionINS0_4lessIvEEbEEEE10hipError_tPvRmT1_T2_T3_mmT4_T5_P12ihipStream_tbEUlRKiE_EESK_SO_SP_mSQ_ST_bEUlT_E_NS1_11comp_targetILNS1_3genE0ELNS1_11target_archE4294967295ELNS1_3gpuE0ELNS1_3repE0EEENS1_30default_config_static_selectorELNS0_4arch9wavefront6targetE0EEEvSN_, .Lfunc_end519-_ZN7rocprim17ROCPRIM_400000_NS6detail17trampoline_kernelINS0_14default_configENS1_29binary_search_config_selectorIiiEEZNS1_14transform_implILb0ES3_S5_N6thrust23THRUST_200600_302600_NS6detail15normal_iteratorINS8_10device_ptrIiEEEESD_ZNS1_13binary_searchIS3_S5_SD_SD_SD_NS1_16binary_search_opENS9_16wrapped_functionINS0_4lessIvEEbEEEE10hipError_tPvRmT1_T2_T3_mmT4_T5_P12ihipStream_tbEUlRKiE_EESK_SO_SP_mSQ_ST_bEUlT_E_NS1_11comp_targetILNS1_3genE0ELNS1_11target_archE4294967295ELNS1_3gpuE0ELNS1_3repE0EEENS1_30default_config_static_selectorELNS0_4arch9wavefront6targetE0EEEvSN_
                                        ; -- End function
	.section	.AMDGPU.csdata,"",@progbits
; Kernel info:
; codeLenInByte = 0
; NumSgprs: 0
; NumVgprs: 0
; ScratchSize: 0
; MemoryBound: 0
; FloatMode: 240
; IeeeMode: 1
; LDSByteSize: 0 bytes/workgroup (compile time only)
; SGPRBlocks: 0
; VGPRBlocks: 0
; NumSGPRsForWavesPerEU: 1
; NumVGPRsForWavesPerEU: 1
; Occupancy: 16
; WaveLimiterHint : 0
; COMPUTE_PGM_RSRC2:SCRATCH_EN: 0
; COMPUTE_PGM_RSRC2:USER_SGPR: 15
; COMPUTE_PGM_RSRC2:TRAP_HANDLER: 0
; COMPUTE_PGM_RSRC2:TGID_X_EN: 1
; COMPUTE_PGM_RSRC2:TGID_Y_EN: 0
; COMPUTE_PGM_RSRC2:TGID_Z_EN: 0
; COMPUTE_PGM_RSRC2:TIDIG_COMP_CNT: 0
	.section	.text._ZN7rocprim17ROCPRIM_400000_NS6detail17trampoline_kernelINS0_14default_configENS1_29binary_search_config_selectorIiiEEZNS1_14transform_implILb0ES3_S5_N6thrust23THRUST_200600_302600_NS6detail15normal_iteratorINS8_10device_ptrIiEEEESD_ZNS1_13binary_searchIS3_S5_SD_SD_SD_NS1_16binary_search_opENS9_16wrapped_functionINS0_4lessIvEEbEEEE10hipError_tPvRmT1_T2_T3_mmT4_T5_P12ihipStream_tbEUlRKiE_EESK_SO_SP_mSQ_ST_bEUlT_E_NS1_11comp_targetILNS1_3genE5ELNS1_11target_archE942ELNS1_3gpuE9ELNS1_3repE0EEENS1_30default_config_static_selectorELNS0_4arch9wavefront6targetE0EEEvSN_,"axG",@progbits,_ZN7rocprim17ROCPRIM_400000_NS6detail17trampoline_kernelINS0_14default_configENS1_29binary_search_config_selectorIiiEEZNS1_14transform_implILb0ES3_S5_N6thrust23THRUST_200600_302600_NS6detail15normal_iteratorINS8_10device_ptrIiEEEESD_ZNS1_13binary_searchIS3_S5_SD_SD_SD_NS1_16binary_search_opENS9_16wrapped_functionINS0_4lessIvEEbEEEE10hipError_tPvRmT1_T2_T3_mmT4_T5_P12ihipStream_tbEUlRKiE_EESK_SO_SP_mSQ_ST_bEUlT_E_NS1_11comp_targetILNS1_3genE5ELNS1_11target_archE942ELNS1_3gpuE9ELNS1_3repE0EEENS1_30default_config_static_selectorELNS0_4arch9wavefront6targetE0EEEvSN_,comdat
	.protected	_ZN7rocprim17ROCPRIM_400000_NS6detail17trampoline_kernelINS0_14default_configENS1_29binary_search_config_selectorIiiEEZNS1_14transform_implILb0ES3_S5_N6thrust23THRUST_200600_302600_NS6detail15normal_iteratorINS8_10device_ptrIiEEEESD_ZNS1_13binary_searchIS3_S5_SD_SD_SD_NS1_16binary_search_opENS9_16wrapped_functionINS0_4lessIvEEbEEEE10hipError_tPvRmT1_T2_T3_mmT4_T5_P12ihipStream_tbEUlRKiE_EESK_SO_SP_mSQ_ST_bEUlT_E_NS1_11comp_targetILNS1_3genE5ELNS1_11target_archE942ELNS1_3gpuE9ELNS1_3repE0EEENS1_30default_config_static_selectorELNS0_4arch9wavefront6targetE0EEEvSN_ ; -- Begin function _ZN7rocprim17ROCPRIM_400000_NS6detail17trampoline_kernelINS0_14default_configENS1_29binary_search_config_selectorIiiEEZNS1_14transform_implILb0ES3_S5_N6thrust23THRUST_200600_302600_NS6detail15normal_iteratorINS8_10device_ptrIiEEEESD_ZNS1_13binary_searchIS3_S5_SD_SD_SD_NS1_16binary_search_opENS9_16wrapped_functionINS0_4lessIvEEbEEEE10hipError_tPvRmT1_T2_T3_mmT4_T5_P12ihipStream_tbEUlRKiE_EESK_SO_SP_mSQ_ST_bEUlT_E_NS1_11comp_targetILNS1_3genE5ELNS1_11target_archE942ELNS1_3gpuE9ELNS1_3repE0EEENS1_30default_config_static_selectorELNS0_4arch9wavefront6targetE0EEEvSN_
	.globl	_ZN7rocprim17ROCPRIM_400000_NS6detail17trampoline_kernelINS0_14default_configENS1_29binary_search_config_selectorIiiEEZNS1_14transform_implILb0ES3_S5_N6thrust23THRUST_200600_302600_NS6detail15normal_iteratorINS8_10device_ptrIiEEEESD_ZNS1_13binary_searchIS3_S5_SD_SD_SD_NS1_16binary_search_opENS9_16wrapped_functionINS0_4lessIvEEbEEEE10hipError_tPvRmT1_T2_T3_mmT4_T5_P12ihipStream_tbEUlRKiE_EESK_SO_SP_mSQ_ST_bEUlT_E_NS1_11comp_targetILNS1_3genE5ELNS1_11target_archE942ELNS1_3gpuE9ELNS1_3repE0EEENS1_30default_config_static_selectorELNS0_4arch9wavefront6targetE0EEEvSN_
	.p2align	8
	.type	_ZN7rocprim17ROCPRIM_400000_NS6detail17trampoline_kernelINS0_14default_configENS1_29binary_search_config_selectorIiiEEZNS1_14transform_implILb0ES3_S5_N6thrust23THRUST_200600_302600_NS6detail15normal_iteratorINS8_10device_ptrIiEEEESD_ZNS1_13binary_searchIS3_S5_SD_SD_SD_NS1_16binary_search_opENS9_16wrapped_functionINS0_4lessIvEEbEEEE10hipError_tPvRmT1_T2_T3_mmT4_T5_P12ihipStream_tbEUlRKiE_EESK_SO_SP_mSQ_ST_bEUlT_E_NS1_11comp_targetILNS1_3genE5ELNS1_11target_archE942ELNS1_3gpuE9ELNS1_3repE0EEENS1_30default_config_static_selectorELNS0_4arch9wavefront6targetE0EEEvSN_,@function
_ZN7rocprim17ROCPRIM_400000_NS6detail17trampoline_kernelINS0_14default_configENS1_29binary_search_config_selectorIiiEEZNS1_14transform_implILb0ES3_S5_N6thrust23THRUST_200600_302600_NS6detail15normal_iteratorINS8_10device_ptrIiEEEESD_ZNS1_13binary_searchIS3_S5_SD_SD_SD_NS1_16binary_search_opENS9_16wrapped_functionINS0_4lessIvEEbEEEE10hipError_tPvRmT1_T2_T3_mmT4_T5_P12ihipStream_tbEUlRKiE_EESK_SO_SP_mSQ_ST_bEUlT_E_NS1_11comp_targetILNS1_3genE5ELNS1_11target_archE942ELNS1_3gpuE9ELNS1_3repE0EEENS1_30default_config_static_selectorELNS0_4arch9wavefront6targetE0EEEvSN_: ; @_ZN7rocprim17ROCPRIM_400000_NS6detail17trampoline_kernelINS0_14default_configENS1_29binary_search_config_selectorIiiEEZNS1_14transform_implILb0ES3_S5_N6thrust23THRUST_200600_302600_NS6detail15normal_iteratorINS8_10device_ptrIiEEEESD_ZNS1_13binary_searchIS3_S5_SD_SD_SD_NS1_16binary_search_opENS9_16wrapped_functionINS0_4lessIvEEbEEEE10hipError_tPvRmT1_T2_T3_mmT4_T5_P12ihipStream_tbEUlRKiE_EESK_SO_SP_mSQ_ST_bEUlT_E_NS1_11comp_targetILNS1_3genE5ELNS1_11target_archE942ELNS1_3gpuE9ELNS1_3repE0EEENS1_30default_config_static_selectorELNS0_4arch9wavefront6targetE0EEEvSN_
; %bb.0:
	.section	.rodata,"a",@progbits
	.p2align	6, 0x0
	.amdhsa_kernel _ZN7rocprim17ROCPRIM_400000_NS6detail17trampoline_kernelINS0_14default_configENS1_29binary_search_config_selectorIiiEEZNS1_14transform_implILb0ES3_S5_N6thrust23THRUST_200600_302600_NS6detail15normal_iteratorINS8_10device_ptrIiEEEESD_ZNS1_13binary_searchIS3_S5_SD_SD_SD_NS1_16binary_search_opENS9_16wrapped_functionINS0_4lessIvEEbEEEE10hipError_tPvRmT1_T2_T3_mmT4_T5_P12ihipStream_tbEUlRKiE_EESK_SO_SP_mSQ_ST_bEUlT_E_NS1_11comp_targetILNS1_3genE5ELNS1_11target_archE942ELNS1_3gpuE9ELNS1_3repE0EEENS1_30default_config_static_selectorELNS0_4arch9wavefront6targetE0EEEvSN_
		.amdhsa_group_segment_fixed_size 0
		.amdhsa_private_segment_fixed_size 0
		.amdhsa_kernarg_size 56
		.amdhsa_user_sgpr_count 15
		.amdhsa_user_sgpr_dispatch_ptr 0
		.amdhsa_user_sgpr_queue_ptr 0
		.amdhsa_user_sgpr_kernarg_segment_ptr 1
		.amdhsa_user_sgpr_dispatch_id 0
		.amdhsa_user_sgpr_private_segment_size 0
		.amdhsa_wavefront_size32 1
		.amdhsa_uses_dynamic_stack 0
		.amdhsa_enable_private_segment 0
		.amdhsa_system_sgpr_workgroup_id_x 1
		.amdhsa_system_sgpr_workgroup_id_y 0
		.amdhsa_system_sgpr_workgroup_id_z 0
		.amdhsa_system_sgpr_workgroup_info 0
		.amdhsa_system_vgpr_workitem_id 0
		.amdhsa_next_free_vgpr 1
		.amdhsa_next_free_sgpr 1
		.amdhsa_reserve_vcc 0
		.amdhsa_float_round_mode_32 0
		.amdhsa_float_round_mode_16_64 0
		.amdhsa_float_denorm_mode_32 3
		.amdhsa_float_denorm_mode_16_64 3
		.amdhsa_dx10_clamp 1
		.amdhsa_ieee_mode 1
		.amdhsa_fp16_overflow 0
		.amdhsa_workgroup_processor_mode 1
		.amdhsa_memory_ordered 1
		.amdhsa_forward_progress 0
		.amdhsa_shared_vgpr_count 0
		.amdhsa_exception_fp_ieee_invalid_op 0
		.amdhsa_exception_fp_denorm_src 0
		.amdhsa_exception_fp_ieee_div_zero 0
		.amdhsa_exception_fp_ieee_overflow 0
		.amdhsa_exception_fp_ieee_underflow 0
		.amdhsa_exception_fp_ieee_inexact 0
		.amdhsa_exception_int_div_zero 0
	.end_amdhsa_kernel
	.section	.text._ZN7rocprim17ROCPRIM_400000_NS6detail17trampoline_kernelINS0_14default_configENS1_29binary_search_config_selectorIiiEEZNS1_14transform_implILb0ES3_S5_N6thrust23THRUST_200600_302600_NS6detail15normal_iteratorINS8_10device_ptrIiEEEESD_ZNS1_13binary_searchIS3_S5_SD_SD_SD_NS1_16binary_search_opENS9_16wrapped_functionINS0_4lessIvEEbEEEE10hipError_tPvRmT1_T2_T3_mmT4_T5_P12ihipStream_tbEUlRKiE_EESK_SO_SP_mSQ_ST_bEUlT_E_NS1_11comp_targetILNS1_3genE5ELNS1_11target_archE942ELNS1_3gpuE9ELNS1_3repE0EEENS1_30default_config_static_selectorELNS0_4arch9wavefront6targetE0EEEvSN_,"axG",@progbits,_ZN7rocprim17ROCPRIM_400000_NS6detail17trampoline_kernelINS0_14default_configENS1_29binary_search_config_selectorIiiEEZNS1_14transform_implILb0ES3_S5_N6thrust23THRUST_200600_302600_NS6detail15normal_iteratorINS8_10device_ptrIiEEEESD_ZNS1_13binary_searchIS3_S5_SD_SD_SD_NS1_16binary_search_opENS9_16wrapped_functionINS0_4lessIvEEbEEEE10hipError_tPvRmT1_T2_T3_mmT4_T5_P12ihipStream_tbEUlRKiE_EESK_SO_SP_mSQ_ST_bEUlT_E_NS1_11comp_targetILNS1_3genE5ELNS1_11target_archE942ELNS1_3gpuE9ELNS1_3repE0EEENS1_30default_config_static_selectorELNS0_4arch9wavefront6targetE0EEEvSN_,comdat
.Lfunc_end520:
	.size	_ZN7rocprim17ROCPRIM_400000_NS6detail17trampoline_kernelINS0_14default_configENS1_29binary_search_config_selectorIiiEEZNS1_14transform_implILb0ES3_S5_N6thrust23THRUST_200600_302600_NS6detail15normal_iteratorINS8_10device_ptrIiEEEESD_ZNS1_13binary_searchIS3_S5_SD_SD_SD_NS1_16binary_search_opENS9_16wrapped_functionINS0_4lessIvEEbEEEE10hipError_tPvRmT1_T2_T3_mmT4_T5_P12ihipStream_tbEUlRKiE_EESK_SO_SP_mSQ_ST_bEUlT_E_NS1_11comp_targetILNS1_3genE5ELNS1_11target_archE942ELNS1_3gpuE9ELNS1_3repE0EEENS1_30default_config_static_selectorELNS0_4arch9wavefront6targetE0EEEvSN_, .Lfunc_end520-_ZN7rocprim17ROCPRIM_400000_NS6detail17trampoline_kernelINS0_14default_configENS1_29binary_search_config_selectorIiiEEZNS1_14transform_implILb0ES3_S5_N6thrust23THRUST_200600_302600_NS6detail15normal_iteratorINS8_10device_ptrIiEEEESD_ZNS1_13binary_searchIS3_S5_SD_SD_SD_NS1_16binary_search_opENS9_16wrapped_functionINS0_4lessIvEEbEEEE10hipError_tPvRmT1_T2_T3_mmT4_T5_P12ihipStream_tbEUlRKiE_EESK_SO_SP_mSQ_ST_bEUlT_E_NS1_11comp_targetILNS1_3genE5ELNS1_11target_archE942ELNS1_3gpuE9ELNS1_3repE0EEENS1_30default_config_static_selectorELNS0_4arch9wavefront6targetE0EEEvSN_
                                        ; -- End function
	.section	.AMDGPU.csdata,"",@progbits
; Kernel info:
; codeLenInByte = 0
; NumSgprs: 0
; NumVgprs: 0
; ScratchSize: 0
; MemoryBound: 0
; FloatMode: 240
; IeeeMode: 1
; LDSByteSize: 0 bytes/workgroup (compile time only)
; SGPRBlocks: 0
; VGPRBlocks: 0
; NumSGPRsForWavesPerEU: 1
; NumVGPRsForWavesPerEU: 1
; Occupancy: 16
; WaveLimiterHint : 0
; COMPUTE_PGM_RSRC2:SCRATCH_EN: 0
; COMPUTE_PGM_RSRC2:USER_SGPR: 15
; COMPUTE_PGM_RSRC2:TRAP_HANDLER: 0
; COMPUTE_PGM_RSRC2:TGID_X_EN: 1
; COMPUTE_PGM_RSRC2:TGID_Y_EN: 0
; COMPUTE_PGM_RSRC2:TGID_Z_EN: 0
; COMPUTE_PGM_RSRC2:TIDIG_COMP_CNT: 0
	.section	.text._ZN7rocprim17ROCPRIM_400000_NS6detail17trampoline_kernelINS0_14default_configENS1_29binary_search_config_selectorIiiEEZNS1_14transform_implILb0ES3_S5_N6thrust23THRUST_200600_302600_NS6detail15normal_iteratorINS8_10device_ptrIiEEEESD_ZNS1_13binary_searchIS3_S5_SD_SD_SD_NS1_16binary_search_opENS9_16wrapped_functionINS0_4lessIvEEbEEEE10hipError_tPvRmT1_T2_T3_mmT4_T5_P12ihipStream_tbEUlRKiE_EESK_SO_SP_mSQ_ST_bEUlT_E_NS1_11comp_targetILNS1_3genE4ELNS1_11target_archE910ELNS1_3gpuE8ELNS1_3repE0EEENS1_30default_config_static_selectorELNS0_4arch9wavefront6targetE0EEEvSN_,"axG",@progbits,_ZN7rocprim17ROCPRIM_400000_NS6detail17trampoline_kernelINS0_14default_configENS1_29binary_search_config_selectorIiiEEZNS1_14transform_implILb0ES3_S5_N6thrust23THRUST_200600_302600_NS6detail15normal_iteratorINS8_10device_ptrIiEEEESD_ZNS1_13binary_searchIS3_S5_SD_SD_SD_NS1_16binary_search_opENS9_16wrapped_functionINS0_4lessIvEEbEEEE10hipError_tPvRmT1_T2_T3_mmT4_T5_P12ihipStream_tbEUlRKiE_EESK_SO_SP_mSQ_ST_bEUlT_E_NS1_11comp_targetILNS1_3genE4ELNS1_11target_archE910ELNS1_3gpuE8ELNS1_3repE0EEENS1_30default_config_static_selectorELNS0_4arch9wavefront6targetE0EEEvSN_,comdat
	.protected	_ZN7rocprim17ROCPRIM_400000_NS6detail17trampoline_kernelINS0_14default_configENS1_29binary_search_config_selectorIiiEEZNS1_14transform_implILb0ES3_S5_N6thrust23THRUST_200600_302600_NS6detail15normal_iteratorINS8_10device_ptrIiEEEESD_ZNS1_13binary_searchIS3_S5_SD_SD_SD_NS1_16binary_search_opENS9_16wrapped_functionINS0_4lessIvEEbEEEE10hipError_tPvRmT1_T2_T3_mmT4_T5_P12ihipStream_tbEUlRKiE_EESK_SO_SP_mSQ_ST_bEUlT_E_NS1_11comp_targetILNS1_3genE4ELNS1_11target_archE910ELNS1_3gpuE8ELNS1_3repE0EEENS1_30default_config_static_selectorELNS0_4arch9wavefront6targetE0EEEvSN_ ; -- Begin function _ZN7rocprim17ROCPRIM_400000_NS6detail17trampoline_kernelINS0_14default_configENS1_29binary_search_config_selectorIiiEEZNS1_14transform_implILb0ES3_S5_N6thrust23THRUST_200600_302600_NS6detail15normal_iteratorINS8_10device_ptrIiEEEESD_ZNS1_13binary_searchIS3_S5_SD_SD_SD_NS1_16binary_search_opENS9_16wrapped_functionINS0_4lessIvEEbEEEE10hipError_tPvRmT1_T2_T3_mmT4_T5_P12ihipStream_tbEUlRKiE_EESK_SO_SP_mSQ_ST_bEUlT_E_NS1_11comp_targetILNS1_3genE4ELNS1_11target_archE910ELNS1_3gpuE8ELNS1_3repE0EEENS1_30default_config_static_selectorELNS0_4arch9wavefront6targetE0EEEvSN_
	.globl	_ZN7rocprim17ROCPRIM_400000_NS6detail17trampoline_kernelINS0_14default_configENS1_29binary_search_config_selectorIiiEEZNS1_14transform_implILb0ES3_S5_N6thrust23THRUST_200600_302600_NS6detail15normal_iteratorINS8_10device_ptrIiEEEESD_ZNS1_13binary_searchIS3_S5_SD_SD_SD_NS1_16binary_search_opENS9_16wrapped_functionINS0_4lessIvEEbEEEE10hipError_tPvRmT1_T2_T3_mmT4_T5_P12ihipStream_tbEUlRKiE_EESK_SO_SP_mSQ_ST_bEUlT_E_NS1_11comp_targetILNS1_3genE4ELNS1_11target_archE910ELNS1_3gpuE8ELNS1_3repE0EEENS1_30default_config_static_selectorELNS0_4arch9wavefront6targetE0EEEvSN_
	.p2align	8
	.type	_ZN7rocprim17ROCPRIM_400000_NS6detail17trampoline_kernelINS0_14default_configENS1_29binary_search_config_selectorIiiEEZNS1_14transform_implILb0ES3_S5_N6thrust23THRUST_200600_302600_NS6detail15normal_iteratorINS8_10device_ptrIiEEEESD_ZNS1_13binary_searchIS3_S5_SD_SD_SD_NS1_16binary_search_opENS9_16wrapped_functionINS0_4lessIvEEbEEEE10hipError_tPvRmT1_T2_T3_mmT4_T5_P12ihipStream_tbEUlRKiE_EESK_SO_SP_mSQ_ST_bEUlT_E_NS1_11comp_targetILNS1_3genE4ELNS1_11target_archE910ELNS1_3gpuE8ELNS1_3repE0EEENS1_30default_config_static_selectorELNS0_4arch9wavefront6targetE0EEEvSN_,@function
_ZN7rocprim17ROCPRIM_400000_NS6detail17trampoline_kernelINS0_14default_configENS1_29binary_search_config_selectorIiiEEZNS1_14transform_implILb0ES3_S5_N6thrust23THRUST_200600_302600_NS6detail15normal_iteratorINS8_10device_ptrIiEEEESD_ZNS1_13binary_searchIS3_S5_SD_SD_SD_NS1_16binary_search_opENS9_16wrapped_functionINS0_4lessIvEEbEEEE10hipError_tPvRmT1_T2_T3_mmT4_T5_P12ihipStream_tbEUlRKiE_EESK_SO_SP_mSQ_ST_bEUlT_E_NS1_11comp_targetILNS1_3genE4ELNS1_11target_archE910ELNS1_3gpuE8ELNS1_3repE0EEENS1_30default_config_static_selectorELNS0_4arch9wavefront6targetE0EEEvSN_: ; @_ZN7rocprim17ROCPRIM_400000_NS6detail17trampoline_kernelINS0_14default_configENS1_29binary_search_config_selectorIiiEEZNS1_14transform_implILb0ES3_S5_N6thrust23THRUST_200600_302600_NS6detail15normal_iteratorINS8_10device_ptrIiEEEESD_ZNS1_13binary_searchIS3_S5_SD_SD_SD_NS1_16binary_search_opENS9_16wrapped_functionINS0_4lessIvEEbEEEE10hipError_tPvRmT1_T2_T3_mmT4_T5_P12ihipStream_tbEUlRKiE_EESK_SO_SP_mSQ_ST_bEUlT_E_NS1_11comp_targetILNS1_3genE4ELNS1_11target_archE910ELNS1_3gpuE8ELNS1_3repE0EEENS1_30default_config_static_selectorELNS0_4arch9wavefront6targetE0EEEvSN_
; %bb.0:
	.section	.rodata,"a",@progbits
	.p2align	6, 0x0
	.amdhsa_kernel _ZN7rocprim17ROCPRIM_400000_NS6detail17trampoline_kernelINS0_14default_configENS1_29binary_search_config_selectorIiiEEZNS1_14transform_implILb0ES3_S5_N6thrust23THRUST_200600_302600_NS6detail15normal_iteratorINS8_10device_ptrIiEEEESD_ZNS1_13binary_searchIS3_S5_SD_SD_SD_NS1_16binary_search_opENS9_16wrapped_functionINS0_4lessIvEEbEEEE10hipError_tPvRmT1_T2_T3_mmT4_T5_P12ihipStream_tbEUlRKiE_EESK_SO_SP_mSQ_ST_bEUlT_E_NS1_11comp_targetILNS1_3genE4ELNS1_11target_archE910ELNS1_3gpuE8ELNS1_3repE0EEENS1_30default_config_static_selectorELNS0_4arch9wavefront6targetE0EEEvSN_
		.amdhsa_group_segment_fixed_size 0
		.amdhsa_private_segment_fixed_size 0
		.amdhsa_kernarg_size 56
		.amdhsa_user_sgpr_count 15
		.amdhsa_user_sgpr_dispatch_ptr 0
		.amdhsa_user_sgpr_queue_ptr 0
		.amdhsa_user_sgpr_kernarg_segment_ptr 1
		.amdhsa_user_sgpr_dispatch_id 0
		.amdhsa_user_sgpr_private_segment_size 0
		.amdhsa_wavefront_size32 1
		.amdhsa_uses_dynamic_stack 0
		.amdhsa_enable_private_segment 0
		.amdhsa_system_sgpr_workgroup_id_x 1
		.amdhsa_system_sgpr_workgroup_id_y 0
		.amdhsa_system_sgpr_workgroup_id_z 0
		.amdhsa_system_sgpr_workgroup_info 0
		.amdhsa_system_vgpr_workitem_id 0
		.amdhsa_next_free_vgpr 1
		.amdhsa_next_free_sgpr 1
		.amdhsa_reserve_vcc 0
		.amdhsa_float_round_mode_32 0
		.amdhsa_float_round_mode_16_64 0
		.amdhsa_float_denorm_mode_32 3
		.amdhsa_float_denorm_mode_16_64 3
		.amdhsa_dx10_clamp 1
		.amdhsa_ieee_mode 1
		.amdhsa_fp16_overflow 0
		.amdhsa_workgroup_processor_mode 1
		.amdhsa_memory_ordered 1
		.amdhsa_forward_progress 0
		.amdhsa_shared_vgpr_count 0
		.amdhsa_exception_fp_ieee_invalid_op 0
		.amdhsa_exception_fp_denorm_src 0
		.amdhsa_exception_fp_ieee_div_zero 0
		.amdhsa_exception_fp_ieee_overflow 0
		.amdhsa_exception_fp_ieee_underflow 0
		.amdhsa_exception_fp_ieee_inexact 0
		.amdhsa_exception_int_div_zero 0
	.end_amdhsa_kernel
	.section	.text._ZN7rocprim17ROCPRIM_400000_NS6detail17trampoline_kernelINS0_14default_configENS1_29binary_search_config_selectorIiiEEZNS1_14transform_implILb0ES3_S5_N6thrust23THRUST_200600_302600_NS6detail15normal_iteratorINS8_10device_ptrIiEEEESD_ZNS1_13binary_searchIS3_S5_SD_SD_SD_NS1_16binary_search_opENS9_16wrapped_functionINS0_4lessIvEEbEEEE10hipError_tPvRmT1_T2_T3_mmT4_T5_P12ihipStream_tbEUlRKiE_EESK_SO_SP_mSQ_ST_bEUlT_E_NS1_11comp_targetILNS1_3genE4ELNS1_11target_archE910ELNS1_3gpuE8ELNS1_3repE0EEENS1_30default_config_static_selectorELNS0_4arch9wavefront6targetE0EEEvSN_,"axG",@progbits,_ZN7rocprim17ROCPRIM_400000_NS6detail17trampoline_kernelINS0_14default_configENS1_29binary_search_config_selectorIiiEEZNS1_14transform_implILb0ES3_S5_N6thrust23THRUST_200600_302600_NS6detail15normal_iteratorINS8_10device_ptrIiEEEESD_ZNS1_13binary_searchIS3_S5_SD_SD_SD_NS1_16binary_search_opENS9_16wrapped_functionINS0_4lessIvEEbEEEE10hipError_tPvRmT1_T2_T3_mmT4_T5_P12ihipStream_tbEUlRKiE_EESK_SO_SP_mSQ_ST_bEUlT_E_NS1_11comp_targetILNS1_3genE4ELNS1_11target_archE910ELNS1_3gpuE8ELNS1_3repE0EEENS1_30default_config_static_selectorELNS0_4arch9wavefront6targetE0EEEvSN_,comdat
.Lfunc_end521:
	.size	_ZN7rocprim17ROCPRIM_400000_NS6detail17trampoline_kernelINS0_14default_configENS1_29binary_search_config_selectorIiiEEZNS1_14transform_implILb0ES3_S5_N6thrust23THRUST_200600_302600_NS6detail15normal_iteratorINS8_10device_ptrIiEEEESD_ZNS1_13binary_searchIS3_S5_SD_SD_SD_NS1_16binary_search_opENS9_16wrapped_functionINS0_4lessIvEEbEEEE10hipError_tPvRmT1_T2_T3_mmT4_T5_P12ihipStream_tbEUlRKiE_EESK_SO_SP_mSQ_ST_bEUlT_E_NS1_11comp_targetILNS1_3genE4ELNS1_11target_archE910ELNS1_3gpuE8ELNS1_3repE0EEENS1_30default_config_static_selectorELNS0_4arch9wavefront6targetE0EEEvSN_, .Lfunc_end521-_ZN7rocprim17ROCPRIM_400000_NS6detail17trampoline_kernelINS0_14default_configENS1_29binary_search_config_selectorIiiEEZNS1_14transform_implILb0ES3_S5_N6thrust23THRUST_200600_302600_NS6detail15normal_iteratorINS8_10device_ptrIiEEEESD_ZNS1_13binary_searchIS3_S5_SD_SD_SD_NS1_16binary_search_opENS9_16wrapped_functionINS0_4lessIvEEbEEEE10hipError_tPvRmT1_T2_T3_mmT4_T5_P12ihipStream_tbEUlRKiE_EESK_SO_SP_mSQ_ST_bEUlT_E_NS1_11comp_targetILNS1_3genE4ELNS1_11target_archE910ELNS1_3gpuE8ELNS1_3repE0EEENS1_30default_config_static_selectorELNS0_4arch9wavefront6targetE0EEEvSN_
                                        ; -- End function
	.section	.AMDGPU.csdata,"",@progbits
; Kernel info:
; codeLenInByte = 0
; NumSgprs: 0
; NumVgprs: 0
; ScratchSize: 0
; MemoryBound: 0
; FloatMode: 240
; IeeeMode: 1
; LDSByteSize: 0 bytes/workgroup (compile time only)
; SGPRBlocks: 0
; VGPRBlocks: 0
; NumSGPRsForWavesPerEU: 1
; NumVGPRsForWavesPerEU: 1
; Occupancy: 16
; WaveLimiterHint : 0
; COMPUTE_PGM_RSRC2:SCRATCH_EN: 0
; COMPUTE_PGM_RSRC2:USER_SGPR: 15
; COMPUTE_PGM_RSRC2:TRAP_HANDLER: 0
; COMPUTE_PGM_RSRC2:TGID_X_EN: 1
; COMPUTE_PGM_RSRC2:TGID_Y_EN: 0
; COMPUTE_PGM_RSRC2:TGID_Z_EN: 0
; COMPUTE_PGM_RSRC2:TIDIG_COMP_CNT: 0
	.section	.text._ZN7rocprim17ROCPRIM_400000_NS6detail17trampoline_kernelINS0_14default_configENS1_29binary_search_config_selectorIiiEEZNS1_14transform_implILb0ES3_S5_N6thrust23THRUST_200600_302600_NS6detail15normal_iteratorINS8_10device_ptrIiEEEESD_ZNS1_13binary_searchIS3_S5_SD_SD_SD_NS1_16binary_search_opENS9_16wrapped_functionINS0_4lessIvEEbEEEE10hipError_tPvRmT1_T2_T3_mmT4_T5_P12ihipStream_tbEUlRKiE_EESK_SO_SP_mSQ_ST_bEUlT_E_NS1_11comp_targetILNS1_3genE3ELNS1_11target_archE908ELNS1_3gpuE7ELNS1_3repE0EEENS1_30default_config_static_selectorELNS0_4arch9wavefront6targetE0EEEvSN_,"axG",@progbits,_ZN7rocprim17ROCPRIM_400000_NS6detail17trampoline_kernelINS0_14default_configENS1_29binary_search_config_selectorIiiEEZNS1_14transform_implILb0ES3_S5_N6thrust23THRUST_200600_302600_NS6detail15normal_iteratorINS8_10device_ptrIiEEEESD_ZNS1_13binary_searchIS3_S5_SD_SD_SD_NS1_16binary_search_opENS9_16wrapped_functionINS0_4lessIvEEbEEEE10hipError_tPvRmT1_T2_T3_mmT4_T5_P12ihipStream_tbEUlRKiE_EESK_SO_SP_mSQ_ST_bEUlT_E_NS1_11comp_targetILNS1_3genE3ELNS1_11target_archE908ELNS1_3gpuE7ELNS1_3repE0EEENS1_30default_config_static_selectorELNS0_4arch9wavefront6targetE0EEEvSN_,comdat
	.protected	_ZN7rocprim17ROCPRIM_400000_NS6detail17trampoline_kernelINS0_14default_configENS1_29binary_search_config_selectorIiiEEZNS1_14transform_implILb0ES3_S5_N6thrust23THRUST_200600_302600_NS6detail15normal_iteratorINS8_10device_ptrIiEEEESD_ZNS1_13binary_searchIS3_S5_SD_SD_SD_NS1_16binary_search_opENS9_16wrapped_functionINS0_4lessIvEEbEEEE10hipError_tPvRmT1_T2_T3_mmT4_T5_P12ihipStream_tbEUlRKiE_EESK_SO_SP_mSQ_ST_bEUlT_E_NS1_11comp_targetILNS1_3genE3ELNS1_11target_archE908ELNS1_3gpuE7ELNS1_3repE0EEENS1_30default_config_static_selectorELNS0_4arch9wavefront6targetE0EEEvSN_ ; -- Begin function _ZN7rocprim17ROCPRIM_400000_NS6detail17trampoline_kernelINS0_14default_configENS1_29binary_search_config_selectorIiiEEZNS1_14transform_implILb0ES3_S5_N6thrust23THRUST_200600_302600_NS6detail15normal_iteratorINS8_10device_ptrIiEEEESD_ZNS1_13binary_searchIS3_S5_SD_SD_SD_NS1_16binary_search_opENS9_16wrapped_functionINS0_4lessIvEEbEEEE10hipError_tPvRmT1_T2_T3_mmT4_T5_P12ihipStream_tbEUlRKiE_EESK_SO_SP_mSQ_ST_bEUlT_E_NS1_11comp_targetILNS1_3genE3ELNS1_11target_archE908ELNS1_3gpuE7ELNS1_3repE0EEENS1_30default_config_static_selectorELNS0_4arch9wavefront6targetE0EEEvSN_
	.globl	_ZN7rocprim17ROCPRIM_400000_NS6detail17trampoline_kernelINS0_14default_configENS1_29binary_search_config_selectorIiiEEZNS1_14transform_implILb0ES3_S5_N6thrust23THRUST_200600_302600_NS6detail15normal_iteratorINS8_10device_ptrIiEEEESD_ZNS1_13binary_searchIS3_S5_SD_SD_SD_NS1_16binary_search_opENS9_16wrapped_functionINS0_4lessIvEEbEEEE10hipError_tPvRmT1_T2_T3_mmT4_T5_P12ihipStream_tbEUlRKiE_EESK_SO_SP_mSQ_ST_bEUlT_E_NS1_11comp_targetILNS1_3genE3ELNS1_11target_archE908ELNS1_3gpuE7ELNS1_3repE0EEENS1_30default_config_static_selectorELNS0_4arch9wavefront6targetE0EEEvSN_
	.p2align	8
	.type	_ZN7rocprim17ROCPRIM_400000_NS6detail17trampoline_kernelINS0_14default_configENS1_29binary_search_config_selectorIiiEEZNS1_14transform_implILb0ES3_S5_N6thrust23THRUST_200600_302600_NS6detail15normal_iteratorINS8_10device_ptrIiEEEESD_ZNS1_13binary_searchIS3_S5_SD_SD_SD_NS1_16binary_search_opENS9_16wrapped_functionINS0_4lessIvEEbEEEE10hipError_tPvRmT1_T2_T3_mmT4_T5_P12ihipStream_tbEUlRKiE_EESK_SO_SP_mSQ_ST_bEUlT_E_NS1_11comp_targetILNS1_3genE3ELNS1_11target_archE908ELNS1_3gpuE7ELNS1_3repE0EEENS1_30default_config_static_selectorELNS0_4arch9wavefront6targetE0EEEvSN_,@function
_ZN7rocprim17ROCPRIM_400000_NS6detail17trampoline_kernelINS0_14default_configENS1_29binary_search_config_selectorIiiEEZNS1_14transform_implILb0ES3_S5_N6thrust23THRUST_200600_302600_NS6detail15normal_iteratorINS8_10device_ptrIiEEEESD_ZNS1_13binary_searchIS3_S5_SD_SD_SD_NS1_16binary_search_opENS9_16wrapped_functionINS0_4lessIvEEbEEEE10hipError_tPvRmT1_T2_T3_mmT4_T5_P12ihipStream_tbEUlRKiE_EESK_SO_SP_mSQ_ST_bEUlT_E_NS1_11comp_targetILNS1_3genE3ELNS1_11target_archE908ELNS1_3gpuE7ELNS1_3repE0EEENS1_30default_config_static_selectorELNS0_4arch9wavefront6targetE0EEEvSN_: ; @_ZN7rocprim17ROCPRIM_400000_NS6detail17trampoline_kernelINS0_14default_configENS1_29binary_search_config_selectorIiiEEZNS1_14transform_implILb0ES3_S5_N6thrust23THRUST_200600_302600_NS6detail15normal_iteratorINS8_10device_ptrIiEEEESD_ZNS1_13binary_searchIS3_S5_SD_SD_SD_NS1_16binary_search_opENS9_16wrapped_functionINS0_4lessIvEEbEEEE10hipError_tPvRmT1_T2_T3_mmT4_T5_P12ihipStream_tbEUlRKiE_EESK_SO_SP_mSQ_ST_bEUlT_E_NS1_11comp_targetILNS1_3genE3ELNS1_11target_archE908ELNS1_3gpuE7ELNS1_3repE0EEENS1_30default_config_static_selectorELNS0_4arch9wavefront6targetE0EEEvSN_
; %bb.0:
	.section	.rodata,"a",@progbits
	.p2align	6, 0x0
	.amdhsa_kernel _ZN7rocprim17ROCPRIM_400000_NS6detail17trampoline_kernelINS0_14default_configENS1_29binary_search_config_selectorIiiEEZNS1_14transform_implILb0ES3_S5_N6thrust23THRUST_200600_302600_NS6detail15normal_iteratorINS8_10device_ptrIiEEEESD_ZNS1_13binary_searchIS3_S5_SD_SD_SD_NS1_16binary_search_opENS9_16wrapped_functionINS0_4lessIvEEbEEEE10hipError_tPvRmT1_T2_T3_mmT4_T5_P12ihipStream_tbEUlRKiE_EESK_SO_SP_mSQ_ST_bEUlT_E_NS1_11comp_targetILNS1_3genE3ELNS1_11target_archE908ELNS1_3gpuE7ELNS1_3repE0EEENS1_30default_config_static_selectorELNS0_4arch9wavefront6targetE0EEEvSN_
		.amdhsa_group_segment_fixed_size 0
		.amdhsa_private_segment_fixed_size 0
		.amdhsa_kernarg_size 56
		.amdhsa_user_sgpr_count 15
		.amdhsa_user_sgpr_dispatch_ptr 0
		.amdhsa_user_sgpr_queue_ptr 0
		.amdhsa_user_sgpr_kernarg_segment_ptr 1
		.amdhsa_user_sgpr_dispatch_id 0
		.amdhsa_user_sgpr_private_segment_size 0
		.amdhsa_wavefront_size32 1
		.amdhsa_uses_dynamic_stack 0
		.amdhsa_enable_private_segment 0
		.amdhsa_system_sgpr_workgroup_id_x 1
		.amdhsa_system_sgpr_workgroup_id_y 0
		.amdhsa_system_sgpr_workgroup_id_z 0
		.amdhsa_system_sgpr_workgroup_info 0
		.amdhsa_system_vgpr_workitem_id 0
		.amdhsa_next_free_vgpr 1
		.amdhsa_next_free_sgpr 1
		.amdhsa_reserve_vcc 0
		.amdhsa_float_round_mode_32 0
		.amdhsa_float_round_mode_16_64 0
		.amdhsa_float_denorm_mode_32 3
		.amdhsa_float_denorm_mode_16_64 3
		.amdhsa_dx10_clamp 1
		.amdhsa_ieee_mode 1
		.amdhsa_fp16_overflow 0
		.amdhsa_workgroup_processor_mode 1
		.amdhsa_memory_ordered 1
		.amdhsa_forward_progress 0
		.amdhsa_shared_vgpr_count 0
		.amdhsa_exception_fp_ieee_invalid_op 0
		.amdhsa_exception_fp_denorm_src 0
		.amdhsa_exception_fp_ieee_div_zero 0
		.amdhsa_exception_fp_ieee_overflow 0
		.amdhsa_exception_fp_ieee_underflow 0
		.amdhsa_exception_fp_ieee_inexact 0
		.amdhsa_exception_int_div_zero 0
	.end_amdhsa_kernel
	.section	.text._ZN7rocprim17ROCPRIM_400000_NS6detail17trampoline_kernelINS0_14default_configENS1_29binary_search_config_selectorIiiEEZNS1_14transform_implILb0ES3_S5_N6thrust23THRUST_200600_302600_NS6detail15normal_iteratorINS8_10device_ptrIiEEEESD_ZNS1_13binary_searchIS3_S5_SD_SD_SD_NS1_16binary_search_opENS9_16wrapped_functionINS0_4lessIvEEbEEEE10hipError_tPvRmT1_T2_T3_mmT4_T5_P12ihipStream_tbEUlRKiE_EESK_SO_SP_mSQ_ST_bEUlT_E_NS1_11comp_targetILNS1_3genE3ELNS1_11target_archE908ELNS1_3gpuE7ELNS1_3repE0EEENS1_30default_config_static_selectorELNS0_4arch9wavefront6targetE0EEEvSN_,"axG",@progbits,_ZN7rocprim17ROCPRIM_400000_NS6detail17trampoline_kernelINS0_14default_configENS1_29binary_search_config_selectorIiiEEZNS1_14transform_implILb0ES3_S5_N6thrust23THRUST_200600_302600_NS6detail15normal_iteratorINS8_10device_ptrIiEEEESD_ZNS1_13binary_searchIS3_S5_SD_SD_SD_NS1_16binary_search_opENS9_16wrapped_functionINS0_4lessIvEEbEEEE10hipError_tPvRmT1_T2_T3_mmT4_T5_P12ihipStream_tbEUlRKiE_EESK_SO_SP_mSQ_ST_bEUlT_E_NS1_11comp_targetILNS1_3genE3ELNS1_11target_archE908ELNS1_3gpuE7ELNS1_3repE0EEENS1_30default_config_static_selectorELNS0_4arch9wavefront6targetE0EEEvSN_,comdat
.Lfunc_end522:
	.size	_ZN7rocprim17ROCPRIM_400000_NS6detail17trampoline_kernelINS0_14default_configENS1_29binary_search_config_selectorIiiEEZNS1_14transform_implILb0ES3_S5_N6thrust23THRUST_200600_302600_NS6detail15normal_iteratorINS8_10device_ptrIiEEEESD_ZNS1_13binary_searchIS3_S5_SD_SD_SD_NS1_16binary_search_opENS9_16wrapped_functionINS0_4lessIvEEbEEEE10hipError_tPvRmT1_T2_T3_mmT4_T5_P12ihipStream_tbEUlRKiE_EESK_SO_SP_mSQ_ST_bEUlT_E_NS1_11comp_targetILNS1_3genE3ELNS1_11target_archE908ELNS1_3gpuE7ELNS1_3repE0EEENS1_30default_config_static_selectorELNS0_4arch9wavefront6targetE0EEEvSN_, .Lfunc_end522-_ZN7rocprim17ROCPRIM_400000_NS6detail17trampoline_kernelINS0_14default_configENS1_29binary_search_config_selectorIiiEEZNS1_14transform_implILb0ES3_S5_N6thrust23THRUST_200600_302600_NS6detail15normal_iteratorINS8_10device_ptrIiEEEESD_ZNS1_13binary_searchIS3_S5_SD_SD_SD_NS1_16binary_search_opENS9_16wrapped_functionINS0_4lessIvEEbEEEE10hipError_tPvRmT1_T2_T3_mmT4_T5_P12ihipStream_tbEUlRKiE_EESK_SO_SP_mSQ_ST_bEUlT_E_NS1_11comp_targetILNS1_3genE3ELNS1_11target_archE908ELNS1_3gpuE7ELNS1_3repE0EEENS1_30default_config_static_selectorELNS0_4arch9wavefront6targetE0EEEvSN_
                                        ; -- End function
	.section	.AMDGPU.csdata,"",@progbits
; Kernel info:
; codeLenInByte = 0
; NumSgprs: 0
; NumVgprs: 0
; ScratchSize: 0
; MemoryBound: 0
; FloatMode: 240
; IeeeMode: 1
; LDSByteSize: 0 bytes/workgroup (compile time only)
; SGPRBlocks: 0
; VGPRBlocks: 0
; NumSGPRsForWavesPerEU: 1
; NumVGPRsForWavesPerEU: 1
; Occupancy: 16
; WaveLimiterHint : 0
; COMPUTE_PGM_RSRC2:SCRATCH_EN: 0
; COMPUTE_PGM_RSRC2:USER_SGPR: 15
; COMPUTE_PGM_RSRC2:TRAP_HANDLER: 0
; COMPUTE_PGM_RSRC2:TGID_X_EN: 1
; COMPUTE_PGM_RSRC2:TGID_Y_EN: 0
; COMPUTE_PGM_RSRC2:TGID_Z_EN: 0
; COMPUTE_PGM_RSRC2:TIDIG_COMP_CNT: 0
	.section	.text._ZN7rocprim17ROCPRIM_400000_NS6detail17trampoline_kernelINS0_14default_configENS1_29binary_search_config_selectorIiiEEZNS1_14transform_implILb0ES3_S5_N6thrust23THRUST_200600_302600_NS6detail15normal_iteratorINS8_10device_ptrIiEEEESD_ZNS1_13binary_searchIS3_S5_SD_SD_SD_NS1_16binary_search_opENS9_16wrapped_functionINS0_4lessIvEEbEEEE10hipError_tPvRmT1_T2_T3_mmT4_T5_P12ihipStream_tbEUlRKiE_EESK_SO_SP_mSQ_ST_bEUlT_E_NS1_11comp_targetILNS1_3genE2ELNS1_11target_archE906ELNS1_3gpuE6ELNS1_3repE0EEENS1_30default_config_static_selectorELNS0_4arch9wavefront6targetE0EEEvSN_,"axG",@progbits,_ZN7rocprim17ROCPRIM_400000_NS6detail17trampoline_kernelINS0_14default_configENS1_29binary_search_config_selectorIiiEEZNS1_14transform_implILb0ES3_S5_N6thrust23THRUST_200600_302600_NS6detail15normal_iteratorINS8_10device_ptrIiEEEESD_ZNS1_13binary_searchIS3_S5_SD_SD_SD_NS1_16binary_search_opENS9_16wrapped_functionINS0_4lessIvEEbEEEE10hipError_tPvRmT1_T2_T3_mmT4_T5_P12ihipStream_tbEUlRKiE_EESK_SO_SP_mSQ_ST_bEUlT_E_NS1_11comp_targetILNS1_3genE2ELNS1_11target_archE906ELNS1_3gpuE6ELNS1_3repE0EEENS1_30default_config_static_selectorELNS0_4arch9wavefront6targetE0EEEvSN_,comdat
	.protected	_ZN7rocprim17ROCPRIM_400000_NS6detail17trampoline_kernelINS0_14default_configENS1_29binary_search_config_selectorIiiEEZNS1_14transform_implILb0ES3_S5_N6thrust23THRUST_200600_302600_NS6detail15normal_iteratorINS8_10device_ptrIiEEEESD_ZNS1_13binary_searchIS3_S5_SD_SD_SD_NS1_16binary_search_opENS9_16wrapped_functionINS0_4lessIvEEbEEEE10hipError_tPvRmT1_T2_T3_mmT4_T5_P12ihipStream_tbEUlRKiE_EESK_SO_SP_mSQ_ST_bEUlT_E_NS1_11comp_targetILNS1_3genE2ELNS1_11target_archE906ELNS1_3gpuE6ELNS1_3repE0EEENS1_30default_config_static_selectorELNS0_4arch9wavefront6targetE0EEEvSN_ ; -- Begin function _ZN7rocprim17ROCPRIM_400000_NS6detail17trampoline_kernelINS0_14default_configENS1_29binary_search_config_selectorIiiEEZNS1_14transform_implILb0ES3_S5_N6thrust23THRUST_200600_302600_NS6detail15normal_iteratorINS8_10device_ptrIiEEEESD_ZNS1_13binary_searchIS3_S5_SD_SD_SD_NS1_16binary_search_opENS9_16wrapped_functionINS0_4lessIvEEbEEEE10hipError_tPvRmT1_T2_T3_mmT4_T5_P12ihipStream_tbEUlRKiE_EESK_SO_SP_mSQ_ST_bEUlT_E_NS1_11comp_targetILNS1_3genE2ELNS1_11target_archE906ELNS1_3gpuE6ELNS1_3repE0EEENS1_30default_config_static_selectorELNS0_4arch9wavefront6targetE0EEEvSN_
	.globl	_ZN7rocprim17ROCPRIM_400000_NS6detail17trampoline_kernelINS0_14default_configENS1_29binary_search_config_selectorIiiEEZNS1_14transform_implILb0ES3_S5_N6thrust23THRUST_200600_302600_NS6detail15normal_iteratorINS8_10device_ptrIiEEEESD_ZNS1_13binary_searchIS3_S5_SD_SD_SD_NS1_16binary_search_opENS9_16wrapped_functionINS0_4lessIvEEbEEEE10hipError_tPvRmT1_T2_T3_mmT4_T5_P12ihipStream_tbEUlRKiE_EESK_SO_SP_mSQ_ST_bEUlT_E_NS1_11comp_targetILNS1_3genE2ELNS1_11target_archE906ELNS1_3gpuE6ELNS1_3repE0EEENS1_30default_config_static_selectorELNS0_4arch9wavefront6targetE0EEEvSN_
	.p2align	8
	.type	_ZN7rocprim17ROCPRIM_400000_NS6detail17trampoline_kernelINS0_14default_configENS1_29binary_search_config_selectorIiiEEZNS1_14transform_implILb0ES3_S5_N6thrust23THRUST_200600_302600_NS6detail15normal_iteratorINS8_10device_ptrIiEEEESD_ZNS1_13binary_searchIS3_S5_SD_SD_SD_NS1_16binary_search_opENS9_16wrapped_functionINS0_4lessIvEEbEEEE10hipError_tPvRmT1_T2_T3_mmT4_T5_P12ihipStream_tbEUlRKiE_EESK_SO_SP_mSQ_ST_bEUlT_E_NS1_11comp_targetILNS1_3genE2ELNS1_11target_archE906ELNS1_3gpuE6ELNS1_3repE0EEENS1_30default_config_static_selectorELNS0_4arch9wavefront6targetE0EEEvSN_,@function
_ZN7rocprim17ROCPRIM_400000_NS6detail17trampoline_kernelINS0_14default_configENS1_29binary_search_config_selectorIiiEEZNS1_14transform_implILb0ES3_S5_N6thrust23THRUST_200600_302600_NS6detail15normal_iteratorINS8_10device_ptrIiEEEESD_ZNS1_13binary_searchIS3_S5_SD_SD_SD_NS1_16binary_search_opENS9_16wrapped_functionINS0_4lessIvEEbEEEE10hipError_tPvRmT1_T2_T3_mmT4_T5_P12ihipStream_tbEUlRKiE_EESK_SO_SP_mSQ_ST_bEUlT_E_NS1_11comp_targetILNS1_3genE2ELNS1_11target_archE906ELNS1_3gpuE6ELNS1_3repE0EEENS1_30default_config_static_selectorELNS0_4arch9wavefront6targetE0EEEvSN_: ; @_ZN7rocprim17ROCPRIM_400000_NS6detail17trampoline_kernelINS0_14default_configENS1_29binary_search_config_selectorIiiEEZNS1_14transform_implILb0ES3_S5_N6thrust23THRUST_200600_302600_NS6detail15normal_iteratorINS8_10device_ptrIiEEEESD_ZNS1_13binary_searchIS3_S5_SD_SD_SD_NS1_16binary_search_opENS9_16wrapped_functionINS0_4lessIvEEbEEEE10hipError_tPvRmT1_T2_T3_mmT4_T5_P12ihipStream_tbEUlRKiE_EESK_SO_SP_mSQ_ST_bEUlT_E_NS1_11comp_targetILNS1_3genE2ELNS1_11target_archE906ELNS1_3gpuE6ELNS1_3repE0EEENS1_30default_config_static_selectorELNS0_4arch9wavefront6targetE0EEEvSN_
; %bb.0:
	.section	.rodata,"a",@progbits
	.p2align	6, 0x0
	.amdhsa_kernel _ZN7rocprim17ROCPRIM_400000_NS6detail17trampoline_kernelINS0_14default_configENS1_29binary_search_config_selectorIiiEEZNS1_14transform_implILb0ES3_S5_N6thrust23THRUST_200600_302600_NS6detail15normal_iteratorINS8_10device_ptrIiEEEESD_ZNS1_13binary_searchIS3_S5_SD_SD_SD_NS1_16binary_search_opENS9_16wrapped_functionINS0_4lessIvEEbEEEE10hipError_tPvRmT1_T2_T3_mmT4_T5_P12ihipStream_tbEUlRKiE_EESK_SO_SP_mSQ_ST_bEUlT_E_NS1_11comp_targetILNS1_3genE2ELNS1_11target_archE906ELNS1_3gpuE6ELNS1_3repE0EEENS1_30default_config_static_selectorELNS0_4arch9wavefront6targetE0EEEvSN_
		.amdhsa_group_segment_fixed_size 0
		.amdhsa_private_segment_fixed_size 0
		.amdhsa_kernarg_size 56
		.amdhsa_user_sgpr_count 15
		.amdhsa_user_sgpr_dispatch_ptr 0
		.amdhsa_user_sgpr_queue_ptr 0
		.amdhsa_user_sgpr_kernarg_segment_ptr 1
		.amdhsa_user_sgpr_dispatch_id 0
		.amdhsa_user_sgpr_private_segment_size 0
		.amdhsa_wavefront_size32 1
		.amdhsa_uses_dynamic_stack 0
		.amdhsa_enable_private_segment 0
		.amdhsa_system_sgpr_workgroup_id_x 1
		.amdhsa_system_sgpr_workgroup_id_y 0
		.amdhsa_system_sgpr_workgroup_id_z 0
		.amdhsa_system_sgpr_workgroup_info 0
		.amdhsa_system_vgpr_workitem_id 0
		.amdhsa_next_free_vgpr 1
		.amdhsa_next_free_sgpr 1
		.amdhsa_reserve_vcc 0
		.amdhsa_float_round_mode_32 0
		.amdhsa_float_round_mode_16_64 0
		.amdhsa_float_denorm_mode_32 3
		.amdhsa_float_denorm_mode_16_64 3
		.amdhsa_dx10_clamp 1
		.amdhsa_ieee_mode 1
		.amdhsa_fp16_overflow 0
		.amdhsa_workgroup_processor_mode 1
		.amdhsa_memory_ordered 1
		.amdhsa_forward_progress 0
		.amdhsa_shared_vgpr_count 0
		.amdhsa_exception_fp_ieee_invalid_op 0
		.amdhsa_exception_fp_denorm_src 0
		.amdhsa_exception_fp_ieee_div_zero 0
		.amdhsa_exception_fp_ieee_overflow 0
		.amdhsa_exception_fp_ieee_underflow 0
		.amdhsa_exception_fp_ieee_inexact 0
		.amdhsa_exception_int_div_zero 0
	.end_amdhsa_kernel
	.section	.text._ZN7rocprim17ROCPRIM_400000_NS6detail17trampoline_kernelINS0_14default_configENS1_29binary_search_config_selectorIiiEEZNS1_14transform_implILb0ES3_S5_N6thrust23THRUST_200600_302600_NS6detail15normal_iteratorINS8_10device_ptrIiEEEESD_ZNS1_13binary_searchIS3_S5_SD_SD_SD_NS1_16binary_search_opENS9_16wrapped_functionINS0_4lessIvEEbEEEE10hipError_tPvRmT1_T2_T3_mmT4_T5_P12ihipStream_tbEUlRKiE_EESK_SO_SP_mSQ_ST_bEUlT_E_NS1_11comp_targetILNS1_3genE2ELNS1_11target_archE906ELNS1_3gpuE6ELNS1_3repE0EEENS1_30default_config_static_selectorELNS0_4arch9wavefront6targetE0EEEvSN_,"axG",@progbits,_ZN7rocprim17ROCPRIM_400000_NS6detail17trampoline_kernelINS0_14default_configENS1_29binary_search_config_selectorIiiEEZNS1_14transform_implILb0ES3_S5_N6thrust23THRUST_200600_302600_NS6detail15normal_iteratorINS8_10device_ptrIiEEEESD_ZNS1_13binary_searchIS3_S5_SD_SD_SD_NS1_16binary_search_opENS9_16wrapped_functionINS0_4lessIvEEbEEEE10hipError_tPvRmT1_T2_T3_mmT4_T5_P12ihipStream_tbEUlRKiE_EESK_SO_SP_mSQ_ST_bEUlT_E_NS1_11comp_targetILNS1_3genE2ELNS1_11target_archE906ELNS1_3gpuE6ELNS1_3repE0EEENS1_30default_config_static_selectorELNS0_4arch9wavefront6targetE0EEEvSN_,comdat
.Lfunc_end523:
	.size	_ZN7rocprim17ROCPRIM_400000_NS6detail17trampoline_kernelINS0_14default_configENS1_29binary_search_config_selectorIiiEEZNS1_14transform_implILb0ES3_S5_N6thrust23THRUST_200600_302600_NS6detail15normal_iteratorINS8_10device_ptrIiEEEESD_ZNS1_13binary_searchIS3_S5_SD_SD_SD_NS1_16binary_search_opENS9_16wrapped_functionINS0_4lessIvEEbEEEE10hipError_tPvRmT1_T2_T3_mmT4_T5_P12ihipStream_tbEUlRKiE_EESK_SO_SP_mSQ_ST_bEUlT_E_NS1_11comp_targetILNS1_3genE2ELNS1_11target_archE906ELNS1_3gpuE6ELNS1_3repE0EEENS1_30default_config_static_selectorELNS0_4arch9wavefront6targetE0EEEvSN_, .Lfunc_end523-_ZN7rocprim17ROCPRIM_400000_NS6detail17trampoline_kernelINS0_14default_configENS1_29binary_search_config_selectorIiiEEZNS1_14transform_implILb0ES3_S5_N6thrust23THRUST_200600_302600_NS6detail15normal_iteratorINS8_10device_ptrIiEEEESD_ZNS1_13binary_searchIS3_S5_SD_SD_SD_NS1_16binary_search_opENS9_16wrapped_functionINS0_4lessIvEEbEEEE10hipError_tPvRmT1_T2_T3_mmT4_T5_P12ihipStream_tbEUlRKiE_EESK_SO_SP_mSQ_ST_bEUlT_E_NS1_11comp_targetILNS1_3genE2ELNS1_11target_archE906ELNS1_3gpuE6ELNS1_3repE0EEENS1_30default_config_static_selectorELNS0_4arch9wavefront6targetE0EEEvSN_
                                        ; -- End function
	.section	.AMDGPU.csdata,"",@progbits
; Kernel info:
; codeLenInByte = 0
; NumSgprs: 0
; NumVgprs: 0
; ScratchSize: 0
; MemoryBound: 0
; FloatMode: 240
; IeeeMode: 1
; LDSByteSize: 0 bytes/workgroup (compile time only)
; SGPRBlocks: 0
; VGPRBlocks: 0
; NumSGPRsForWavesPerEU: 1
; NumVGPRsForWavesPerEU: 1
; Occupancy: 16
; WaveLimiterHint : 0
; COMPUTE_PGM_RSRC2:SCRATCH_EN: 0
; COMPUTE_PGM_RSRC2:USER_SGPR: 15
; COMPUTE_PGM_RSRC2:TRAP_HANDLER: 0
; COMPUTE_PGM_RSRC2:TGID_X_EN: 1
; COMPUTE_PGM_RSRC2:TGID_Y_EN: 0
; COMPUTE_PGM_RSRC2:TGID_Z_EN: 0
; COMPUTE_PGM_RSRC2:TIDIG_COMP_CNT: 0
	.section	.text._ZN7rocprim17ROCPRIM_400000_NS6detail17trampoline_kernelINS0_14default_configENS1_29binary_search_config_selectorIiiEEZNS1_14transform_implILb0ES3_S5_N6thrust23THRUST_200600_302600_NS6detail15normal_iteratorINS8_10device_ptrIiEEEESD_ZNS1_13binary_searchIS3_S5_SD_SD_SD_NS1_16binary_search_opENS9_16wrapped_functionINS0_4lessIvEEbEEEE10hipError_tPvRmT1_T2_T3_mmT4_T5_P12ihipStream_tbEUlRKiE_EESK_SO_SP_mSQ_ST_bEUlT_E_NS1_11comp_targetILNS1_3genE10ELNS1_11target_archE1201ELNS1_3gpuE5ELNS1_3repE0EEENS1_30default_config_static_selectorELNS0_4arch9wavefront6targetE0EEEvSN_,"axG",@progbits,_ZN7rocprim17ROCPRIM_400000_NS6detail17trampoline_kernelINS0_14default_configENS1_29binary_search_config_selectorIiiEEZNS1_14transform_implILb0ES3_S5_N6thrust23THRUST_200600_302600_NS6detail15normal_iteratorINS8_10device_ptrIiEEEESD_ZNS1_13binary_searchIS3_S5_SD_SD_SD_NS1_16binary_search_opENS9_16wrapped_functionINS0_4lessIvEEbEEEE10hipError_tPvRmT1_T2_T3_mmT4_T5_P12ihipStream_tbEUlRKiE_EESK_SO_SP_mSQ_ST_bEUlT_E_NS1_11comp_targetILNS1_3genE10ELNS1_11target_archE1201ELNS1_3gpuE5ELNS1_3repE0EEENS1_30default_config_static_selectorELNS0_4arch9wavefront6targetE0EEEvSN_,comdat
	.protected	_ZN7rocprim17ROCPRIM_400000_NS6detail17trampoline_kernelINS0_14default_configENS1_29binary_search_config_selectorIiiEEZNS1_14transform_implILb0ES3_S5_N6thrust23THRUST_200600_302600_NS6detail15normal_iteratorINS8_10device_ptrIiEEEESD_ZNS1_13binary_searchIS3_S5_SD_SD_SD_NS1_16binary_search_opENS9_16wrapped_functionINS0_4lessIvEEbEEEE10hipError_tPvRmT1_T2_T3_mmT4_T5_P12ihipStream_tbEUlRKiE_EESK_SO_SP_mSQ_ST_bEUlT_E_NS1_11comp_targetILNS1_3genE10ELNS1_11target_archE1201ELNS1_3gpuE5ELNS1_3repE0EEENS1_30default_config_static_selectorELNS0_4arch9wavefront6targetE0EEEvSN_ ; -- Begin function _ZN7rocprim17ROCPRIM_400000_NS6detail17trampoline_kernelINS0_14default_configENS1_29binary_search_config_selectorIiiEEZNS1_14transform_implILb0ES3_S5_N6thrust23THRUST_200600_302600_NS6detail15normal_iteratorINS8_10device_ptrIiEEEESD_ZNS1_13binary_searchIS3_S5_SD_SD_SD_NS1_16binary_search_opENS9_16wrapped_functionINS0_4lessIvEEbEEEE10hipError_tPvRmT1_T2_T3_mmT4_T5_P12ihipStream_tbEUlRKiE_EESK_SO_SP_mSQ_ST_bEUlT_E_NS1_11comp_targetILNS1_3genE10ELNS1_11target_archE1201ELNS1_3gpuE5ELNS1_3repE0EEENS1_30default_config_static_selectorELNS0_4arch9wavefront6targetE0EEEvSN_
	.globl	_ZN7rocprim17ROCPRIM_400000_NS6detail17trampoline_kernelINS0_14default_configENS1_29binary_search_config_selectorIiiEEZNS1_14transform_implILb0ES3_S5_N6thrust23THRUST_200600_302600_NS6detail15normal_iteratorINS8_10device_ptrIiEEEESD_ZNS1_13binary_searchIS3_S5_SD_SD_SD_NS1_16binary_search_opENS9_16wrapped_functionINS0_4lessIvEEbEEEE10hipError_tPvRmT1_T2_T3_mmT4_T5_P12ihipStream_tbEUlRKiE_EESK_SO_SP_mSQ_ST_bEUlT_E_NS1_11comp_targetILNS1_3genE10ELNS1_11target_archE1201ELNS1_3gpuE5ELNS1_3repE0EEENS1_30default_config_static_selectorELNS0_4arch9wavefront6targetE0EEEvSN_
	.p2align	8
	.type	_ZN7rocprim17ROCPRIM_400000_NS6detail17trampoline_kernelINS0_14default_configENS1_29binary_search_config_selectorIiiEEZNS1_14transform_implILb0ES3_S5_N6thrust23THRUST_200600_302600_NS6detail15normal_iteratorINS8_10device_ptrIiEEEESD_ZNS1_13binary_searchIS3_S5_SD_SD_SD_NS1_16binary_search_opENS9_16wrapped_functionINS0_4lessIvEEbEEEE10hipError_tPvRmT1_T2_T3_mmT4_T5_P12ihipStream_tbEUlRKiE_EESK_SO_SP_mSQ_ST_bEUlT_E_NS1_11comp_targetILNS1_3genE10ELNS1_11target_archE1201ELNS1_3gpuE5ELNS1_3repE0EEENS1_30default_config_static_selectorELNS0_4arch9wavefront6targetE0EEEvSN_,@function
_ZN7rocprim17ROCPRIM_400000_NS6detail17trampoline_kernelINS0_14default_configENS1_29binary_search_config_selectorIiiEEZNS1_14transform_implILb0ES3_S5_N6thrust23THRUST_200600_302600_NS6detail15normal_iteratorINS8_10device_ptrIiEEEESD_ZNS1_13binary_searchIS3_S5_SD_SD_SD_NS1_16binary_search_opENS9_16wrapped_functionINS0_4lessIvEEbEEEE10hipError_tPvRmT1_T2_T3_mmT4_T5_P12ihipStream_tbEUlRKiE_EESK_SO_SP_mSQ_ST_bEUlT_E_NS1_11comp_targetILNS1_3genE10ELNS1_11target_archE1201ELNS1_3gpuE5ELNS1_3repE0EEENS1_30default_config_static_selectorELNS0_4arch9wavefront6targetE0EEEvSN_: ; @_ZN7rocprim17ROCPRIM_400000_NS6detail17trampoline_kernelINS0_14default_configENS1_29binary_search_config_selectorIiiEEZNS1_14transform_implILb0ES3_S5_N6thrust23THRUST_200600_302600_NS6detail15normal_iteratorINS8_10device_ptrIiEEEESD_ZNS1_13binary_searchIS3_S5_SD_SD_SD_NS1_16binary_search_opENS9_16wrapped_functionINS0_4lessIvEEbEEEE10hipError_tPvRmT1_T2_T3_mmT4_T5_P12ihipStream_tbEUlRKiE_EESK_SO_SP_mSQ_ST_bEUlT_E_NS1_11comp_targetILNS1_3genE10ELNS1_11target_archE1201ELNS1_3gpuE5ELNS1_3repE0EEENS1_30default_config_static_selectorELNS0_4arch9wavefront6targetE0EEEvSN_
; %bb.0:
	.section	.rodata,"a",@progbits
	.p2align	6, 0x0
	.amdhsa_kernel _ZN7rocprim17ROCPRIM_400000_NS6detail17trampoline_kernelINS0_14default_configENS1_29binary_search_config_selectorIiiEEZNS1_14transform_implILb0ES3_S5_N6thrust23THRUST_200600_302600_NS6detail15normal_iteratorINS8_10device_ptrIiEEEESD_ZNS1_13binary_searchIS3_S5_SD_SD_SD_NS1_16binary_search_opENS9_16wrapped_functionINS0_4lessIvEEbEEEE10hipError_tPvRmT1_T2_T3_mmT4_T5_P12ihipStream_tbEUlRKiE_EESK_SO_SP_mSQ_ST_bEUlT_E_NS1_11comp_targetILNS1_3genE10ELNS1_11target_archE1201ELNS1_3gpuE5ELNS1_3repE0EEENS1_30default_config_static_selectorELNS0_4arch9wavefront6targetE0EEEvSN_
		.amdhsa_group_segment_fixed_size 0
		.amdhsa_private_segment_fixed_size 0
		.amdhsa_kernarg_size 56
		.amdhsa_user_sgpr_count 15
		.amdhsa_user_sgpr_dispatch_ptr 0
		.amdhsa_user_sgpr_queue_ptr 0
		.amdhsa_user_sgpr_kernarg_segment_ptr 1
		.amdhsa_user_sgpr_dispatch_id 0
		.amdhsa_user_sgpr_private_segment_size 0
		.amdhsa_wavefront_size32 1
		.amdhsa_uses_dynamic_stack 0
		.amdhsa_enable_private_segment 0
		.amdhsa_system_sgpr_workgroup_id_x 1
		.amdhsa_system_sgpr_workgroup_id_y 0
		.amdhsa_system_sgpr_workgroup_id_z 0
		.amdhsa_system_sgpr_workgroup_info 0
		.amdhsa_system_vgpr_workitem_id 0
		.amdhsa_next_free_vgpr 1
		.amdhsa_next_free_sgpr 1
		.amdhsa_reserve_vcc 0
		.amdhsa_float_round_mode_32 0
		.amdhsa_float_round_mode_16_64 0
		.amdhsa_float_denorm_mode_32 3
		.amdhsa_float_denorm_mode_16_64 3
		.amdhsa_dx10_clamp 1
		.amdhsa_ieee_mode 1
		.amdhsa_fp16_overflow 0
		.amdhsa_workgroup_processor_mode 1
		.amdhsa_memory_ordered 1
		.amdhsa_forward_progress 0
		.amdhsa_shared_vgpr_count 0
		.amdhsa_exception_fp_ieee_invalid_op 0
		.amdhsa_exception_fp_denorm_src 0
		.amdhsa_exception_fp_ieee_div_zero 0
		.amdhsa_exception_fp_ieee_overflow 0
		.amdhsa_exception_fp_ieee_underflow 0
		.amdhsa_exception_fp_ieee_inexact 0
		.amdhsa_exception_int_div_zero 0
	.end_amdhsa_kernel
	.section	.text._ZN7rocprim17ROCPRIM_400000_NS6detail17trampoline_kernelINS0_14default_configENS1_29binary_search_config_selectorIiiEEZNS1_14transform_implILb0ES3_S5_N6thrust23THRUST_200600_302600_NS6detail15normal_iteratorINS8_10device_ptrIiEEEESD_ZNS1_13binary_searchIS3_S5_SD_SD_SD_NS1_16binary_search_opENS9_16wrapped_functionINS0_4lessIvEEbEEEE10hipError_tPvRmT1_T2_T3_mmT4_T5_P12ihipStream_tbEUlRKiE_EESK_SO_SP_mSQ_ST_bEUlT_E_NS1_11comp_targetILNS1_3genE10ELNS1_11target_archE1201ELNS1_3gpuE5ELNS1_3repE0EEENS1_30default_config_static_selectorELNS0_4arch9wavefront6targetE0EEEvSN_,"axG",@progbits,_ZN7rocprim17ROCPRIM_400000_NS6detail17trampoline_kernelINS0_14default_configENS1_29binary_search_config_selectorIiiEEZNS1_14transform_implILb0ES3_S5_N6thrust23THRUST_200600_302600_NS6detail15normal_iteratorINS8_10device_ptrIiEEEESD_ZNS1_13binary_searchIS3_S5_SD_SD_SD_NS1_16binary_search_opENS9_16wrapped_functionINS0_4lessIvEEbEEEE10hipError_tPvRmT1_T2_T3_mmT4_T5_P12ihipStream_tbEUlRKiE_EESK_SO_SP_mSQ_ST_bEUlT_E_NS1_11comp_targetILNS1_3genE10ELNS1_11target_archE1201ELNS1_3gpuE5ELNS1_3repE0EEENS1_30default_config_static_selectorELNS0_4arch9wavefront6targetE0EEEvSN_,comdat
.Lfunc_end524:
	.size	_ZN7rocprim17ROCPRIM_400000_NS6detail17trampoline_kernelINS0_14default_configENS1_29binary_search_config_selectorIiiEEZNS1_14transform_implILb0ES3_S5_N6thrust23THRUST_200600_302600_NS6detail15normal_iteratorINS8_10device_ptrIiEEEESD_ZNS1_13binary_searchIS3_S5_SD_SD_SD_NS1_16binary_search_opENS9_16wrapped_functionINS0_4lessIvEEbEEEE10hipError_tPvRmT1_T2_T3_mmT4_T5_P12ihipStream_tbEUlRKiE_EESK_SO_SP_mSQ_ST_bEUlT_E_NS1_11comp_targetILNS1_3genE10ELNS1_11target_archE1201ELNS1_3gpuE5ELNS1_3repE0EEENS1_30default_config_static_selectorELNS0_4arch9wavefront6targetE0EEEvSN_, .Lfunc_end524-_ZN7rocprim17ROCPRIM_400000_NS6detail17trampoline_kernelINS0_14default_configENS1_29binary_search_config_selectorIiiEEZNS1_14transform_implILb0ES3_S5_N6thrust23THRUST_200600_302600_NS6detail15normal_iteratorINS8_10device_ptrIiEEEESD_ZNS1_13binary_searchIS3_S5_SD_SD_SD_NS1_16binary_search_opENS9_16wrapped_functionINS0_4lessIvEEbEEEE10hipError_tPvRmT1_T2_T3_mmT4_T5_P12ihipStream_tbEUlRKiE_EESK_SO_SP_mSQ_ST_bEUlT_E_NS1_11comp_targetILNS1_3genE10ELNS1_11target_archE1201ELNS1_3gpuE5ELNS1_3repE0EEENS1_30default_config_static_selectorELNS0_4arch9wavefront6targetE0EEEvSN_
                                        ; -- End function
	.section	.AMDGPU.csdata,"",@progbits
; Kernel info:
; codeLenInByte = 0
; NumSgprs: 0
; NumVgprs: 0
; ScratchSize: 0
; MemoryBound: 0
; FloatMode: 240
; IeeeMode: 1
; LDSByteSize: 0 bytes/workgroup (compile time only)
; SGPRBlocks: 0
; VGPRBlocks: 0
; NumSGPRsForWavesPerEU: 1
; NumVGPRsForWavesPerEU: 1
; Occupancy: 16
; WaveLimiterHint : 0
; COMPUTE_PGM_RSRC2:SCRATCH_EN: 0
; COMPUTE_PGM_RSRC2:USER_SGPR: 15
; COMPUTE_PGM_RSRC2:TRAP_HANDLER: 0
; COMPUTE_PGM_RSRC2:TGID_X_EN: 1
; COMPUTE_PGM_RSRC2:TGID_Y_EN: 0
; COMPUTE_PGM_RSRC2:TGID_Z_EN: 0
; COMPUTE_PGM_RSRC2:TIDIG_COMP_CNT: 0
	.section	.text._ZN7rocprim17ROCPRIM_400000_NS6detail17trampoline_kernelINS0_14default_configENS1_29binary_search_config_selectorIiiEEZNS1_14transform_implILb0ES3_S5_N6thrust23THRUST_200600_302600_NS6detail15normal_iteratorINS8_10device_ptrIiEEEESD_ZNS1_13binary_searchIS3_S5_SD_SD_SD_NS1_16binary_search_opENS9_16wrapped_functionINS0_4lessIvEEbEEEE10hipError_tPvRmT1_T2_T3_mmT4_T5_P12ihipStream_tbEUlRKiE_EESK_SO_SP_mSQ_ST_bEUlT_E_NS1_11comp_targetILNS1_3genE10ELNS1_11target_archE1200ELNS1_3gpuE4ELNS1_3repE0EEENS1_30default_config_static_selectorELNS0_4arch9wavefront6targetE0EEEvSN_,"axG",@progbits,_ZN7rocprim17ROCPRIM_400000_NS6detail17trampoline_kernelINS0_14default_configENS1_29binary_search_config_selectorIiiEEZNS1_14transform_implILb0ES3_S5_N6thrust23THRUST_200600_302600_NS6detail15normal_iteratorINS8_10device_ptrIiEEEESD_ZNS1_13binary_searchIS3_S5_SD_SD_SD_NS1_16binary_search_opENS9_16wrapped_functionINS0_4lessIvEEbEEEE10hipError_tPvRmT1_T2_T3_mmT4_T5_P12ihipStream_tbEUlRKiE_EESK_SO_SP_mSQ_ST_bEUlT_E_NS1_11comp_targetILNS1_3genE10ELNS1_11target_archE1200ELNS1_3gpuE4ELNS1_3repE0EEENS1_30default_config_static_selectorELNS0_4arch9wavefront6targetE0EEEvSN_,comdat
	.protected	_ZN7rocprim17ROCPRIM_400000_NS6detail17trampoline_kernelINS0_14default_configENS1_29binary_search_config_selectorIiiEEZNS1_14transform_implILb0ES3_S5_N6thrust23THRUST_200600_302600_NS6detail15normal_iteratorINS8_10device_ptrIiEEEESD_ZNS1_13binary_searchIS3_S5_SD_SD_SD_NS1_16binary_search_opENS9_16wrapped_functionINS0_4lessIvEEbEEEE10hipError_tPvRmT1_T2_T3_mmT4_T5_P12ihipStream_tbEUlRKiE_EESK_SO_SP_mSQ_ST_bEUlT_E_NS1_11comp_targetILNS1_3genE10ELNS1_11target_archE1200ELNS1_3gpuE4ELNS1_3repE0EEENS1_30default_config_static_selectorELNS0_4arch9wavefront6targetE0EEEvSN_ ; -- Begin function _ZN7rocprim17ROCPRIM_400000_NS6detail17trampoline_kernelINS0_14default_configENS1_29binary_search_config_selectorIiiEEZNS1_14transform_implILb0ES3_S5_N6thrust23THRUST_200600_302600_NS6detail15normal_iteratorINS8_10device_ptrIiEEEESD_ZNS1_13binary_searchIS3_S5_SD_SD_SD_NS1_16binary_search_opENS9_16wrapped_functionINS0_4lessIvEEbEEEE10hipError_tPvRmT1_T2_T3_mmT4_T5_P12ihipStream_tbEUlRKiE_EESK_SO_SP_mSQ_ST_bEUlT_E_NS1_11comp_targetILNS1_3genE10ELNS1_11target_archE1200ELNS1_3gpuE4ELNS1_3repE0EEENS1_30default_config_static_selectorELNS0_4arch9wavefront6targetE0EEEvSN_
	.globl	_ZN7rocprim17ROCPRIM_400000_NS6detail17trampoline_kernelINS0_14default_configENS1_29binary_search_config_selectorIiiEEZNS1_14transform_implILb0ES3_S5_N6thrust23THRUST_200600_302600_NS6detail15normal_iteratorINS8_10device_ptrIiEEEESD_ZNS1_13binary_searchIS3_S5_SD_SD_SD_NS1_16binary_search_opENS9_16wrapped_functionINS0_4lessIvEEbEEEE10hipError_tPvRmT1_T2_T3_mmT4_T5_P12ihipStream_tbEUlRKiE_EESK_SO_SP_mSQ_ST_bEUlT_E_NS1_11comp_targetILNS1_3genE10ELNS1_11target_archE1200ELNS1_3gpuE4ELNS1_3repE0EEENS1_30default_config_static_selectorELNS0_4arch9wavefront6targetE0EEEvSN_
	.p2align	8
	.type	_ZN7rocprim17ROCPRIM_400000_NS6detail17trampoline_kernelINS0_14default_configENS1_29binary_search_config_selectorIiiEEZNS1_14transform_implILb0ES3_S5_N6thrust23THRUST_200600_302600_NS6detail15normal_iteratorINS8_10device_ptrIiEEEESD_ZNS1_13binary_searchIS3_S5_SD_SD_SD_NS1_16binary_search_opENS9_16wrapped_functionINS0_4lessIvEEbEEEE10hipError_tPvRmT1_T2_T3_mmT4_T5_P12ihipStream_tbEUlRKiE_EESK_SO_SP_mSQ_ST_bEUlT_E_NS1_11comp_targetILNS1_3genE10ELNS1_11target_archE1200ELNS1_3gpuE4ELNS1_3repE0EEENS1_30default_config_static_selectorELNS0_4arch9wavefront6targetE0EEEvSN_,@function
_ZN7rocprim17ROCPRIM_400000_NS6detail17trampoline_kernelINS0_14default_configENS1_29binary_search_config_selectorIiiEEZNS1_14transform_implILb0ES3_S5_N6thrust23THRUST_200600_302600_NS6detail15normal_iteratorINS8_10device_ptrIiEEEESD_ZNS1_13binary_searchIS3_S5_SD_SD_SD_NS1_16binary_search_opENS9_16wrapped_functionINS0_4lessIvEEbEEEE10hipError_tPvRmT1_T2_T3_mmT4_T5_P12ihipStream_tbEUlRKiE_EESK_SO_SP_mSQ_ST_bEUlT_E_NS1_11comp_targetILNS1_3genE10ELNS1_11target_archE1200ELNS1_3gpuE4ELNS1_3repE0EEENS1_30default_config_static_selectorELNS0_4arch9wavefront6targetE0EEEvSN_: ; @_ZN7rocprim17ROCPRIM_400000_NS6detail17trampoline_kernelINS0_14default_configENS1_29binary_search_config_selectorIiiEEZNS1_14transform_implILb0ES3_S5_N6thrust23THRUST_200600_302600_NS6detail15normal_iteratorINS8_10device_ptrIiEEEESD_ZNS1_13binary_searchIS3_S5_SD_SD_SD_NS1_16binary_search_opENS9_16wrapped_functionINS0_4lessIvEEbEEEE10hipError_tPvRmT1_T2_T3_mmT4_T5_P12ihipStream_tbEUlRKiE_EESK_SO_SP_mSQ_ST_bEUlT_E_NS1_11comp_targetILNS1_3genE10ELNS1_11target_archE1200ELNS1_3gpuE4ELNS1_3repE0EEENS1_30default_config_static_selectorELNS0_4arch9wavefront6targetE0EEEvSN_
; %bb.0:
	.section	.rodata,"a",@progbits
	.p2align	6, 0x0
	.amdhsa_kernel _ZN7rocprim17ROCPRIM_400000_NS6detail17trampoline_kernelINS0_14default_configENS1_29binary_search_config_selectorIiiEEZNS1_14transform_implILb0ES3_S5_N6thrust23THRUST_200600_302600_NS6detail15normal_iteratorINS8_10device_ptrIiEEEESD_ZNS1_13binary_searchIS3_S5_SD_SD_SD_NS1_16binary_search_opENS9_16wrapped_functionINS0_4lessIvEEbEEEE10hipError_tPvRmT1_T2_T3_mmT4_T5_P12ihipStream_tbEUlRKiE_EESK_SO_SP_mSQ_ST_bEUlT_E_NS1_11comp_targetILNS1_3genE10ELNS1_11target_archE1200ELNS1_3gpuE4ELNS1_3repE0EEENS1_30default_config_static_selectorELNS0_4arch9wavefront6targetE0EEEvSN_
		.amdhsa_group_segment_fixed_size 0
		.amdhsa_private_segment_fixed_size 0
		.amdhsa_kernarg_size 56
		.amdhsa_user_sgpr_count 15
		.amdhsa_user_sgpr_dispatch_ptr 0
		.amdhsa_user_sgpr_queue_ptr 0
		.amdhsa_user_sgpr_kernarg_segment_ptr 1
		.amdhsa_user_sgpr_dispatch_id 0
		.amdhsa_user_sgpr_private_segment_size 0
		.amdhsa_wavefront_size32 1
		.amdhsa_uses_dynamic_stack 0
		.amdhsa_enable_private_segment 0
		.amdhsa_system_sgpr_workgroup_id_x 1
		.amdhsa_system_sgpr_workgroup_id_y 0
		.amdhsa_system_sgpr_workgroup_id_z 0
		.amdhsa_system_sgpr_workgroup_info 0
		.amdhsa_system_vgpr_workitem_id 0
		.amdhsa_next_free_vgpr 1
		.amdhsa_next_free_sgpr 1
		.amdhsa_reserve_vcc 0
		.amdhsa_float_round_mode_32 0
		.amdhsa_float_round_mode_16_64 0
		.amdhsa_float_denorm_mode_32 3
		.amdhsa_float_denorm_mode_16_64 3
		.amdhsa_dx10_clamp 1
		.amdhsa_ieee_mode 1
		.amdhsa_fp16_overflow 0
		.amdhsa_workgroup_processor_mode 1
		.amdhsa_memory_ordered 1
		.amdhsa_forward_progress 0
		.amdhsa_shared_vgpr_count 0
		.amdhsa_exception_fp_ieee_invalid_op 0
		.amdhsa_exception_fp_denorm_src 0
		.amdhsa_exception_fp_ieee_div_zero 0
		.amdhsa_exception_fp_ieee_overflow 0
		.amdhsa_exception_fp_ieee_underflow 0
		.amdhsa_exception_fp_ieee_inexact 0
		.amdhsa_exception_int_div_zero 0
	.end_amdhsa_kernel
	.section	.text._ZN7rocprim17ROCPRIM_400000_NS6detail17trampoline_kernelINS0_14default_configENS1_29binary_search_config_selectorIiiEEZNS1_14transform_implILb0ES3_S5_N6thrust23THRUST_200600_302600_NS6detail15normal_iteratorINS8_10device_ptrIiEEEESD_ZNS1_13binary_searchIS3_S5_SD_SD_SD_NS1_16binary_search_opENS9_16wrapped_functionINS0_4lessIvEEbEEEE10hipError_tPvRmT1_T2_T3_mmT4_T5_P12ihipStream_tbEUlRKiE_EESK_SO_SP_mSQ_ST_bEUlT_E_NS1_11comp_targetILNS1_3genE10ELNS1_11target_archE1200ELNS1_3gpuE4ELNS1_3repE0EEENS1_30default_config_static_selectorELNS0_4arch9wavefront6targetE0EEEvSN_,"axG",@progbits,_ZN7rocprim17ROCPRIM_400000_NS6detail17trampoline_kernelINS0_14default_configENS1_29binary_search_config_selectorIiiEEZNS1_14transform_implILb0ES3_S5_N6thrust23THRUST_200600_302600_NS6detail15normal_iteratorINS8_10device_ptrIiEEEESD_ZNS1_13binary_searchIS3_S5_SD_SD_SD_NS1_16binary_search_opENS9_16wrapped_functionINS0_4lessIvEEbEEEE10hipError_tPvRmT1_T2_T3_mmT4_T5_P12ihipStream_tbEUlRKiE_EESK_SO_SP_mSQ_ST_bEUlT_E_NS1_11comp_targetILNS1_3genE10ELNS1_11target_archE1200ELNS1_3gpuE4ELNS1_3repE0EEENS1_30default_config_static_selectorELNS0_4arch9wavefront6targetE0EEEvSN_,comdat
.Lfunc_end525:
	.size	_ZN7rocprim17ROCPRIM_400000_NS6detail17trampoline_kernelINS0_14default_configENS1_29binary_search_config_selectorIiiEEZNS1_14transform_implILb0ES3_S5_N6thrust23THRUST_200600_302600_NS6detail15normal_iteratorINS8_10device_ptrIiEEEESD_ZNS1_13binary_searchIS3_S5_SD_SD_SD_NS1_16binary_search_opENS9_16wrapped_functionINS0_4lessIvEEbEEEE10hipError_tPvRmT1_T2_T3_mmT4_T5_P12ihipStream_tbEUlRKiE_EESK_SO_SP_mSQ_ST_bEUlT_E_NS1_11comp_targetILNS1_3genE10ELNS1_11target_archE1200ELNS1_3gpuE4ELNS1_3repE0EEENS1_30default_config_static_selectorELNS0_4arch9wavefront6targetE0EEEvSN_, .Lfunc_end525-_ZN7rocprim17ROCPRIM_400000_NS6detail17trampoline_kernelINS0_14default_configENS1_29binary_search_config_selectorIiiEEZNS1_14transform_implILb0ES3_S5_N6thrust23THRUST_200600_302600_NS6detail15normal_iteratorINS8_10device_ptrIiEEEESD_ZNS1_13binary_searchIS3_S5_SD_SD_SD_NS1_16binary_search_opENS9_16wrapped_functionINS0_4lessIvEEbEEEE10hipError_tPvRmT1_T2_T3_mmT4_T5_P12ihipStream_tbEUlRKiE_EESK_SO_SP_mSQ_ST_bEUlT_E_NS1_11comp_targetILNS1_3genE10ELNS1_11target_archE1200ELNS1_3gpuE4ELNS1_3repE0EEENS1_30default_config_static_selectorELNS0_4arch9wavefront6targetE0EEEvSN_
                                        ; -- End function
	.section	.AMDGPU.csdata,"",@progbits
; Kernel info:
; codeLenInByte = 0
; NumSgprs: 0
; NumVgprs: 0
; ScratchSize: 0
; MemoryBound: 0
; FloatMode: 240
; IeeeMode: 1
; LDSByteSize: 0 bytes/workgroup (compile time only)
; SGPRBlocks: 0
; VGPRBlocks: 0
; NumSGPRsForWavesPerEU: 1
; NumVGPRsForWavesPerEU: 1
; Occupancy: 16
; WaveLimiterHint : 0
; COMPUTE_PGM_RSRC2:SCRATCH_EN: 0
; COMPUTE_PGM_RSRC2:USER_SGPR: 15
; COMPUTE_PGM_RSRC2:TRAP_HANDLER: 0
; COMPUTE_PGM_RSRC2:TGID_X_EN: 1
; COMPUTE_PGM_RSRC2:TGID_Y_EN: 0
; COMPUTE_PGM_RSRC2:TGID_Z_EN: 0
; COMPUTE_PGM_RSRC2:TIDIG_COMP_CNT: 0
	.section	.text._ZN7rocprim17ROCPRIM_400000_NS6detail17trampoline_kernelINS0_14default_configENS1_29binary_search_config_selectorIiiEEZNS1_14transform_implILb0ES3_S5_N6thrust23THRUST_200600_302600_NS6detail15normal_iteratorINS8_10device_ptrIiEEEESD_ZNS1_13binary_searchIS3_S5_SD_SD_SD_NS1_16binary_search_opENS9_16wrapped_functionINS0_4lessIvEEbEEEE10hipError_tPvRmT1_T2_T3_mmT4_T5_P12ihipStream_tbEUlRKiE_EESK_SO_SP_mSQ_ST_bEUlT_E_NS1_11comp_targetILNS1_3genE9ELNS1_11target_archE1100ELNS1_3gpuE3ELNS1_3repE0EEENS1_30default_config_static_selectorELNS0_4arch9wavefront6targetE0EEEvSN_,"axG",@progbits,_ZN7rocprim17ROCPRIM_400000_NS6detail17trampoline_kernelINS0_14default_configENS1_29binary_search_config_selectorIiiEEZNS1_14transform_implILb0ES3_S5_N6thrust23THRUST_200600_302600_NS6detail15normal_iteratorINS8_10device_ptrIiEEEESD_ZNS1_13binary_searchIS3_S5_SD_SD_SD_NS1_16binary_search_opENS9_16wrapped_functionINS0_4lessIvEEbEEEE10hipError_tPvRmT1_T2_T3_mmT4_T5_P12ihipStream_tbEUlRKiE_EESK_SO_SP_mSQ_ST_bEUlT_E_NS1_11comp_targetILNS1_3genE9ELNS1_11target_archE1100ELNS1_3gpuE3ELNS1_3repE0EEENS1_30default_config_static_selectorELNS0_4arch9wavefront6targetE0EEEvSN_,comdat
	.protected	_ZN7rocprim17ROCPRIM_400000_NS6detail17trampoline_kernelINS0_14default_configENS1_29binary_search_config_selectorIiiEEZNS1_14transform_implILb0ES3_S5_N6thrust23THRUST_200600_302600_NS6detail15normal_iteratorINS8_10device_ptrIiEEEESD_ZNS1_13binary_searchIS3_S5_SD_SD_SD_NS1_16binary_search_opENS9_16wrapped_functionINS0_4lessIvEEbEEEE10hipError_tPvRmT1_T2_T3_mmT4_T5_P12ihipStream_tbEUlRKiE_EESK_SO_SP_mSQ_ST_bEUlT_E_NS1_11comp_targetILNS1_3genE9ELNS1_11target_archE1100ELNS1_3gpuE3ELNS1_3repE0EEENS1_30default_config_static_selectorELNS0_4arch9wavefront6targetE0EEEvSN_ ; -- Begin function _ZN7rocprim17ROCPRIM_400000_NS6detail17trampoline_kernelINS0_14default_configENS1_29binary_search_config_selectorIiiEEZNS1_14transform_implILb0ES3_S5_N6thrust23THRUST_200600_302600_NS6detail15normal_iteratorINS8_10device_ptrIiEEEESD_ZNS1_13binary_searchIS3_S5_SD_SD_SD_NS1_16binary_search_opENS9_16wrapped_functionINS0_4lessIvEEbEEEE10hipError_tPvRmT1_T2_T3_mmT4_T5_P12ihipStream_tbEUlRKiE_EESK_SO_SP_mSQ_ST_bEUlT_E_NS1_11comp_targetILNS1_3genE9ELNS1_11target_archE1100ELNS1_3gpuE3ELNS1_3repE0EEENS1_30default_config_static_selectorELNS0_4arch9wavefront6targetE0EEEvSN_
	.globl	_ZN7rocprim17ROCPRIM_400000_NS6detail17trampoline_kernelINS0_14default_configENS1_29binary_search_config_selectorIiiEEZNS1_14transform_implILb0ES3_S5_N6thrust23THRUST_200600_302600_NS6detail15normal_iteratorINS8_10device_ptrIiEEEESD_ZNS1_13binary_searchIS3_S5_SD_SD_SD_NS1_16binary_search_opENS9_16wrapped_functionINS0_4lessIvEEbEEEE10hipError_tPvRmT1_T2_T3_mmT4_T5_P12ihipStream_tbEUlRKiE_EESK_SO_SP_mSQ_ST_bEUlT_E_NS1_11comp_targetILNS1_3genE9ELNS1_11target_archE1100ELNS1_3gpuE3ELNS1_3repE0EEENS1_30default_config_static_selectorELNS0_4arch9wavefront6targetE0EEEvSN_
	.p2align	8
	.type	_ZN7rocprim17ROCPRIM_400000_NS6detail17trampoline_kernelINS0_14default_configENS1_29binary_search_config_selectorIiiEEZNS1_14transform_implILb0ES3_S5_N6thrust23THRUST_200600_302600_NS6detail15normal_iteratorINS8_10device_ptrIiEEEESD_ZNS1_13binary_searchIS3_S5_SD_SD_SD_NS1_16binary_search_opENS9_16wrapped_functionINS0_4lessIvEEbEEEE10hipError_tPvRmT1_T2_T3_mmT4_T5_P12ihipStream_tbEUlRKiE_EESK_SO_SP_mSQ_ST_bEUlT_E_NS1_11comp_targetILNS1_3genE9ELNS1_11target_archE1100ELNS1_3gpuE3ELNS1_3repE0EEENS1_30default_config_static_selectorELNS0_4arch9wavefront6targetE0EEEvSN_,@function
_ZN7rocprim17ROCPRIM_400000_NS6detail17trampoline_kernelINS0_14default_configENS1_29binary_search_config_selectorIiiEEZNS1_14transform_implILb0ES3_S5_N6thrust23THRUST_200600_302600_NS6detail15normal_iteratorINS8_10device_ptrIiEEEESD_ZNS1_13binary_searchIS3_S5_SD_SD_SD_NS1_16binary_search_opENS9_16wrapped_functionINS0_4lessIvEEbEEEE10hipError_tPvRmT1_T2_T3_mmT4_T5_P12ihipStream_tbEUlRKiE_EESK_SO_SP_mSQ_ST_bEUlT_E_NS1_11comp_targetILNS1_3genE9ELNS1_11target_archE1100ELNS1_3gpuE3ELNS1_3repE0EEENS1_30default_config_static_selectorELNS0_4arch9wavefront6targetE0EEEvSN_: ; @_ZN7rocprim17ROCPRIM_400000_NS6detail17trampoline_kernelINS0_14default_configENS1_29binary_search_config_selectorIiiEEZNS1_14transform_implILb0ES3_S5_N6thrust23THRUST_200600_302600_NS6detail15normal_iteratorINS8_10device_ptrIiEEEESD_ZNS1_13binary_searchIS3_S5_SD_SD_SD_NS1_16binary_search_opENS9_16wrapped_functionINS0_4lessIvEEbEEEE10hipError_tPvRmT1_T2_T3_mmT4_T5_P12ihipStream_tbEUlRKiE_EESK_SO_SP_mSQ_ST_bEUlT_E_NS1_11comp_targetILNS1_3genE9ELNS1_11target_archE1100ELNS1_3gpuE3ELNS1_3repE0EEENS1_30default_config_static_selectorELNS0_4arch9wavefront6targetE0EEEvSN_
; %bb.0:
	s_clause 0x3
	s_load_b128 s[16:19], s[0:1], 0x0
	s_load_b128 s[4:7], s[0:1], 0x18
	s_load_b32 s14, s[0:1], 0x38
	s_load_b64 s[8:9], s[0:1], 0x28
	s_waitcnt lgkmcnt(0)
	s_lshl_b64 s[2:3], s[18:19], 2
	s_delay_alu instid0(SALU_CYCLE_1)
	s_add_u32 s12, s16, s2
	s_addc_u32 s13, s17, s3
	s_add_u32 s10, s4, s2
	s_addc_u32 s11, s5, s3
	s_add_i32 s14, s14, -1
	s_lshl_b32 s2, s15, 8
	s_mov_b32 s3, 0
	s_cmp_lg_u32 s15, s14
	s_mov_b32 s4, -1
	s_cbranch_scc0 .LBB526_8
; %bb.1:
	v_lshlrev_b32_e32 v5, 2, v0
	s_lshl_b64 s[4:5], s[2:3], 2
	s_delay_alu instid0(SALU_CYCLE_1) | instskip(SKIP_1) | instid1(VALU_DEP_1)
	s_add_u32 s14, s12, s4
	s_addc_u32 s15, s13, s5
	v_add_co_u32 v1, s14, s14, v5
	s_delay_alu instid0(VALU_DEP_1)
	v_add_co_ci_u32_e64 v2, null, s15, 0, s14
	s_cmp_eq_u64 s[8:9], 0
	flat_load_b32 v6, v[1:2]
	v_mov_b32_e32 v1, 0
	v_mov_b32_e32 v2, 0
	s_cbranch_scc1 .LBB526_5
; %bb.2:
	v_mov_b32_e32 v1, 0
	v_dual_mov_b32 v2, 0 :: v_dual_mov_b32 v3, s8
	v_mov_b32_e32 v4, s9
	s_mov_b32 s14, s3
	.p2align	6
.LBB526_3:                              ; =>This Inner Loop Header: Depth=1
	s_delay_alu instid0(VALU_DEP_2) | instskip(NEXT) | instid1(VALU_DEP_2)
	v_sub_co_u32 v7, vcc_lo, v3, v1
	v_sub_co_ci_u32_e32 v8, vcc_lo, v4, v2, vcc_lo
	s_delay_alu instid0(VALU_DEP_1) | instskip(SKIP_1) | instid1(VALU_DEP_2)
	v_lshrrev_b64 v[9:10], 1, v[7:8]
	v_lshrrev_b64 v[7:8], 6, v[7:8]
	v_add_co_u32 v9, vcc_lo, v9, v1
	s_delay_alu instid0(VALU_DEP_3) | instskip(NEXT) | instid1(VALU_DEP_2)
	v_add_co_ci_u32_e32 v10, vcc_lo, v10, v2, vcc_lo
	v_add_co_u32 v7, vcc_lo, v9, v7
	s_delay_alu instid0(VALU_DEP_2) | instskip(NEXT) | instid1(VALU_DEP_1)
	v_add_co_ci_u32_e32 v8, vcc_lo, v10, v8, vcc_lo
	v_lshlrev_b64 v[9:10], 2, v[7:8]
	s_delay_alu instid0(VALU_DEP_1) | instskip(NEXT) | instid1(VALU_DEP_2)
	v_add_co_u32 v9, vcc_lo, s6, v9
	v_add_co_ci_u32_e32 v10, vcc_lo, s7, v10, vcc_lo
	global_load_b32 v9, v[9:10], off
	v_add_co_u32 v10, vcc_lo, v7, 1
	v_add_co_ci_u32_e32 v11, vcc_lo, 0, v8, vcc_lo
	s_waitcnt vmcnt(0) lgkmcnt(0)
	v_cmp_lt_i32_e32 vcc_lo, v9, v6
	v_dual_cndmask_b32 v4, v8, v4 :: v_dual_cndmask_b32 v3, v7, v3
	s_delay_alu instid0(VALU_DEP_3) | instskip(NEXT) | instid1(VALU_DEP_1)
	v_dual_cndmask_b32 v2, v2, v11 :: v_dual_cndmask_b32 v1, v1, v10
	v_cmp_ge_u64_e32 vcc_lo, v[1:2], v[3:4]
	s_or_b32 s14, vcc_lo, s14
	s_delay_alu instid0(SALU_CYCLE_1)
	s_and_not1_b32 exec_lo, exec_lo, s14
	s_cbranch_execnz .LBB526_3
; %bb.4:
	s_or_b32 exec_lo, exec_lo, s14
.LBB526_5:
	v_mov_b32_e32 v3, 0
	s_mov_b32 s14, exec_lo
	s_delay_alu instid0(VALU_DEP_2)
	v_cmpx_ne_u64_e64 s[8:9], v[1:2]
	s_cbranch_execz .LBB526_7
; %bb.6:
	v_lshlrev_b64 v[1:2], 2, v[1:2]
	s_delay_alu instid0(VALU_DEP_1) | instskip(NEXT) | instid1(VALU_DEP_2)
	v_add_co_u32 v1, vcc_lo, s6, v1
	v_add_co_ci_u32_e32 v2, vcc_lo, s7, v2, vcc_lo
	global_load_b32 v1, v[1:2], off
	s_waitcnt vmcnt(0) lgkmcnt(0)
	v_cmp_le_i32_e32 vcc_lo, v1, v6
	v_cndmask_b32_e64 v3, 0, 1, vcc_lo
.LBB526_7:
	s_or_b32 exec_lo, exec_lo, s14
	s_add_u32 s4, s10, s4
	s_addc_u32 s5, s11, s5
	v_add_co_u32 v1, s4, s4, v5
	s_delay_alu instid0(VALU_DEP_1)
	v_add_co_ci_u32_e64 v2, null, s5, 0, s4
	s_mov_b32 s4, 0
	flat_store_b32 v[1:2], v3
.LBB526_8:
	s_and_b32 vcc_lo, exec_lo, s4
	s_cbranch_vccz .LBB526_13
; %bb.9:
	s_load_b32 s0, s[0:1], 0x10
                                        ; implicit-def: $vgpr5
	s_waitcnt lgkmcnt(0)
	s_sub_i32 s0, s0, s2
	s_delay_alu instid0(SALU_CYCLE_1)
	v_cmp_gt_u32_e32 vcc_lo, s0, v0
	s_and_saveexec_b32 s0, vcc_lo
	s_cbranch_execnz .LBB526_14
; %bb.10:
	s_or_b32 exec_lo, exec_lo, s0
                                        ; implicit-def: $vgpr3
	s_and_saveexec_b32 s1, vcc_lo
	s_cbranch_execnz .LBB526_15
.LBB526_11:
	s_or_b32 exec_lo, exec_lo, s1
	s_and_saveexec_b32 s0, vcc_lo
	s_cbranch_execz .LBB526_13
.LBB526_12:
	v_lshlrev_b32_e32 v0, 2, v0
	s_lshl_b64 s[0:1], s[2:3], 2
	s_delay_alu instid0(SALU_CYCLE_1) | instskip(SKIP_1) | instid1(VALU_DEP_1)
	s_add_u32 s0, s10, s0
	s_addc_u32 s1, s11, s1
	v_add_co_u32 v0, s0, s0, v0
	s_delay_alu instid0(VALU_DEP_1)
	v_add_co_ci_u32_e64 v1, null, s1, 0, s0
	flat_store_b32 v[0:1], v3
.LBB526_13:
	s_endpgm
.LBB526_14:
	v_lshlrev_b32_e32 v1, 2, v0
	s_lshl_b64 s[4:5], s[2:3], 2
	s_delay_alu instid0(SALU_CYCLE_1) | instskip(SKIP_1) | instid1(VALU_DEP_1)
	s_add_u32 s1, s12, s4
	s_addc_u32 s4, s13, s5
	v_add_co_u32 v1, s1, s1, v1
	s_delay_alu instid0(VALU_DEP_1)
	v_add_co_ci_u32_e64 v2, null, s4, 0, s1
	flat_load_b32 v5, v[1:2]
	s_or_b32 exec_lo, exec_lo, s0
                                        ; implicit-def: $vgpr3
	s_and_saveexec_b32 s1, vcc_lo
	s_cbranch_execz .LBB526_11
.LBB526_15:
	v_mov_b32_e32 v1, 0
	v_mov_b32_e32 v2, 0
	s_cmp_eq_u64 s[8:9], 0
	s_cbranch_scc1 .LBB526_19
; %bb.16:
	v_mov_b32_e32 v1, 0
	v_dual_mov_b32 v2, 0 :: v_dual_mov_b32 v3, s8
	v_mov_b32_e32 v4, s9
	s_mov_b32 s4, 0
	s_set_inst_prefetch_distance 0x1
	.p2align	6
.LBB526_17:                             ; =>This Inner Loop Header: Depth=1
	s_waitcnt vmcnt(0)
	v_sub_co_u32 v6, s0, v3, v1
	s_delay_alu instid0(VALU_DEP_1) | instskip(NEXT) | instid1(VALU_DEP_1)
	v_sub_co_ci_u32_e64 v7, s0, v4, v2, s0
	v_lshrrev_b64 v[8:9], 1, v[6:7]
	v_lshrrev_b64 v[6:7], 6, v[6:7]
	s_delay_alu instid0(VALU_DEP_2) | instskip(NEXT) | instid1(VALU_DEP_1)
	v_add_co_u32 v8, s0, v8, v1
	v_add_co_ci_u32_e64 v9, s0, v9, v2, s0
	s_delay_alu instid0(VALU_DEP_2) | instskip(NEXT) | instid1(VALU_DEP_1)
	v_add_co_u32 v6, s0, v8, v6
	v_add_co_ci_u32_e64 v7, s0, v9, v7, s0
	s_delay_alu instid0(VALU_DEP_1) | instskip(NEXT) | instid1(VALU_DEP_1)
	v_lshlrev_b64 v[8:9], 2, v[6:7]
	v_add_co_u32 v8, s0, s6, v8
	s_delay_alu instid0(VALU_DEP_1) | instskip(SKIP_2) | instid1(VALU_DEP_1)
	v_add_co_ci_u32_e64 v9, s0, s7, v9, s0
	global_load_b32 v8, v[8:9], off
	v_add_co_u32 v9, s0, v6, 1
	v_add_co_ci_u32_e64 v10, s0, 0, v7, s0
	s_waitcnt vmcnt(0) lgkmcnt(0)
	v_cmp_lt_i32_e64 s0, v8, v5
	s_delay_alu instid0(VALU_DEP_1) | instskip(SKIP_3) | instid1(VALU_DEP_1)
	v_cndmask_b32_e64 v4, v7, v4, s0
	v_cndmask_b32_e64 v3, v6, v3, s0
	;; [unrolled: 1-line block ×4, first 2 shown]
	v_cmp_ge_u64_e64 s0, v[1:2], v[3:4]
	s_delay_alu instid0(VALU_DEP_1) | instskip(NEXT) | instid1(SALU_CYCLE_1)
	s_or_b32 s4, s0, s4
	s_and_not1_b32 exec_lo, exec_lo, s4
	s_cbranch_execnz .LBB526_17
; %bb.18:
	s_set_inst_prefetch_distance 0x2
	s_or_b32 exec_lo, exec_lo, s4
.LBB526_19:
	v_mov_b32_e32 v3, 0
	s_mov_b32 s4, exec_lo
	v_cmpx_ne_u64_e64 s[8:9], v[1:2]
	s_cbranch_execz .LBB526_21
; %bb.20:
	v_lshlrev_b64 v[1:2], 2, v[1:2]
	s_delay_alu instid0(VALU_DEP_1) | instskip(NEXT) | instid1(VALU_DEP_1)
	v_add_co_u32 v1, s0, s6, v1
	v_add_co_ci_u32_e64 v2, s0, s7, v2, s0
	global_load_b32 v1, v[1:2], off
	s_waitcnt vmcnt(0) lgkmcnt(0)
	v_cmp_le_i32_e64 s0, v1, v5
	s_delay_alu instid0(VALU_DEP_1)
	v_cndmask_b32_e64 v3, 0, 1, s0
.LBB526_21:
	s_or_b32 exec_lo, exec_lo, s4
	s_delay_alu instid0(SALU_CYCLE_1)
	s_or_b32 exec_lo, exec_lo, s1
	s_and_saveexec_b32 s0, vcc_lo
	s_cbranch_execnz .LBB526_12
	s_branch .LBB526_13
	.section	.rodata,"a",@progbits
	.p2align	6, 0x0
	.amdhsa_kernel _ZN7rocprim17ROCPRIM_400000_NS6detail17trampoline_kernelINS0_14default_configENS1_29binary_search_config_selectorIiiEEZNS1_14transform_implILb0ES3_S5_N6thrust23THRUST_200600_302600_NS6detail15normal_iteratorINS8_10device_ptrIiEEEESD_ZNS1_13binary_searchIS3_S5_SD_SD_SD_NS1_16binary_search_opENS9_16wrapped_functionINS0_4lessIvEEbEEEE10hipError_tPvRmT1_T2_T3_mmT4_T5_P12ihipStream_tbEUlRKiE_EESK_SO_SP_mSQ_ST_bEUlT_E_NS1_11comp_targetILNS1_3genE9ELNS1_11target_archE1100ELNS1_3gpuE3ELNS1_3repE0EEENS1_30default_config_static_selectorELNS0_4arch9wavefront6targetE0EEEvSN_
		.amdhsa_group_segment_fixed_size 0
		.amdhsa_private_segment_fixed_size 0
		.amdhsa_kernarg_size 312
		.amdhsa_user_sgpr_count 15
		.amdhsa_user_sgpr_dispatch_ptr 0
		.amdhsa_user_sgpr_queue_ptr 0
		.amdhsa_user_sgpr_kernarg_segment_ptr 1
		.amdhsa_user_sgpr_dispatch_id 0
		.amdhsa_user_sgpr_private_segment_size 0
		.amdhsa_wavefront_size32 1
		.amdhsa_uses_dynamic_stack 0
		.amdhsa_enable_private_segment 0
		.amdhsa_system_sgpr_workgroup_id_x 1
		.amdhsa_system_sgpr_workgroup_id_y 0
		.amdhsa_system_sgpr_workgroup_id_z 0
		.amdhsa_system_sgpr_workgroup_info 0
		.amdhsa_system_vgpr_workitem_id 0
		.amdhsa_next_free_vgpr 12
		.amdhsa_next_free_sgpr 20
		.amdhsa_reserve_vcc 1
		.amdhsa_float_round_mode_32 0
		.amdhsa_float_round_mode_16_64 0
		.amdhsa_float_denorm_mode_32 3
		.amdhsa_float_denorm_mode_16_64 3
		.amdhsa_dx10_clamp 1
		.amdhsa_ieee_mode 1
		.amdhsa_fp16_overflow 0
		.amdhsa_workgroup_processor_mode 1
		.amdhsa_memory_ordered 1
		.amdhsa_forward_progress 0
		.amdhsa_shared_vgpr_count 0
		.amdhsa_exception_fp_ieee_invalid_op 0
		.amdhsa_exception_fp_denorm_src 0
		.amdhsa_exception_fp_ieee_div_zero 0
		.amdhsa_exception_fp_ieee_overflow 0
		.amdhsa_exception_fp_ieee_underflow 0
		.amdhsa_exception_fp_ieee_inexact 0
		.amdhsa_exception_int_div_zero 0
	.end_amdhsa_kernel
	.section	.text._ZN7rocprim17ROCPRIM_400000_NS6detail17trampoline_kernelINS0_14default_configENS1_29binary_search_config_selectorIiiEEZNS1_14transform_implILb0ES3_S5_N6thrust23THRUST_200600_302600_NS6detail15normal_iteratorINS8_10device_ptrIiEEEESD_ZNS1_13binary_searchIS3_S5_SD_SD_SD_NS1_16binary_search_opENS9_16wrapped_functionINS0_4lessIvEEbEEEE10hipError_tPvRmT1_T2_T3_mmT4_T5_P12ihipStream_tbEUlRKiE_EESK_SO_SP_mSQ_ST_bEUlT_E_NS1_11comp_targetILNS1_3genE9ELNS1_11target_archE1100ELNS1_3gpuE3ELNS1_3repE0EEENS1_30default_config_static_selectorELNS0_4arch9wavefront6targetE0EEEvSN_,"axG",@progbits,_ZN7rocprim17ROCPRIM_400000_NS6detail17trampoline_kernelINS0_14default_configENS1_29binary_search_config_selectorIiiEEZNS1_14transform_implILb0ES3_S5_N6thrust23THRUST_200600_302600_NS6detail15normal_iteratorINS8_10device_ptrIiEEEESD_ZNS1_13binary_searchIS3_S5_SD_SD_SD_NS1_16binary_search_opENS9_16wrapped_functionINS0_4lessIvEEbEEEE10hipError_tPvRmT1_T2_T3_mmT4_T5_P12ihipStream_tbEUlRKiE_EESK_SO_SP_mSQ_ST_bEUlT_E_NS1_11comp_targetILNS1_3genE9ELNS1_11target_archE1100ELNS1_3gpuE3ELNS1_3repE0EEENS1_30default_config_static_selectorELNS0_4arch9wavefront6targetE0EEEvSN_,comdat
.Lfunc_end526:
	.size	_ZN7rocprim17ROCPRIM_400000_NS6detail17trampoline_kernelINS0_14default_configENS1_29binary_search_config_selectorIiiEEZNS1_14transform_implILb0ES3_S5_N6thrust23THRUST_200600_302600_NS6detail15normal_iteratorINS8_10device_ptrIiEEEESD_ZNS1_13binary_searchIS3_S5_SD_SD_SD_NS1_16binary_search_opENS9_16wrapped_functionINS0_4lessIvEEbEEEE10hipError_tPvRmT1_T2_T3_mmT4_T5_P12ihipStream_tbEUlRKiE_EESK_SO_SP_mSQ_ST_bEUlT_E_NS1_11comp_targetILNS1_3genE9ELNS1_11target_archE1100ELNS1_3gpuE3ELNS1_3repE0EEENS1_30default_config_static_selectorELNS0_4arch9wavefront6targetE0EEEvSN_, .Lfunc_end526-_ZN7rocprim17ROCPRIM_400000_NS6detail17trampoline_kernelINS0_14default_configENS1_29binary_search_config_selectorIiiEEZNS1_14transform_implILb0ES3_S5_N6thrust23THRUST_200600_302600_NS6detail15normal_iteratorINS8_10device_ptrIiEEEESD_ZNS1_13binary_searchIS3_S5_SD_SD_SD_NS1_16binary_search_opENS9_16wrapped_functionINS0_4lessIvEEbEEEE10hipError_tPvRmT1_T2_T3_mmT4_T5_P12ihipStream_tbEUlRKiE_EESK_SO_SP_mSQ_ST_bEUlT_E_NS1_11comp_targetILNS1_3genE9ELNS1_11target_archE1100ELNS1_3gpuE3ELNS1_3repE0EEENS1_30default_config_static_selectorELNS0_4arch9wavefront6targetE0EEEvSN_
                                        ; -- End function
	.section	.AMDGPU.csdata,"",@progbits
; Kernel info:
; codeLenInByte = 988
; NumSgprs: 22
; NumVgprs: 12
; ScratchSize: 0
; MemoryBound: 0
; FloatMode: 240
; IeeeMode: 1
; LDSByteSize: 0 bytes/workgroup (compile time only)
; SGPRBlocks: 2
; VGPRBlocks: 1
; NumSGPRsForWavesPerEU: 22
; NumVGPRsForWavesPerEU: 12
; Occupancy: 16
; WaveLimiterHint : 0
; COMPUTE_PGM_RSRC2:SCRATCH_EN: 0
; COMPUTE_PGM_RSRC2:USER_SGPR: 15
; COMPUTE_PGM_RSRC2:TRAP_HANDLER: 0
; COMPUTE_PGM_RSRC2:TGID_X_EN: 1
; COMPUTE_PGM_RSRC2:TGID_Y_EN: 0
; COMPUTE_PGM_RSRC2:TGID_Z_EN: 0
; COMPUTE_PGM_RSRC2:TIDIG_COMP_CNT: 0
	.section	.text._ZN7rocprim17ROCPRIM_400000_NS6detail17trampoline_kernelINS0_14default_configENS1_29binary_search_config_selectorIiiEEZNS1_14transform_implILb0ES3_S5_N6thrust23THRUST_200600_302600_NS6detail15normal_iteratorINS8_10device_ptrIiEEEESD_ZNS1_13binary_searchIS3_S5_SD_SD_SD_NS1_16binary_search_opENS9_16wrapped_functionINS0_4lessIvEEbEEEE10hipError_tPvRmT1_T2_T3_mmT4_T5_P12ihipStream_tbEUlRKiE_EESK_SO_SP_mSQ_ST_bEUlT_E_NS1_11comp_targetILNS1_3genE8ELNS1_11target_archE1030ELNS1_3gpuE2ELNS1_3repE0EEENS1_30default_config_static_selectorELNS0_4arch9wavefront6targetE0EEEvSN_,"axG",@progbits,_ZN7rocprim17ROCPRIM_400000_NS6detail17trampoline_kernelINS0_14default_configENS1_29binary_search_config_selectorIiiEEZNS1_14transform_implILb0ES3_S5_N6thrust23THRUST_200600_302600_NS6detail15normal_iteratorINS8_10device_ptrIiEEEESD_ZNS1_13binary_searchIS3_S5_SD_SD_SD_NS1_16binary_search_opENS9_16wrapped_functionINS0_4lessIvEEbEEEE10hipError_tPvRmT1_T2_T3_mmT4_T5_P12ihipStream_tbEUlRKiE_EESK_SO_SP_mSQ_ST_bEUlT_E_NS1_11comp_targetILNS1_3genE8ELNS1_11target_archE1030ELNS1_3gpuE2ELNS1_3repE0EEENS1_30default_config_static_selectorELNS0_4arch9wavefront6targetE0EEEvSN_,comdat
	.protected	_ZN7rocprim17ROCPRIM_400000_NS6detail17trampoline_kernelINS0_14default_configENS1_29binary_search_config_selectorIiiEEZNS1_14transform_implILb0ES3_S5_N6thrust23THRUST_200600_302600_NS6detail15normal_iteratorINS8_10device_ptrIiEEEESD_ZNS1_13binary_searchIS3_S5_SD_SD_SD_NS1_16binary_search_opENS9_16wrapped_functionINS0_4lessIvEEbEEEE10hipError_tPvRmT1_T2_T3_mmT4_T5_P12ihipStream_tbEUlRKiE_EESK_SO_SP_mSQ_ST_bEUlT_E_NS1_11comp_targetILNS1_3genE8ELNS1_11target_archE1030ELNS1_3gpuE2ELNS1_3repE0EEENS1_30default_config_static_selectorELNS0_4arch9wavefront6targetE0EEEvSN_ ; -- Begin function _ZN7rocprim17ROCPRIM_400000_NS6detail17trampoline_kernelINS0_14default_configENS1_29binary_search_config_selectorIiiEEZNS1_14transform_implILb0ES3_S5_N6thrust23THRUST_200600_302600_NS6detail15normal_iteratorINS8_10device_ptrIiEEEESD_ZNS1_13binary_searchIS3_S5_SD_SD_SD_NS1_16binary_search_opENS9_16wrapped_functionINS0_4lessIvEEbEEEE10hipError_tPvRmT1_T2_T3_mmT4_T5_P12ihipStream_tbEUlRKiE_EESK_SO_SP_mSQ_ST_bEUlT_E_NS1_11comp_targetILNS1_3genE8ELNS1_11target_archE1030ELNS1_3gpuE2ELNS1_3repE0EEENS1_30default_config_static_selectorELNS0_4arch9wavefront6targetE0EEEvSN_
	.globl	_ZN7rocprim17ROCPRIM_400000_NS6detail17trampoline_kernelINS0_14default_configENS1_29binary_search_config_selectorIiiEEZNS1_14transform_implILb0ES3_S5_N6thrust23THRUST_200600_302600_NS6detail15normal_iteratorINS8_10device_ptrIiEEEESD_ZNS1_13binary_searchIS3_S5_SD_SD_SD_NS1_16binary_search_opENS9_16wrapped_functionINS0_4lessIvEEbEEEE10hipError_tPvRmT1_T2_T3_mmT4_T5_P12ihipStream_tbEUlRKiE_EESK_SO_SP_mSQ_ST_bEUlT_E_NS1_11comp_targetILNS1_3genE8ELNS1_11target_archE1030ELNS1_3gpuE2ELNS1_3repE0EEENS1_30default_config_static_selectorELNS0_4arch9wavefront6targetE0EEEvSN_
	.p2align	8
	.type	_ZN7rocprim17ROCPRIM_400000_NS6detail17trampoline_kernelINS0_14default_configENS1_29binary_search_config_selectorIiiEEZNS1_14transform_implILb0ES3_S5_N6thrust23THRUST_200600_302600_NS6detail15normal_iteratorINS8_10device_ptrIiEEEESD_ZNS1_13binary_searchIS3_S5_SD_SD_SD_NS1_16binary_search_opENS9_16wrapped_functionINS0_4lessIvEEbEEEE10hipError_tPvRmT1_T2_T3_mmT4_T5_P12ihipStream_tbEUlRKiE_EESK_SO_SP_mSQ_ST_bEUlT_E_NS1_11comp_targetILNS1_3genE8ELNS1_11target_archE1030ELNS1_3gpuE2ELNS1_3repE0EEENS1_30default_config_static_selectorELNS0_4arch9wavefront6targetE0EEEvSN_,@function
_ZN7rocprim17ROCPRIM_400000_NS6detail17trampoline_kernelINS0_14default_configENS1_29binary_search_config_selectorIiiEEZNS1_14transform_implILb0ES3_S5_N6thrust23THRUST_200600_302600_NS6detail15normal_iteratorINS8_10device_ptrIiEEEESD_ZNS1_13binary_searchIS3_S5_SD_SD_SD_NS1_16binary_search_opENS9_16wrapped_functionINS0_4lessIvEEbEEEE10hipError_tPvRmT1_T2_T3_mmT4_T5_P12ihipStream_tbEUlRKiE_EESK_SO_SP_mSQ_ST_bEUlT_E_NS1_11comp_targetILNS1_3genE8ELNS1_11target_archE1030ELNS1_3gpuE2ELNS1_3repE0EEENS1_30default_config_static_selectorELNS0_4arch9wavefront6targetE0EEEvSN_: ; @_ZN7rocprim17ROCPRIM_400000_NS6detail17trampoline_kernelINS0_14default_configENS1_29binary_search_config_selectorIiiEEZNS1_14transform_implILb0ES3_S5_N6thrust23THRUST_200600_302600_NS6detail15normal_iteratorINS8_10device_ptrIiEEEESD_ZNS1_13binary_searchIS3_S5_SD_SD_SD_NS1_16binary_search_opENS9_16wrapped_functionINS0_4lessIvEEbEEEE10hipError_tPvRmT1_T2_T3_mmT4_T5_P12ihipStream_tbEUlRKiE_EESK_SO_SP_mSQ_ST_bEUlT_E_NS1_11comp_targetILNS1_3genE8ELNS1_11target_archE1030ELNS1_3gpuE2ELNS1_3repE0EEENS1_30default_config_static_selectorELNS0_4arch9wavefront6targetE0EEEvSN_
; %bb.0:
	.section	.rodata,"a",@progbits
	.p2align	6, 0x0
	.amdhsa_kernel _ZN7rocprim17ROCPRIM_400000_NS6detail17trampoline_kernelINS0_14default_configENS1_29binary_search_config_selectorIiiEEZNS1_14transform_implILb0ES3_S5_N6thrust23THRUST_200600_302600_NS6detail15normal_iteratorINS8_10device_ptrIiEEEESD_ZNS1_13binary_searchIS3_S5_SD_SD_SD_NS1_16binary_search_opENS9_16wrapped_functionINS0_4lessIvEEbEEEE10hipError_tPvRmT1_T2_T3_mmT4_T5_P12ihipStream_tbEUlRKiE_EESK_SO_SP_mSQ_ST_bEUlT_E_NS1_11comp_targetILNS1_3genE8ELNS1_11target_archE1030ELNS1_3gpuE2ELNS1_3repE0EEENS1_30default_config_static_selectorELNS0_4arch9wavefront6targetE0EEEvSN_
		.amdhsa_group_segment_fixed_size 0
		.amdhsa_private_segment_fixed_size 0
		.amdhsa_kernarg_size 56
		.amdhsa_user_sgpr_count 15
		.amdhsa_user_sgpr_dispatch_ptr 0
		.amdhsa_user_sgpr_queue_ptr 0
		.amdhsa_user_sgpr_kernarg_segment_ptr 1
		.amdhsa_user_sgpr_dispatch_id 0
		.amdhsa_user_sgpr_private_segment_size 0
		.amdhsa_wavefront_size32 1
		.amdhsa_uses_dynamic_stack 0
		.amdhsa_enable_private_segment 0
		.amdhsa_system_sgpr_workgroup_id_x 1
		.amdhsa_system_sgpr_workgroup_id_y 0
		.amdhsa_system_sgpr_workgroup_id_z 0
		.amdhsa_system_sgpr_workgroup_info 0
		.amdhsa_system_vgpr_workitem_id 0
		.amdhsa_next_free_vgpr 1
		.amdhsa_next_free_sgpr 1
		.amdhsa_reserve_vcc 0
		.amdhsa_float_round_mode_32 0
		.amdhsa_float_round_mode_16_64 0
		.amdhsa_float_denorm_mode_32 3
		.amdhsa_float_denorm_mode_16_64 3
		.amdhsa_dx10_clamp 1
		.amdhsa_ieee_mode 1
		.amdhsa_fp16_overflow 0
		.amdhsa_workgroup_processor_mode 1
		.amdhsa_memory_ordered 1
		.amdhsa_forward_progress 0
		.amdhsa_shared_vgpr_count 0
		.amdhsa_exception_fp_ieee_invalid_op 0
		.amdhsa_exception_fp_denorm_src 0
		.amdhsa_exception_fp_ieee_div_zero 0
		.amdhsa_exception_fp_ieee_overflow 0
		.amdhsa_exception_fp_ieee_underflow 0
		.amdhsa_exception_fp_ieee_inexact 0
		.amdhsa_exception_int_div_zero 0
	.end_amdhsa_kernel
	.section	.text._ZN7rocprim17ROCPRIM_400000_NS6detail17trampoline_kernelINS0_14default_configENS1_29binary_search_config_selectorIiiEEZNS1_14transform_implILb0ES3_S5_N6thrust23THRUST_200600_302600_NS6detail15normal_iteratorINS8_10device_ptrIiEEEESD_ZNS1_13binary_searchIS3_S5_SD_SD_SD_NS1_16binary_search_opENS9_16wrapped_functionINS0_4lessIvEEbEEEE10hipError_tPvRmT1_T2_T3_mmT4_T5_P12ihipStream_tbEUlRKiE_EESK_SO_SP_mSQ_ST_bEUlT_E_NS1_11comp_targetILNS1_3genE8ELNS1_11target_archE1030ELNS1_3gpuE2ELNS1_3repE0EEENS1_30default_config_static_selectorELNS0_4arch9wavefront6targetE0EEEvSN_,"axG",@progbits,_ZN7rocprim17ROCPRIM_400000_NS6detail17trampoline_kernelINS0_14default_configENS1_29binary_search_config_selectorIiiEEZNS1_14transform_implILb0ES3_S5_N6thrust23THRUST_200600_302600_NS6detail15normal_iteratorINS8_10device_ptrIiEEEESD_ZNS1_13binary_searchIS3_S5_SD_SD_SD_NS1_16binary_search_opENS9_16wrapped_functionINS0_4lessIvEEbEEEE10hipError_tPvRmT1_T2_T3_mmT4_T5_P12ihipStream_tbEUlRKiE_EESK_SO_SP_mSQ_ST_bEUlT_E_NS1_11comp_targetILNS1_3genE8ELNS1_11target_archE1030ELNS1_3gpuE2ELNS1_3repE0EEENS1_30default_config_static_selectorELNS0_4arch9wavefront6targetE0EEEvSN_,comdat
.Lfunc_end527:
	.size	_ZN7rocprim17ROCPRIM_400000_NS6detail17trampoline_kernelINS0_14default_configENS1_29binary_search_config_selectorIiiEEZNS1_14transform_implILb0ES3_S5_N6thrust23THRUST_200600_302600_NS6detail15normal_iteratorINS8_10device_ptrIiEEEESD_ZNS1_13binary_searchIS3_S5_SD_SD_SD_NS1_16binary_search_opENS9_16wrapped_functionINS0_4lessIvEEbEEEE10hipError_tPvRmT1_T2_T3_mmT4_T5_P12ihipStream_tbEUlRKiE_EESK_SO_SP_mSQ_ST_bEUlT_E_NS1_11comp_targetILNS1_3genE8ELNS1_11target_archE1030ELNS1_3gpuE2ELNS1_3repE0EEENS1_30default_config_static_selectorELNS0_4arch9wavefront6targetE0EEEvSN_, .Lfunc_end527-_ZN7rocprim17ROCPRIM_400000_NS6detail17trampoline_kernelINS0_14default_configENS1_29binary_search_config_selectorIiiEEZNS1_14transform_implILb0ES3_S5_N6thrust23THRUST_200600_302600_NS6detail15normal_iteratorINS8_10device_ptrIiEEEESD_ZNS1_13binary_searchIS3_S5_SD_SD_SD_NS1_16binary_search_opENS9_16wrapped_functionINS0_4lessIvEEbEEEE10hipError_tPvRmT1_T2_T3_mmT4_T5_P12ihipStream_tbEUlRKiE_EESK_SO_SP_mSQ_ST_bEUlT_E_NS1_11comp_targetILNS1_3genE8ELNS1_11target_archE1030ELNS1_3gpuE2ELNS1_3repE0EEENS1_30default_config_static_selectorELNS0_4arch9wavefront6targetE0EEEvSN_
                                        ; -- End function
	.section	.AMDGPU.csdata,"",@progbits
; Kernel info:
; codeLenInByte = 0
; NumSgprs: 0
; NumVgprs: 0
; ScratchSize: 0
; MemoryBound: 0
; FloatMode: 240
; IeeeMode: 1
; LDSByteSize: 0 bytes/workgroup (compile time only)
; SGPRBlocks: 0
; VGPRBlocks: 0
; NumSGPRsForWavesPerEU: 1
; NumVGPRsForWavesPerEU: 1
; Occupancy: 16
; WaveLimiterHint : 0
; COMPUTE_PGM_RSRC2:SCRATCH_EN: 0
; COMPUTE_PGM_RSRC2:USER_SGPR: 15
; COMPUTE_PGM_RSRC2:TRAP_HANDLER: 0
; COMPUTE_PGM_RSRC2:TGID_X_EN: 1
; COMPUTE_PGM_RSRC2:TGID_Y_EN: 0
; COMPUTE_PGM_RSRC2:TGID_Z_EN: 0
; COMPUTE_PGM_RSRC2:TIDIG_COMP_CNT: 0
	.section	.text._ZN7rocprim17ROCPRIM_400000_NS6detail17trampoline_kernelINS0_14default_configENS1_29binary_search_config_selectorIsbEEZNS1_14transform_implILb0ES3_S5_N6thrust23THRUST_200600_302600_NS6detail15normal_iteratorINS8_10device_ptrIsEEEENSA_INSB_IbEEEEZNS1_13binary_searchIS3_S5_SD_SD_SF_NS1_16binary_search_opENS9_16wrapped_functionINS0_4lessIvEEbEEEE10hipError_tPvRmT1_T2_T3_mmT4_T5_P12ihipStream_tbEUlRKsE_EESM_SQ_SR_mSS_SV_bEUlT_E_NS1_11comp_targetILNS1_3genE0ELNS1_11target_archE4294967295ELNS1_3gpuE0ELNS1_3repE0EEENS1_30default_config_static_selectorELNS0_4arch9wavefront6targetE0EEEvSP_,"axG",@progbits,_ZN7rocprim17ROCPRIM_400000_NS6detail17trampoline_kernelINS0_14default_configENS1_29binary_search_config_selectorIsbEEZNS1_14transform_implILb0ES3_S5_N6thrust23THRUST_200600_302600_NS6detail15normal_iteratorINS8_10device_ptrIsEEEENSA_INSB_IbEEEEZNS1_13binary_searchIS3_S5_SD_SD_SF_NS1_16binary_search_opENS9_16wrapped_functionINS0_4lessIvEEbEEEE10hipError_tPvRmT1_T2_T3_mmT4_T5_P12ihipStream_tbEUlRKsE_EESM_SQ_SR_mSS_SV_bEUlT_E_NS1_11comp_targetILNS1_3genE0ELNS1_11target_archE4294967295ELNS1_3gpuE0ELNS1_3repE0EEENS1_30default_config_static_selectorELNS0_4arch9wavefront6targetE0EEEvSP_,comdat
	.protected	_ZN7rocprim17ROCPRIM_400000_NS6detail17trampoline_kernelINS0_14default_configENS1_29binary_search_config_selectorIsbEEZNS1_14transform_implILb0ES3_S5_N6thrust23THRUST_200600_302600_NS6detail15normal_iteratorINS8_10device_ptrIsEEEENSA_INSB_IbEEEEZNS1_13binary_searchIS3_S5_SD_SD_SF_NS1_16binary_search_opENS9_16wrapped_functionINS0_4lessIvEEbEEEE10hipError_tPvRmT1_T2_T3_mmT4_T5_P12ihipStream_tbEUlRKsE_EESM_SQ_SR_mSS_SV_bEUlT_E_NS1_11comp_targetILNS1_3genE0ELNS1_11target_archE4294967295ELNS1_3gpuE0ELNS1_3repE0EEENS1_30default_config_static_selectorELNS0_4arch9wavefront6targetE0EEEvSP_ ; -- Begin function _ZN7rocprim17ROCPRIM_400000_NS6detail17trampoline_kernelINS0_14default_configENS1_29binary_search_config_selectorIsbEEZNS1_14transform_implILb0ES3_S5_N6thrust23THRUST_200600_302600_NS6detail15normal_iteratorINS8_10device_ptrIsEEEENSA_INSB_IbEEEEZNS1_13binary_searchIS3_S5_SD_SD_SF_NS1_16binary_search_opENS9_16wrapped_functionINS0_4lessIvEEbEEEE10hipError_tPvRmT1_T2_T3_mmT4_T5_P12ihipStream_tbEUlRKsE_EESM_SQ_SR_mSS_SV_bEUlT_E_NS1_11comp_targetILNS1_3genE0ELNS1_11target_archE4294967295ELNS1_3gpuE0ELNS1_3repE0EEENS1_30default_config_static_selectorELNS0_4arch9wavefront6targetE0EEEvSP_
	.globl	_ZN7rocprim17ROCPRIM_400000_NS6detail17trampoline_kernelINS0_14default_configENS1_29binary_search_config_selectorIsbEEZNS1_14transform_implILb0ES3_S5_N6thrust23THRUST_200600_302600_NS6detail15normal_iteratorINS8_10device_ptrIsEEEENSA_INSB_IbEEEEZNS1_13binary_searchIS3_S5_SD_SD_SF_NS1_16binary_search_opENS9_16wrapped_functionINS0_4lessIvEEbEEEE10hipError_tPvRmT1_T2_T3_mmT4_T5_P12ihipStream_tbEUlRKsE_EESM_SQ_SR_mSS_SV_bEUlT_E_NS1_11comp_targetILNS1_3genE0ELNS1_11target_archE4294967295ELNS1_3gpuE0ELNS1_3repE0EEENS1_30default_config_static_selectorELNS0_4arch9wavefront6targetE0EEEvSP_
	.p2align	8
	.type	_ZN7rocprim17ROCPRIM_400000_NS6detail17trampoline_kernelINS0_14default_configENS1_29binary_search_config_selectorIsbEEZNS1_14transform_implILb0ES3_S5_N6thrust23THRUST_200600_302600_NS6detail15normal_iteratorINS8_10device_ptrIsEEEENSA_INSB_IbEEEEZNS1_13binary_searchIS3_S5_SD_SD_SF_NS1_16binary_search_opENS9_16wrapped_functionINS0_4lessIvEEbEEEE10hipError_tPvRmT1_T2_T3_mmT4_T5_P12ihipStream_tbEUlRKsE_EESM_SQ_SR_mSS_SV_bEUlT_E_NS1_11comp_targetILNS1_3genE0ELNS1_11target_archE4294967295ELNS1_3gpuE0ELNS1_3repE0EEENS1_30default_config_static_selectorELNS0_4arch9wavefront6targetE0EEEvSP_,@function
_ZN7rocprim17ROCPRIM_400000_NS6detail17trampoline_kernelINS0_14default_configENS1_29binary_search_config_selectorIsbEEZNS1_14transform_implILb0ES3_S5_N6thrust23THRUST_200600_302600_NS6detail15normal_iteratorINS8_10device_ptrIsEEEENSA_INSB_IbEEEEZNS1_13binary_searchIS3_S5_SD_SD_SF_NS1_16binary_search_opENS9_16wrapped_functionINS0_4lessIvEEbEEEE10hipError_tPvRmT1_T2_T3_mmT4_T5_P12ihipStream_tbEUlRKsE_EESM_SQ_SR_mSS_SV_bEUlT_E_NS1_11comp_targetILNS1_3genE0ELNS1_11target_archE4294967295ELNS1_3gpuE0ELNS1_3repE0EEENS1_30default_config_static_selectorELNS0_4arch9wavefront6targetE0EEEvSP_: ; @_ZN7rocprim17ROCPRIM_400000_NS6detail17trampoline_kernelINS0_14default_configENS1_29binary_search_config_selectorIsbEEZNS1_14transform_implILb0ES3_S5_N6thrust23THRUST_200600_302600_NS6detail15normal_iteratorINS8_10device_ptrIsEEEENSA_INSB_IbEEEEZNS1_13binary_searchIS3_S5_SD_SD_SF_NS1_16binary_search_opENS9_16wrapped_functionINS0_4lessIvEEbEEEE10hipError_tPvRmT1_T2_T3_mmT4_T5_P12ihipStream_tbEUlRKsE_EESM_SQ_SR_mSS_SV_bEUlT_E_NS1_11comp_targetILNS1_3genE0ELNS1_11target_archE4294967295ELNS1_3gpuE0ELNS1_3repE0EEENS1_30default_config_static_selectorELNS0_4arch9wavefront6targetE0EEEvSP_
; %bb.0:
	.section	.rodata,"a",@progbits
	.p2align	6, 0x0
	.amdhsa_kernel _ZN7rocprim17ROCPRIM_400000_NS6detail17trampoline_kernelINS0_14default_configENS1_29binary_search_config_selectorIsbEEZNS1_14transform_implILb0ES3_S5_N6thrust23THRUST_200600_302600_NS6detail15normal_iteratorINS8_10device_ptrIsEEEENSA_INSB_IbEEEEZNS1_13binary_searchIS3_S5_SD_SD_SF_NS1_16binary_search_opENS9_16wrapped_functionINS0_4lessIvEEbEEEE10hipError_tPvRmT1_T2_T3_mmT4_T5_P12ihipStream_tbEUlRKsE_EESM_SQ_SR_mSS_SV_bEUlT_E_NS1_11comp_targetILNS1_3genE0ELNS1_11target_archE4294967295ELNS1_3gpuE0ELNS1_3repE0EEENS1_30default_config_static_selectorELNS0_4arch9wavefront6targetE0EEEvSP_
		.amdhsa_group_segment_fixed_size 0
		.amdhsa_private_segment_fixed_size 0
		.amdhsa_kernarg_size 56
		.amdhsa_user_sgpr_count 15
		.amdhsa_user_sgpr_dispatch_ptr 0
		.amdhsa_user_sgpr_queue_ptr 0
		.amdhsa_user_sgpr_kernarg_segment_ptr 1
		.amdhsa_user_sgpr_dispatch_id 0
		.amdhsa_user_sgpr_private_segment_size 0
		.amdhsa_wavefront_size32 1
		.amdhsa_uses_dynamic_stack 0
		.amdhsa_enable_private_segment 0
		.amdhsa_system_sgpr_workgroup_id_x 1
		.amdhsa_system_sgpr_workgroup_id_y 0
		.amdhsa_system_sgpr_workgroup_id_z 0
		.amdhsa_system_sgpr_workgroup_info 0
		.amdhsa_system_vgpr_workitem_id 0
		.amdhsa_next_free_vgpr 1
		.amdhsa_next_free_sgpr 1
		.amdhsa_reserve_vcc 0
		.amdhsa_float_round_mode_32 0
		.amdhsa_float_round_mode_16_64 0
		.amdhsa_float_denorm_mode_32 3
		.amdhsa_float_denorm_mode_16_64 3
		.amdhsa_dx10_clamp 1
		.amdhsa_ieee_mode 1
		.amdhsa_fp16_overflow 0
		.amdhsa_workgroup_processor_mode 1
		.amdhsa_memory_ordered 1
		.amdhsa_forward_progress 0
		.amdhsa_shared_vgpr_count 0
		.amdhsa_exception_fp_ieee_invalid_op 0
		.amdhsa_exception_fp_denorm_src 0
		.amdhsa_exception_fp_ieee_div_zero 0
		.amdhsa_exception_fp_ieee_overflow 0
		.amdhsa_exception_fp_ieee_underflow 0
		.amdhsa_exception_fp_ieee_inexact 0
		.amdhsa_exception_int_div_zero 0
	.end_amdhsa_kernel
	.section	.text._ZN7rocprim17ROCPRIM_400000_NS6detail17trampoline_kernelINS0_14default_configENS1_29binary_search_config_selectorIsbEEZNS1_14transform_implILb0ES3_S5_N6thrust23THRUST_200600_302600_NS6detail15normal_iteratorINS8_10device_ptrIsEEEENSA_INSB_IbEEEEZNS1_13binary_searchIS3_S5_SD_SD_SF_NS1_16binary_search_opENS9_16wrapped_functionINS0_4lessIvEEbEEEE10hipError_tPvRmT1_T2_T3_mmT4_T5_P12ihipStream_tbEUlRKsE_EESM_SQ_SR_mSS_SV_bEUlT_E_NS1_11comp_targetILNS1_3genE0ELNS1_11target_archE4294967295ELNS1_3gpuE0ELNS1_3repE0EEENS1_30default_config_static_selectorELNS0_4arch9wavefront6targetE0EEEvSP_,"axG",@progbits,_ZN7rocprim17ROCPRIM_400000_NS6detail17trampoline_kernelINS0_14default_configENS1_29binary_search_config_selectorIsbEEZNS1_14transform_implILb0ES3_S5_N6thrust23THRUST_200600_302600_NS6detail15normal_iteratorINS8_10device_ptrIsEEEENSA_INSB_IbEEEEZNS1_13binary_searchIS3_S5_SD_SD_SF_NS1_16binary_search_opENS9_16wrapped_functionINS0_4lessIvEEbEEEE10hipError_tPvRmT1_T2_T3_mmT4_T5_P12ihipStream_tbEUlRKsE_EESM_SQ_SR_mSS_SV_bEUlT_E_NS1_11comp_targetILNS1_3genE0ELNS1_11target_archE4294967295ELNS1_3gpuE0ELNS1_3repE0EEENS1_30default_config_static_selectorELNS0_4arch9wavefront6targetE0EEEvSP_,comdat
.Lfunc_end528:
	.size	_ZN7rocprim17ROCPRIM_400000_NS6detail17trampoline_kernelINS0_14default_configENS1_29binary_search_config_selectorIsbEEZNS1_14transform_implILb0ES3_S5_N6thrust23THRUST_200600_302600_NS6detail15normal_iteratorINS8_10device_ptrIsEEEENSA_INSB_IbEEEEZNS1_13binary_searchIS3_S5_SD_SD_SF_NS1_16binary_search_opENS9_16wrapped_functionINS0_4lessIvEEbEEEE10hipError_tPvRmT1_T2_T3_mmT4_T5_P12ihipStream_tbEUlRKsE_EESM_SQ_SR_mSS_SV_bEUlT_E_NS1_11comp_targetILNS1_3genE0ELNS1_11target_archE4294967295ELNS1_3gpuE0ELNS1_3repE0EEENS1_30default_config_static_selectorELNS0_4arch9wavefront6targetE0EEEvSP_, .Lfunc_end528-_ZN7rocprim17ROCPRIM_400000_NS6detail17trampoline_kernelINS0_14default_configENS1_29binary_search_config_selectorIsbEEZNS1_14transform_implILb0ES3_S5_N6thrust23THRUST_200600_302600_NS6detail15normal_iteratorINS8_10device_ptrIsEEEENSA_INSB_IbEEEEZNS1_13binary_searchIS3_S5_SD_SD_SF_NS1_16binary_search_opENS9_16wrapped_functionINS0_4lessIvEEbEEEE10hipError_tPvRmT1_T2_T3_mmT4_T5_P12ihipStream_tbEUlRKsE_EESM_SQ_SR_mSS_SV_bEUlT_E_NS1_11comp_targetILNS1_3genE0ELNS1_11target_archE4294967295ELNS1_3gpuE0ELNS1_3repE0EEENS1_30default_config_static_selectorELNS0_4arch9wavefront6targetE0EEEvSP_
                                        ; -- End function
	.section	.AMDGPU.csdata,"",@progbits
; Kernel info:
; codeLenInByte = 0
; NumSgprs: 0
; NumVgprs: 0
; ScratchSize: 0
; MemoryBound: 0
; FloatMode: 240
; IeeeMode: 1
; LDSByteSize: 0 bytes/workgroup (compile time only)
; SGPRBlocks: 0
; VGPRBlocks: 0
; NumSGPRsForWavesPerEU: 1
; NumVGPRsForWavesPerEU: 1
; Occupancy: 16
; WaveLimiterHint : 0
; COMPUTE_PGM_RSRC2:SCRATCH_EN: 0
; COMPUTE_PGM_RSRC2:USER_SGPR: 15
; COMPUTE_PGM_RSRC2:TRAP_HANDLER: 0
; COMPUTE_PGM_RSRC2:TGID_X_EN: 1
; COMPUTE_PGM_RSRC2:TGID_Y_EN: 0
; COMPUTE_PGM_RSRC2:TGID_Z_EN: 0
; COMPUTE_PGM_RSRC2:TIDIG_COMP_CNT: 0
	.section	.text._ZN7rocprim17ROCPRIM_400000_NS6detail17trampoline_kernelINS0_14default_configENS1_29binary_search_config_selectorIsbEEZNS1_14transform_implILb0ES3_S5_N6thrust23THRUST_200600_302600_NS6detail15normal_iteratorINS8_10device_ptrIsEEEENSA_INSB_IbEEEEZNS1_13binary_searchIS3_S5_SD_SD_SF_NS1_16binary_search_opENS9_16wrapped_functionINS0_4lessIvEEbEEEE10hipError_tPvRmT1_T2_T3_mmT4_T5_P12ihipStream_tbEUlRKsE_EESM_SQ_SR_mSS_SV_bEUlT_E_NS1_11comp_targetILNS1_3genE5ELNS1_11target_archE942ELNS1_3gpuE9ELNS1_3repE0EEENS1_30default_config_static_selectorELNS0_4arch9wavefront6targetE0EEEvSP_,"axG",@progbits,_ZN7rocprim17ROCPRIM_400000_NS6detail17trampoline_kernelINS0_14default_configENS1_29binary_search_config_selectorIsbEEZNS1_14transform_implILb0ES3_S5_N6thrust23THRUST_200600_302600_NS6detail15normal_iteratorINS8_10device_ptrIsEEEENSA_INSB_IbEEEEZNS1_13binary_searchIS3_S5_SD_SD_SF_NS1_16binary_search_opENS9_16wrapped_functionINS0_4lessIvEEbEEEE10hipError_tPvRmT1_T2_T3_mmT4_T5_P12ihipStream_tbEUlRKsE_EESM_SQ_SR_mSS_SV_bEUlT_E_NS1_11comp_targetILNS1_3genE5ELNS1_11target_archE942ELNS1_3gpuE9ELNS1_3repE0EEENS1_30default_config_static_selectorELNS0_4arch9wavefront6targetE0EEEvSP_,comdat
	.protected	_ZN7rocprim17ROCPRIM_400000_NS6detail17trampoline_kernelINS0_14default_configENS1_29binary_search_config_selectorIsbEEZNS1_14transform_implILb0ES3_S5_N6thrust23THRUST_200600_302600_NS6detail15normal_iteratorINS8_10device_ptrIsEEEENSA_INSB_IbEEEEZNS1_13binary_searchIS3_S5_SD_SD_SF_NS1_16binary_search_opENS9_16wrapped_functionINS0_4lessIvEEbEEEE10hipError_tPvRmT1_T2_T3_mmT4_T5_P12ihipStream_tbEUlRKsE_EESM_SQ_SR_mSS_SV_bEUlT_E_NS1_11comp_targetILNS1_3genE5ELNS1_11target_archE942ELNS1_3gpuE9ELNS1_3repE0EEENS1_30default_config_static_selectorELNS0_4arch9wavefront6targetE0EEEvSP_ ; -- Begin function _ZN7rocprim17ROCPRIM_400000_NS6detail17trampoline_kernelINS0_14default_configENS1_29binary_search_config_selectorIsbEEZNS1_14transform_implILb0ES3_S5_N6thrust23THRUST_200600_302600_NS6detail15normal_iteratorINS8_10device_ptrIsEEEENSA_INSB_IbEEEEZNS1_13binary_searchIS3_S5_SD_SD_SF_NS1_16binary_search_opENS9_16wrapped_functionINS0_4lessIvEEbEEEE10hipError_tPvRmT1_T2_T3_mmT4_T5_P12ihipStream_tbEUlRKsE_EESM_SQ_SR_mSS_SV_bEUlT_E_NS1_11comp_targetILNS1_3genE5ELNS1_11target_archE942ELNS1_3gpuE9ELNS1_3repE0EEENS1_30default_config_static_selectorELNS0_4arch9wavefront6targetE0EEEvSP_
	.globl	_ZN7rocprim17ROCPRIM_400000_NS6detail17trampoline_kernelINS0_14default_configENS1_29binary_search_config_selectorIsbEEZNS1_14transform_implILb0ES3_S5_N6thrust23THRUST_200600_302600_NS6detail15normal_iteratorINS8_10device_ptrIsEEEENSA_INSB_IbEEEEZNS1_13binary_searchIS3_S5_SD_SD_SF_NS1_16binary_search_opENS9_16wrapped_functionINS0_4lessIvEEbEEEE10hipError_tPvRmT1_T2_T3_mmT4_T5_P12ihipStream_tbEUlRKsE_EESM_SQ_SR_mSS_SV_bEUlT_E_NS1_11comp_targetILNS1_3genE5ELNS1_11target_archE942ELNS1_3gpuE9ELNS1_3repE0EEENS1_30default_config_static_selectorELNS0_4arch9wavefront6targetE0EEEvSP_
	.p2align	8
	.type	_ZN7rocprim17ROCPRIM_400000_NS6detail17trampoline_kernelINS0_14default_configENS1_29binary_search_config_selectorIsbEEZNS1_14transform_implILb0ES3_S5_N6thrust23THRUST_200600_302600_NS6detail15normal_iteratorINS8_10device_ptrIsEEEENSA_INSB_IbEEEEZNS1_13binary_searchIS3_S5_SD_SD_SF_NS1_16binary_search_opENS9_16wrapped_functionINS0_4lessIvEEbEEEE10hipError_tPvRmT1_T2_T3_mmT4_T5_P12ihipStream_tbEUlRKsE_EESM_SQ_SR_mSS_SV_bEUlT_E_NS1_11comp_targetILNS1_3genE5ELNS1_11target_archE942ELNS1_3gpuE9ELNS1_3repE0EEENS1_30default_config_static_selectorELNS0_4arch9wavefront6targetE0EEEvSP_,@function
_ZN7rocprim17ROCPRIM_400000_NS6detail17trampoline_kernelINS0_14default_configENS1_29binary_search_config_selectorIsbEEZNS1_14transform_implILb0ES3_S5_N6thrust23THRUST_200600_302600_NS6detail15normal_iteratorINS8_10device_ptrIsEEEENSA_INSB_IbEEEEZNS1_13binary_searchIS3_S5_SD_SD_SF_NS1_16binary_search_opENS9_16wrapped_functionINS0_4lessIvEEbEEEE10hipError_tPvRmT1_T2_T3_mmT4_T5_P12ihipStream_tbEUlRKsE_EESM_SQ_SR_mSS_SV_bEUlT_E_NS1_11comp_targetILNS1_3genE5ELNS1_11target_archE942ELNS1_3gpuE9ELNS1_3repE0EEENS1_30default_config_static_selectorELNS0_4arch9wavefront6targetE0EEEvSP_: ; @_ZN7rocprim17ROCPRIM_400000_NS6detail17trampoline_kernelINS0_14default_configENS1_29binary_search_config_selectorIsbEEZNS1_14transform_implILb0ES3_S5_N6thrust23THRUST_200600_302600_NS6detail15normal_iteratorINS8_10device_ptrIsEEEENSA_INSB_IbEEEEZNS1_13binary_searchIS3_S5_SD_SD_SF_NS1_16binary_search_opENS9_16wrapped_functionINS0_4lessIvEEbEEEE10hipError_tPvRmT1_T2_T3_mmT4_T5_P12ihipStream_tbEUlRKsE_EESM_SQ_SR_mSS_SV_bEUlT_E_NS1_11comp_targetILNS1_3genE5ELNS1_11target_archE942ELNS1_3gpuE9ELNS1_3repE0EEENS1_30default_config_static_selectorELNS0_4arch9wavefront6targetE0EEEvSP_
; %bb.0:
	.section	.rodata,"a",@progbits
	.p2align	6, 0x0
	.amdhsa_kernel _ZN7rocprim17ROCPRIM_400000_NS6detail17trampoline_kernelINS0_14default_configENS1_29binary_search_config_selectorIsbEEZNS1_14transform_implILb0ES3_S5_N6thrust23THRUST_200600_302600_NS6detail15normal_iteratorINS8_10device_ptrIsEEEENSA_INSB_IbEEEEZNS1_13binary_searchIS3_S5_SD_SD_SF_NS1_16binary_search_opENS9_16wrapped_functionINS0_4lessIvEEbEEEE10hipError_tPvRmT1_T2_T3_mmT4_T5_P12ihipStream_tbEUlRKsE_EESM_SQ_SR_mSS_SV_bEUlT_E_NS1_11comp_targetILNS1_3genE5ELNS1_11target_archE942ELNS1_3gpuE9ELNS1_3repE0EEENS1_30default_config_static_selectorELNS0_4arch9wavefront6targetE0EEEvSP_
		.amdhsa_group_segment_fixed_size 0
		.amdhsa_private_segment_fixed_size 0
		.amdhsa_kernarg_size 56
		.amdhsa_user_sgpr_count 15
		.amdhsa_user_sgpr_dispatch_ptr 0
		.amdhsa_user_sgpr_queue_ptr 0
		.amdhsa_user_sgpr_kernarg_segment_ptr 1
		.amdhsa_user_sgpr_dispatch_id 0
		.amdhsa_user_sgpr_private_segment_size 0
		.amdhsa_wavefront_size32 1
		.amdhsa_uses_dynamic_stack 0
		.amdhsa_enable_private_segment 0
		.amdhsa_system_sgpr_workgroup_id_x 1
		.amdhsa_system_sgpr_workgroup_id_y 0
		.amdhsa_system_sgpr_workgroup_id_z 0
		.amdhsa_system_sgpr_workgroup_info 0
		.amdhsa_system_vgpr_workitem_id 0
		.amdhsa_next_free_vgpr 1
		.amdhsa_next_free_sgpr 1
		.amdhsa_reserve_vcc 0
		.amdhsa_float_round_mode_32 0
		.amdhsa_float_round_mode_16_64 0
		.amdhsa_float_denorm_mode_32 3
		.amdhsa_float_denorm_mode_16_64 3
		.amdhsa_dx10_clamp 1
		.amdhsa_ieee_mode 1
		.amdhsa_fp16_overflow 0
		.amdhsa_workgroup_processor_mode 1
		.amdhsa_memory_ordered 1
		.amdhsa_forward_progress 0
		.amdhsa_shared_vgpr_count 0
		.amdhsa_exception_fp_ieee_invalid_op 0
		.amdhsa_exception_fp_denorm_src 0
		.amdhsa_exception_fp_ieee_div_zero 0
		.amdhsa_exception_fp_ieee_overflow 0
		.amdhsa_exception_fp_ieee_underflow 0
		.amdhsa_exception_fp_ieee_inexact 0
		.amdhsa_exception_int_div_zero 0
	.end_amdhsa_kernel
	.section	.text._ZN7rocprim17ROCPRIM_400000_NS6detail17trampoline_kernelINS0_14default_configENS1_29binary_search_config_selectorIsbEEZNS1_14transform_implILb0ES3_S5_N6thrust23THRUST_200600_302600_NS6detail15normal_iteratorINS8_10device_ptrIsEEEENSA_INSB_IbEEEEZNS1_13binary_searchIS3_S5_SD_SD_SF_NS1_16binary_search_opENS9_16wrapped_functionINS0_4lessIvEEbEEEE10hipError_tPvRmT1_T2_T3_mmT4_T5_P12ihipStream_tbEUlRKsE_EESM_SQ_SR_mSS_SV_bEUlT_E_NS1_11comp_targetILNS1_3genE5ELNS1_11target_archE942ELNS1_3gpuE9ELNS1_3repE0EEENS1_30default_config_static_selectorELNS0_4arch9wavefront6targetE0EEEvSP_,"axG",@progbits,_ZN7rocprim17ROCPRIM_400000_NS6detail17trampoline_kernelINS0_14default_configENS1_29binary_search_config_selectorIsbEEZNS1_14transform_implILb0ES3_S5_N6thrust23THRUST_200600_302600_NS6detail15normal_iteratorINS8_10device_ptrIsEEEENSA_INSB_IbEEEEZNS1_13binary_searchIS3_S5_SD_SD_SF_NS1_16binary_search_opENS9_16wrapped_functionINS0_4lessIvEEbEEEE10hipError_tPvRmT1_T2_T3_mmT4_T5_P12ihipStream_tbEUlRKsE_EESM_SQ_SR_mSS_SV_bEUlT_E_NS1_11comp_targetILNS1_3genE5ELNS1_11target_archE942ELNS1_3gpuE9ELNS1_3repE0EEENS1_30default_config_static_selectorELNS0_4arch9wavefront6targetE0EEEvSP_,comdat
.Lfunc_end529:
	.size	_ZN7rocprim17ROCPRIM_400000_NS6detail17trampoline_kernelINS0_14default_configENS1_29binary_search_config_selectorIsbEEZNS1_14transform_implILb0ES3_S5_N6thrust23THRUST_200600_302600_NS6detail15normal_iteratorINS8_10device_ptrIsEEEENSA_INSB_IbEEEEZNS1_13binary_searchIS3_S5_SD_SD_SF_NS1_16binary_search_opENS9_16wrapped_functionINS0_4lessIvEEbEEEE10hipError_tPvRmT1_T2_T3_mmT4_T5_P12ihipStream_tbEUlRKsE_EESM_SQ_SR_mSS_SV_bEUlT_E_NS1_11comp_targetILNS1_3genE5ELNS1_11target_archE942ELNS1_3gpuE9ELNS1_3repE0EEENS1_30default_config_static_selectorELNS0_4arch9wavefront6targetE0EEEvSP_, .Lfunc_end529-_ZN7rocprim17ROCPRIM_400000_NS6detail17trampoline_kernelINS0_14default_configENS1_29binary_search_config_selectorIsbEEZNS1_14transform_implILb0ES3_S5_N6thrust23THRUST_200600_302600_NS6detail15normal_iteratorINS8_10device_ptrIsEEEENSA_INSB_IbEEEEZNS1_13binary_searchIS3_S5_SD_SD_SF_NS1_16binary_search_opENS9_16wrapped_functionINS0_4lessIvEEbEEEE10hipError_tPvRmT1_T2_T3_mmT4_T5_P12ihipStream_tbEUlRKsE_EESM_SQ_SR_mSS_SV_bEUlT_E_NS1_11comp_targetILNS1_3genE5ELNS1_11target_archE942ELNS1_3gpuE9ELNS1_3repE0EEENS1_30default_config_static_selectorELNS0_4arch9wavefront6targetE0EEEvSP_
                                        ; -- End function
	.section	.AMDGPU.csdata,"",@progbits
; Kernel info:
; codeLenInByte = 0
; NumSgprs: 0
; NumVgprs: 0
; ScratchSize: 0
; MemoryBound: 0
; FloatMode: 240
; IeeeMode: 1
; LDSByteSize: 0 bytes/workgroup (compile time only)
; SGPRBlocks: 0
; VGPRBlocks: 0
; NumSGPRsForWavesPerEU: 1
; NumVGPRsForWavesPerEU: 1
; Occupancy: 16
; WaveLimiterHint : 0
; COMPUTE_PGM_RSRC2:SCRATCH_EN: 0
; COMPUTE_PGM_RSRC2:USER_SGPR: 15
; COMPUTE_PGM_RSRC2:TRAP_HANDLER: 0
; COMPUTE_PGM_RSRC2:TGID_X_EN: 1
; COMPUTE_PGM_RSRC2:TGID_Y_EN: 0
; COMPUTE_PGM_RSRC2:TGID_Z_EN: 0
; COMPUTE_PGM_RSRC2:TIDIG_COMP_CNT: 0
	.section	.text._ZN7rocprim17ROCPRIM_400000_NS6detail17trampoline_kernelINS0_14default_configENS1_29binary_search_config_selectorIsbEEZNS1_14transform_implILb0ES3_S5_N6thrust23THRUST_200600_302600_NS6detail15normal_iteratorINS8_10device_ptrIsEEEENSA_INSB_IbEEEEZNS1_13binary_searchIS3_S5_SD_SD_SF_NS1_16binary_search_opENS9_16wrapped_functionINS0_4lessIvEEbEEEE10hipError_tPvRmT1_T2_T3_mmT4_T5_P12ihipStream_tbEUlRKsE_EESM_SQ_SR_mSS_SV_bEUlT_E_NS1_11comp_targetILNS1_3genE4ELNS1_11target_archE910ELNS1_3gpuE8ELNS1_3repE0EEENS1_30default_config_static_selectorELNS0_4arch9wavefront6targetE0EEEvSP_,"axG",@progbits,_ZN7rocprim17ROCPRIM_400000_NS6detail17trampoline_kernelINS0_14default_configENS1_29binary_search_config_selectorIsbEEZNS1_14transform_implILb0ES3_S5_N6thrust23THRUST_200600_302600_NS6detail15normal_iteratorINS8_10device_ptrIsEEEENSA_INSB_IbEEEEZNS1_13binary_searchIS3_S5_SD_SD_SF_NS1_16binary_search_opENS9_16wrapped_functionINS0_4lessIvEEbEEEE10hipError_tPvRmT1_T2_T3_mmT4_T5_P12ihipStream_tbEUlRKsE_EESM_SQ_SR_mSS_SV_bEUlT_E_NS1_11comp_targetILNS1_3genE4ELNS1_11target_archE910ELNS1_3gpuE8ELNS1_3repE0EEENS1_30default_config_static_selectorELNS0_4arch9wavefront6targetE0EEEvSP_,comdat
	.protected	_ZN7rocprim17ROCPRIM_400000_NS6detail17trampoline_kernelINS0_14default_configENS1_29binary_search_config_selectorIsbEEZNS1_14transform_implILb0ES3_S5_N6thrust23THRUST_200600_302600_NS6detail15normal_iteratorINS8_10device_ptrIsEEEENSA_INSB_IbEEEEZNS1_13binary_searchIS3_S5_SD_SD_SF_NS1_16binary_search_opENS9_16wrapped_functionINS0_4lessIvEEbEEEE10hipError_tPvRmT1_T2_T3_mmT4_T5_P12ihipStream_tbEUlRKsE_EESM_SQ_SR_mSS_SV_bEUlT_E_NS1_11comp_targetILNS1_3genE4ELNS1_11target_archE910ELNS1_3gpuE8ELNS1_3repE0EEENS1_30default_config_static_selectorELNS0_4arch9wavefront6targetE0EEEvSP_ ; -- Begin function _ZN7rocprim17ROCPRIM_400000_NS6detail17trampoline_kernelINS0_14default_configENS1_29binary_search_config_selectorIsbEEZNS1_14transform_implILb0ES3_S5_N6thrust23THRUST_200600_302600_NS6detail15normal_iteratorINS8_10device_ptrIsEEEENSA_INSB_IbEEEEZNS1_13binary_searchIS3_S5_SD_SD_SF_NS1_16binary_search_opENS9_16wrapped_functionINS0_4lessIvEEbEEEE10hipError_tPvRmT1_T2_T3_mmT4_T5_P12ihipStream_tbEUlRKsE_EESM_SQ_SR_mSS_SV_bEUlT_E_NS1_11comp_targetILNS1_3genE4ELNS1_11target_archE910ELNS1_3gpuE8ELNS1_3repE0EEENS1_30default_config_static_selectorELNS0_4arch9wavefront6targetE0EEEvSP_
	.globl	_ZN7rocprim17ROCPRIM_400000_NS6detail17trampoline_kernelINS0_14default_configENS1_29binary_search_config_selectorIsbEEZNS1_14transform_implILb0ES3_S5_N6thrust23THRUST_200600_302600_NS6detail15normal_iteratorINS8_10device_ptrIsEEEENSA_INSB_IbEEEEZNS1_13binary_searchIS3_S5_SD_SD_SF_NS1_16binary_search_opENS9_16wrapped_functionINS0_4lessIvEEbEEEE10hipError_tPvRmT1_T2_T3_mmT4_T5_P12ihipStream_tbEUlRKsE_EESM_SQ_SR_mSS_SV_bEUlT_E_NS1_11comp_targetILNS1_3genE4ELNS1_11target_archE910ELNS1_3gpuE8ELNS1_3repE0EEENS1_30default_config_static_selectorELNS0_4arch9wavefront6targetE0EEEvSP_
	.p2align	8
	.type	_ZN7rocprim17ROCPRIM_400000_NS6detail17trampoline_kernelINS0_14default_configENS1_29binary_search_config_selectorIsbEEZNS1_14transform_implILb0ES3_S5_N6thrust23THRUST_200600_302600_NS6detail15normal_iteratorINS8_10device_ptrIsEEEENSA_INSB_IbEEEEZNS1_13binary_searchIS3_S5_SD_SD_SF_NS1_16binary_search_opENS9_16wrapped_functionINS0_4lessIvEEbEEEE10hipError_tPvRmT1_T2_T3_mmT4_T5_P12ihipStream_tbEUlRKsE_EESM_SQ_SR_mSS_SV_bEUlT_E_NS1_11comp_targetILNS1_3genE4ELNS1_11target_archE910ELNS1_3gpuE8ELNS1_3repE0EEENS1_30default_config_static_selectorELNS0_4arch9wavefront6targetE0EEEvSP_,@function
_ZN7rocprim17ROCPRIM_400000_NS6detail17trampoline_kernelINS0_14default_configENS1_29binary_search_config_selectorIsbEEZNS1_14transform_implILb0ES3_S5_N6thrust23THRUST_200600_302600_NS6detail15normal_iteratorINS8_10device_ptrIsEEEENSA_INSB_IbEEEEZNS1_13binary_searchIS3_S5_SD_SD_SF_NS1_16binary_search_opENS9_16wrapped_functionINS0_4lessIvEEbEEEE10hipError_tPvRmT1_T2_T3_mmT4_T5_P12ihipStream_tbEUlRKsE_EESM_SQ_SR_mSS_SV_bEUlT_E_NS1_11comp_targetILNS1_3genE4ELNS1_11target_archE910ELNS1_3gpuE8ELNS1_3repE0EEENS1_30default_config_static_selectorELNS0_4arch9wavefront6targetE0EEEvSP_: ; @_ZN7rocprim17ROCPRIM_400000_NS6detail17trampoline_kernelINS0_14default_configENS1_29binary_search_config_selectorIsbEEZNS1_14transform_implILb0ES3_S5_N6thrust23THRUST_200600_302600_NS6detail15normal_iteratorINS8_10device_ptrIsEEEENSA_INSB_IbEEEEZNS1_13binary_searchIS3_S5_SD_SD_SF_NS1_16binary_search_opENS9_16wrapped_functionINS0_4lessIvEEbEEEE10hipError_tPvRmT1_T2_T3_mmT4_T5_P12ihipStream_tbEUlRKsE_EESM_SQ_SR_mSS_SV_bEUlT_E_NS1_11comp_targetILNS1_3genE4ELNS1_11target_archE910ELNS1_3gpuE8ELNS1_3repE0EEENS1_30default_config_static_selectorELNS0_4arch9wavefront6targetE0EEEvSP_
; %bb.0:
	.section	.rodata,"a",@progbits
	.p2align	6, 0x0
	.amdhsa_kernel _ZN7rocprim17ROCPRIM_400000_NS6detail17trampoline_kernelINS0_14default_configENS1_29binary_search_config_selectorIsbEEZNS1_14transform_implILb0ES3_S5_N6thrust23THRUST_200600_302600_NS6detail15normal_iteratorINS8_10device_ptrIsEEEENSA_INSB_IbEEEEZNS1_13binary_searchIS3_S5_SD_SD_SF_NS1_16binary_search_opENS9_16wrapped_functionINS0_4lessIvEEbEEEE10hipError_tPvRmT1_T2_T3_mmT4_T5_P12ihipStream_tbEUlRKsE_EESM_SQ_SR_mSS_SV_bEUlT_E_NS1_11comp_targetILNS1_3genE4ELNS1_11target_archE910ELNS1_3gpuE8ELNS1_3repE0EEENS1_30default_config_static_selectorELNS0_4arch9wavefront6targetE0EEEvSP_
		.amdhsa_group_segment_fixed_size 0
		.amdhsa_private_segment_fixed_size 0
		.amdhsa_kernarg_size 56
		.amdhsa_user_sgpr_count 15
		.amdhsa_user_sgpr_dispatch_ptr 0
		.amdhsa_user_sgpr_queue_ptr 0
		.amdhsa_user_sgpr_kernarg_segment_ptr 1
		.amdhsa_user_sgpr_dispatch_id 0
		.amdhsa_user_sgpr_private_segment_size 0
		.amdhsa_wavefront_size32 1
		.amdhsa_uses_dynamic_stack 0
		.amdhsa_enable_private_segment 0
		.amdhsa_system_sgpr_workgroup_id_x 1
		.amdhsa_system_sgpr_workgroup_id_y 0
		.amdhsa_system_sgpr_workgroup_id_z 0
		.amdhsa_system_sgpr_workgroup_info 0
		.amdhsa_system_vgpr_workitem_id 0
		.amdhsa_next_free_vgpr 1
		.amdhsa_next_free_sgpr 1
		.amdhsa_reserve_vcc 0
		.amdhsa_float_round_mode_32 0
		.amdhsa_float_round_mode_16_64 0
		.amdhsa_float_denorm_mode_32 3
		.amdhsa_float_denorm_mode_16_64 3
		.amdhsa_dx10_clamp 1
		.amdhsa_ieee_mode 1
		.amdhsa_fp16_overflow 0
		.amdhsa_workgroup_processor_mode 1
		.amdhsa_memory_ordered 1
		.amdhsa_forward_progress 0
		.amdhsa_shared_vgpr_count 0
		.amdhsa_exception_fp_ieee_invalid_op 0
		.amdhsa_exception_fp_denorm_src 0
		.amdhsa_exception_fp_ieee_div_zero 0
		.amdhsa_exception_fp_ieee_overflow 0
		.amdhsa_exception_fp_ieee_underflow 0
		.amdhsa_exception_fp_ieee_inexact 0
		.amdhsa_exception_int_div_zero 0
	.end_amdhsa_kernel
	.section	.text._ZN7rocprim17ROCPRIM_400000_NS6detail17trampoline_kernelINS0_14default_configENS1_29binary_search_config_selectorIsbEEZNS1_14transform_implILb0ES3_S5_N6thrust23THRUST_200600_302600_NS6detail15normal_iteratorINS8_10device_ptrIsEEEENSA_INSB_IbEEEEZNS1_13binary_searchIS3_S5_SD_SD_SF_NS1_16binary_search_opENS9_16wrapped_functionINS0_4lessIvEEbEEEE10hipError_tPvRmT1_T2_T3_mmT4_T5_P12ihipStream_tbEUlRKsE_EESM_SQ_SR_mSS_SV_bEUlT_E_NS1_11comp_targetILNS1_3genE4ELNS1_11target_archE910ELNS1_3gpuE8ELNS1_3repE0EEENS1_30default_config_static_selectorELNS0_4arch9wavefront6targetE0EEEvSP_,"axG",@progbits,_ZN7rocprim17ROCPRIM_400000_NS6detail17trampoline_kernelINS0_14default_configENS1_29binary_search_config_selectorIsbEEZNS1_14transform_implILb0ES3_S5_N6thrust23THRUST_200600_302600_NS6detail15normal_iteratorINS8_10device_ptrIsEEEENSA_INSB_IbEEEEZNS1_13binary_searchIS3_S5_SD_SD_SF_NS1_16binary_search_opENS9_16wrapped_functionINS0_4lessIvEEbEEEE10hipError_tPvRmT1_T2_T3_mmT4_T5_P12ihipStream_tbEUlRKsE_EESM_SQ_SR_mSS_SV_bEUlT_E_NS1_11comp_targetILNS1_3genE4ELNS1_11target_archE910ELNS1_3gpuE8ELNS1_3repE0EEENS1_30default_config_static_selectorELNS0_4arch9wavefront6targetE0EEEvSP_,comdat
.Lfunc_end530:
	.size	_ZN7rocprim17ROCPRIM_400000_NS6detail17trampoline_kernelINS0_14default_configENS1_29binary_search_config_selectorIsbEEZNS1_14transform_implILb0ES3_S5_N6thrust23THRUST_200600_302600_NS6detail15normal_iteratorINS8_10device_ptrIsEEEENSA_INSB_IbEEEEZNS1_13binary_searchIS3_S5_SD_SD_SF_NS1_16binary_search_opENS9_16wrapped_functionINS0_4lessIvEEbEEEE10hipError_tPvRmT1_T2_T3_mmT4_T5_P12ihipStream_tbEUlRKsE_EESM_SQ_SR_mSS_SV_bEUlT_E_NS1_11comp_targetILNS1_3genE4ELNS1_11target_archE910ELNS1_3gpuE8ELNS1_3repE0EEENS1_30default_config_static_selectorELNS0_4arch9wavefront6targetE0EEEvSP_, .Lfunc_end530-_ZN7rocprim17ROCPRIM_400000_NS6detail17trampoline_kernelINS0_14default_configENS1_29binary_search_config_selectorIsbEEZNS1_14transform_implILb0ES3_S5_N6thrust23THRUST_200600_302600_NS6detail15normal_iteratorINS8_10device_ptrIsEEEENSA_INSB_IbEEEEZNS1_13binary_searchIS3_S5_SD_SD_SF_NS1_16binary_search_opENS9_16wrapped_functionINS0_4lessIvEEbEEEE10hipError_tPvRmT1_T2_T3_mmT4_T5_P12ihipStream_tbEUlRKsE_EESM_SQ_SR_mSS_SV_bEUlT_E_NS1_11comp_targetILNS1_3genE4ELNS1_11target_archE910ELNS1_3gpuE8ELNS1_3repE0EEENS1_30default_config_static_selectorELNS0_4arch9wavefront6targetE0EEEvSP_
                                        ; -- End function
	.section	.AMDGPU.csdata,"",@progbits
; Kernel info:
; codeLenInByte = 0
; NumSgprs: 0
; NumVgprs: 0
; ScratchSize: 0
; MemoryBound: 0
; FloatMode: 240
; IeeeMode: 1
; LDSByteSize: 0 bytes/workgroup (compile time only)
; SGPRBlocks: 0
; VGPRBlocks: 0
; NumSGPRsForWavesPerEU: 1
; NumVGPRsForWavesPerEU: 1
; Occupancy: 16
; WaveLimiterHint : 0
; COMPUTE_PGM_RSRC2:SCRATCH_EN: 0
; COMPUTE_PGM_RSRC2:USER_SGPR: 15
; COMPUTE_PGM_RSRC2:TRAP_HANDLER: 0
; COMPUTE_PGM_RSRC2:TGID_X_EN: 1
; COMPUTE_PGM_RSRC2:TGID_Y_EN: 0
; COMPUTE_PGM_RSRC2:TGID_Z_EN: 0
; COMPUTE_PGM_RSRC2:TIDIG_COMP_CNT: 0
	.section	.text._ZN7rocprim17ROCPRIM_400000_NS6detail17trampoline_kernelINS0_14default_configENS1_29binary_search_config_selectorIsbEEZNS1_14transform_implILb0ES3_S5_N6thrust23THRUST_200600_302600_NS6detail15normal_iteratorINS8_10device_ptrIsEEEENSA_INSB_IbEEEEZNS1_13binary_searchIS3_S5_SD_SD_SF_NS1_16binary_search_opENS9_16wrapped_functionINS0_4lessIvEEbEEEE10hipError_tPvRmT1_T2_T3_mmT4_T5_P12ihipStream_tbEUlRKsE_EESM_SQ_SR_mSS_SV_bEUlT_E_NS1_11comp_targetILNS1_3genE3ELNS1_11target_archE908ELNS1_3gpuE7ELNS1_3repE0EEENS1_30default_config_static_selectorELNS0_4arch9wavefront6targetE0EEEvSP_,"axG",@progbits,_ZN7rocprim17ROCPRIM_400000_NS6detail17trampoline_kernelINS0_14default_configENS1_29binary_search_config_selectorIsbEEZNS1_14transform_implILb0ES3_S5_N6thrust23THRUST_200600_302600_NS6detail15normal_iteratorINS8_10device_ptrIsEEEENSA_INSB_IbEEEEZNS1_13binary_searchIS3_S5_SD_SD_SF_NS1_16binary_search_opENS9_16wrapped_functionINS0_4lessIvEEbEEEE10hipError_tPvRmT1_T2_T3_mmT4_T5_P12ihipStream_tbEUlRKsE_EESM_SQ_SR_mSS_SV_bEUlT_E_NS1_11comp_targetILNS1_3genE3ELNS1_11target_archE908ELNS1_3gpuE7ELNS1_3repE0EEENS1_30default_config_static_selectorELNS0_4arch9wavefront6targetE0EEEvSP_,comdat
	.protected	_ZN7rocprim17ROCPRIM_400000_NS6detail17trampoline_kernelINS0_14default_configENS1_29binary_search_config_selectorIsbEEZNS1_14transform_implILb0ES3_S5_N6thrust23THRUST_200600_302600_NS6detail15normal_iteratorINS8_10device_ptrIsEEEENSA_INSB_IbEEEEZNS1_13binary_searchIS3_S5_SD_SD_SF_NS1_16binary_search_opENS9_16wrapped_functionINS0_4lessIvEEbEEEE10hipError_tPvRmT1_T2_T3_mmT4_T5_P12ihipStream_tbEUlRKsE_EESM_SQ_SR_mSS_SV_bEUlT_E_NS1_11comp_targetILNS1_3genE3ELNS1_11target_archE908ELNS1_3gpuE7ELNS1_3repE0EEENS1_30default_config_static_selectorELNS0_4arch9wavefront6targetE0EEEvSP_ ; -- Begin function _ZN7rocprim17ROCPRIM_400000_NS6detail17trampoline_kernelINS0_14default_configENS1_29binary_search_config_selectorIsbEEZNS1_14transform_implILb0ES3_S5_N6thrust23THRUST_200600_302600_NS6detail15normal_iteratorINS8_10device_ptrIsEEEENSA_INSB_IbEEEEZNS1_13binary_searchIS3_S5_SD_SD_SF_NS1_16binary_search_opENS9_16wrapped_functionINS0_4lessIvEEbEEEE10hipError_tPvRmT1_T2_T3_mmT4_T5_P12ihipStream_tbEUlRKsE_EESM_SQ_SR_mSS_SV_bEUlT_E_NS1_11comp_targetILNS1_3genE3ELNS1_11target_archE908ELNS1_3gpuE7ELNS1_3repE0EEENS1_30default_config_static_selectorELNS0_4arch9wavefront6targetE0EEEvSP_
	.globl	_ZN7rocprim17ROCPRIM_400000_NS6detail17trampoline_kernelINS0_14default_configENS1_29binary_search_config_selectorIsbEEZNS1_14transform_implILb0ES3_S5_N6thrust23THRUST_200600_302600_NS6detail15normal_iteratorINS8_10device_ptrIsEEEENSA_INSB_IbEEEEZNS1_13binary_searchIS3_S5_SD_SD_SF_NS1_16binary_search_opENS9_16wrapped_functionINS0_4lessIvEEbEEEE10hipError_tPvRmT1_T2_T3_mmT4_T5_P12ihipStream_tbEUlRKsE_EESM_SQ_SR_mSS_SV_bEUlT_E_NS1_11comp_targetILNS1_3genE3ELNS1_11target_archE908ELNS1_3gpuE7ELNS1_3repE0EEENS1_30default_config_static_selectorELNS0_4arch9wavefront6targetE0EEEvSP_
	.p2align	8
	.type	_ZN7rocprim17ROCPRIM_400000_NS6detail17trampoline_kernelINS0_14default_configENS1_29binary_search_config_selectorIsbEEZNS1_14transform_implILb0ES3_S5_N6thrust23THRUST_200600_302600_NS6detail15normal_iteratorINS8_10device_ptrIsEEEENSA_INSB_IbEEEEZNS1_13binary_searchIS3_S5_SD_SD_SF_NS1_16binary_search_opENS9_16wrapped_functionINS0_4lessIvEEbEEEE10hipError_tPvRmT1_T2_T3_mmT4_T5_P12ihipStream_tbEUlRKsE_EESM_SQ_SR_mSS_SV_bEUlT_E_NS1_11comp_targetILNS1_3genE3ELNS1_11target_archE908ELNS1_3gpuE7ELNS1_3repE0EEENS1_30default_config_static_selectorELNS0_4arch9wavefront6targetE0EEEvSP_,@function
_ZN7rocprim17ROCPRIM_400000_NS6detail17trampoline_kernelINS0_14default_configENS1_29binary_search_config_selectorIsbEEZNS1_14transform_implILb0ES3_S5_N6thrust23THRUST_200600_302600_NS6detail15normal_iteratorINS8_10device_ptrIsEEEENSA_INSB_IbEEEEZNS1_13binary_searchIS3_S5_SD_SD_SF_NS1_16binary_search_opENS9_16wrapped_functionINS0_4lessIvEEbEEEE10hipError_tPvRmT1_T2_T3_mmT4_T5_P12ihipStream_tbEUlRKsE_EESM_SQ_SR_mSS_SV_bEUlT_E_NS1_11comp_targetILNS1_3genE3ELNS1_11target_archE908ELNS1_3gpuE7ELNS1_3repE0EEENS1_30default_config_static_selectorELNS0_4arch9wavefront6targetE0EEEvSP_: ; @_ZN7rocprim17ROCPRIM_400000_NS6detail17trampoline_kernelINS0_14default_configENS1_29binary_search_config_selectorIsbEEZNS1_14transform_implILb0ES3_S5_N6thrust23THRUST_200600_302600_NS6detail15normal_iteratorINS8_10device_ptrIsEEEENSA_INSB_IbEEEEZNS1_13binary_searchIS3_S5_SD_SD_SF_NS1_16binary_search_opENS9_16wrapped_functionINS0_4lessIvEEbEEEE10hipError_tPvRmT1_T2_T3_mmT4_T5_P12ihipStream_tbEUlRKsE_EESM_SQ_SR_mSS_SV_bEUlT_E_NS1_11comp_targetILNS1_3genE3ELNS1_11target_archE908ELNS1_3gpuE7ELNS1_3repE0EEENS1_30default_config_static_selectorELNS0_4arch9wavefront6targetE0EEEvSP_
; %bb.0:
	.section	.rodata,"a",@progbits
	.p2align	6, 0x0
	.amdhsa_kernel _ZN7rocprim17ROCPRIM_400000_NS6detail17trampoline_kernelINS0_14default_configENS1_29binary_search_config_selectorIsbEEZNS1_14transform_implILb0ES3_S5_N6thrust23THRUST_200600_302600_NS6detail15normal_iteratorINS8_10device_ptrIsEEEENSA_INSB_IbEEEEZNS1_13binary_searchIS3_S5_SD_SD_SF_NS1_16binary_search_opENS9_16wrapped_functionINS0_4lessIvEEbEEEE10hipError_tPvRmT1_T2_T3_mmT4_T5_P12ihipStream_tbEUlRKsE_EESM_SQ_SR_mSS_SV_bEUlT_E_NS1_11comp_targetILNS1_3genE3ELNS1_11target_archE908ELNS1_3gpuE7ELNS1_3repE0EEENS1_30default_config_static_selectorELNS0_4arch9wavefront6targetE0EEEvSP_
		.amdhsa_group_segment_fixed_size 0
		.amdhsa_private_segment_fixed_size 0
		.amdhsa_kernarg_size 56
		.amdhsa_user_sgpr_count 15
		.amdhsa_user_sgpr_dispatch_ptr 0
		.amdhsa_user_sgpr_queue_ptr 0
		.amdhsa_user_sgpr_kernarg_segment_ptr 1
		.amdhsa_user_sgpr_dispatch_id 0
		.amdhsa_user_sgpr_private_segment_size 0
		.amdhsa_wavefront_size32 1
		.amdhsa_uses_dynamic_stack 0
		.amdhsa_enable_private_segment 0
		.amdhsa_system_sgpr_workgroup_id_x 1
		.amdhsa_system_sgpr_workgroup_id_y 0
		.amdhsa_system_sgpr_workgroup_id_z 0
		.amdhsa_system_sgpr_workgroup_info 0
		.amdhsa_system_vgpr_workitem_id 0
		.amdhsa_next_free_vgpr 1
		.amdhsa_next_free_sgpr 1
		.amdhsa_reserve_vcc 0
		.amdhsa_float_round_mode_32 0
		.amdhsa_float_round_mode_16_64 0
		.amdhsa_float_denorm_mode_32 3
		.amdhsa_float_denorm_mode_16_64 3
		.amdhsa_dx10_clamp 1
		.amdhsa_ieee_mode 1
		.amdhsa_fp16_overflow 0
		.amdhsa_workgroup_processor_mode 1
		.amdhsa_memory_ordered 1
		.amdhsa_forward_progress 0
		.amdhsa_shared_vgpr_count 0
		.amdhsa_exception_fp_ieee_invalid_op 0
		.amdhsa_exception_fp_denorm_src 0
		.amdhsa_exception_fp_ieee_div_zero 0
		.amdhsa_exception_fp_ieee_overflow 0
		.amdhsa_exception_fp_ieee_underflow 0
		.amdhsa_exception_fp_ieee_inexact 0
		.amdhsa_exception_int_div_zero 0
	.end_amdhsa_kernel
	.section	.text._ZN7rocprim17ROCPRIM_400000_NS6detail17trampoline_kernelINS0_14default_configENS1_29binary_search_config_selectorIsbEEZNS1_14transform_implILb0ES3_S5_N6thrust23THRUST_200600_302600_NS6detail15normal_iteratorINS8_10device_ptrIsEEEENSA_INSB_IbEEEEZNS1_13binary_searchIS3_S5_SD_SD_SF_NS1_16binary_search_opENS9_16wrapped_functionINS0_4lessIvEEbEEEE10hipError_tPvRmT1_T2_T3_mmT4_T5_P12ihipStream_tbEUlRKsE_EESM_SQ_SR_mSS_SV_bEUlT_E_NS1_11comp_targetILNS1_3genE3ELNS1_11target_archE908ELNS1_3gpuE7ELNS1_3repE0EEENS1_30default_config_static_selectorELNS0_4arch9wavefront6targetE0EEEvSP_,"axG",@progbits,_ZN7rocprim17ROCPRIM_400000_NS6detail17trampoline_kernelINS0_14default_configENS1_29binary_search_config_selectorIsbEEZNS1_14transform_implILb0ES3_S5_N6thrust23THRUST_200600_302600_NS6detail15normal_iteratorINS8_10device_ptrIsEEEENSA_INSB_IbEEEEZNS1_13binary_searchIS3_S5_SD_SD_SF_NS1_16binary_search_opENS9_16wrapped_functionINS0_4lessIvEEbEEEE10hipError_tPvRmT1_T2_T3_mmT4_T5_P12ihipStream_tbEUlRKsE_EESM_SQ_SR_mSS_SV_bEUlT_E_NS1_11comp_targetILNS1_3genE3ELNS1_11target_archE908ELNS1_3gpuE7ELNS1_3repE0EEENS1_30default_config_static_selectorELNS0_4arch9wavefront6targetE0EEEvSP_,comdat
.Lfunc_end531:
	.size	_ZN7rocprim17ROCPRIM_400000_NS6detail17trampoline_kernelINS0_14default_configENS1_29binary_search_config_selectorIsbEEZNS1_14transform_implILb0ES3_S5_N6thrust23THRUST_200600_302600_NS6detail15normal_iteratorINS8_10device_ptrIsEEEENSA_INSB_IbEEEEZNS1_13binary_searchIS3_S5_SD_SD_SF_NS1_16binary_search_opENS9_16wrapped_functionINS0_4lessIvEEbEEEE10hipError_tPvRmT1_T2_T3_mmT4_T5_P12ihipStream_tbEUlRKsE_EESM_SQ_SR_mSS_SV_bEUlT_E_NS1_11comp_targetILNS1_3genE3ELNS1_11target_archE908ELNS1_3gpuE7ELNS1_3repE0EEENS1_30default_config_static_selectorELNS0_4arch9wavefront6targetE0EEEvSP_, .Lfunc_end531-_ZN7rocprim17ROCPRIM_400000_NS6detail17trampoline_kernelINS0_14default_configENS1_29binary_search_config_selectorIsbEEZNS1_14transform_implILb0ES3_S5_N6thrust23THRUST_200600_302600_NS6detail15normal_iteratorINS8_10device_ptrIsEEEENSA_INSB_IbEEEEZNS1_13binary_searchIS3_S5_SD_SD_SF_NS1_16binary_search_opENS9_16wrapped_functionINS0_4lessIvEEbEEEE10hipError_tPvRmT1_T2_T3_mmT4_T5_P12ihipStream_tbEUlRKsE_EESM_SQ_SR_mSS_SV_bEUlT_E_NS1_11comp_targetILNS1_3genE3ELNS1_11target_archE908ELNS1_3gpuE7ELNS1_3repE0EEENS1_30default_config_static_selectorELNS0_4arch9wavefront6targetE0EEEvSP_
                                        ; -- End function
	.section	.AMDGPU.csdata,"",@progbits
; Kernel info:
; codeLenInByte = 0
; NumSgprs: 0
; NumVgprs: 0
; ScratchSize: 0
; MemoryBound: 0
; FloatMode: 240
; IeeeMode: 1
; LDSByteSize: 0 bytes/workgroup (compile time only)
; SGPRBlocks: 0
; VGPRBlocks: 0
; NumSGPRsForWavesPerEU: 1
; NumVGPRsForWavesPerEU: 1
; Occupancy: 16
; WaveLimiterHint : 0
; COMPUTE_PGM_RSRC2:SCRATCH_EN: 0
; COMPUTE_PGM_RSRC2:USER_SGPR: 15
; COMPUTE_PGM_RSRC2:TRAP_HANDLER: 0
; COMPUTE_PGM_RSRC2:TGID_X_EN: 1
; COMPUTE_PGM_RSRC2:TGID_Y_EN: 0
; COMPUTE_PGM_RSRC2:TGID_Z_EN: 0
; COMPUTE_PGM_RSRC2:TIDIG_COMP_CNT: 0
	.section	.text._ZN7rocprim17ROCPRIM_400000_NS6detail17trampoline_kernelINS0_14default_configENS1_29binary_search_config_selectorIsbEEZNS1_14transform_implILb0ES3_S5_N6thrust23THRUST_200600_302600_NS6detail15normal_iteratorINS8_10device_ptrIsEEEENSA_INSB_IbEEEEZNS1_13binary_searchIS3_S5_SD_SD_SF_NS1_16binary_search_opENS9_16wrapped_functionINS0_4lessIvEEbEEEE10hipError_tPvRmT1_T2_T3_mmT4_T5_P12ihipStream_tbEUlRKsE_EESM_SQ_SR_mSS_SV_bEUlT_E_NS1_11comp_targetILNS1_3genE2ELNS1_11target_archE906ELNS1_3gpuE6ELNS1_3repE0EEENS1_30default_config_static_selectorELNS0_4arch9wavefront6targetE0EEEvSP_,"axG",@progbits,_ZN7rocprim17ROCPRIM_400000_NS6detail17trampoline_kernelINS0_14default_configENS1_29binary_search_config_selectorIsbEEZNS1_14transform_implILb0ES3_S5_N6thrust23THRUST_200600_302600_NS6detail15normal_iteratorINS8_10device_ptrIsEEEENSA_INSB_IbEEEEZNS1_13binary_searchIS3_S5_SD_SD_SF_NS1_16binary_search_opENS9_16wrapped_functionINS0_4lessIvEEbEEEE10hipError_tPvRmT1_T2_T3_mmT4_T5_P12ihipStream_tbEUlRKsE_EESM_SQ_SR_mSS_SV_bEUlT_E_NS1_11comp_targetILNS1_3genE2ELNS1_11target_archE906ELNS1_3gpuE6ELNS1_3repE0EEENS1_30default_config_static_selectorELNS0_4arch9wavefront6targetE0EEEvSP_,comdat
	.protected	_ZN7rocprim17ROCPRIM_400000_NS6detail17trampoline_kernelINS0_14default_configENS1_29binary_search_config_selectorIsbEEZNS1_14transform_implILb0ES3_S5_N6thrust23THRUST_200600_302600_NS6detail15normal_iteratorINS8_10device_ptrIsEEEENSA_INSB_IbEEEEZNS1_13binary_searchIS3_S5_SD_SD_SF_NS1_16binary_search_opENS9_16wrapped_functionINS0_4lessIvEEbEEEE10hipError_tPvRmT1_T2_T3_mmT4_T5_P12ihipStream_tbEUlRKsE_EESM_SQ_SR_mSS_SV_bEUlT_E_NS1_11comp_targetILNS1_3genE2ELNS1_11target_archE906ELNS1_3gpuE6ELNS1_3repE0EEENS1_30default_config_static_selectorELNS0_4arch9wavefront6targetE0EEEvSP_ ; -- Begin function _ZN7rocprim17ROCPRIM_400000_NS6detail17trampoline_kernelINS0_14default_configENS1_29binary_search_config_selectorIsbEEZNS1_14transform_implILb0ES3_S5_N6thrust23THRUST_200600_302600_NS6detail15normal_iteratorINS8_10device_ptrIsEEEENSA_INSB_IbEEEEZNS1_13binary_searchIS3_S5_SD_SD_SF_NS1_16binary_search_opENS9_16wrapped_functionINS0_4lessIvEEbEEEE10hipError_tPvRmT1_T2_T3_mmT4_T5_P12ihipStream_tbEUlRKsE_EESM_SQ_SR_mSS_SV_bEUlT_E_NS1_11comp_targetILNS1_3genE2ELNS1_11target_archE906ELNS1_3gpuE6ELNS1_3repE0EEENS1_30default_config_static_selectorELNS0_4arch9wavefront6targetE0EEEvSP_
	.globl	_ZN7rocprim17ROCPRIM_400000_NS6detail17trampoline_kernelINS0_14default_configENS1_29binary_search_config_selectorIsbEEZNS1_14transform_implILb0ES3_S5_N6thrust23THRUST_200600_302600_NS6detail15normal_iteratorINS8_10device_ptrIsEEEENSA_INSB_IbEEEEZNS1_13binary_searchIS3_S5_SD_SD_SF_NS1_16binary_search_opENS9_16wrapped_functionINS0_4lessIvEEbEEEE10hipError_tPvRmT1_T2_T3_mmT4_T5_P12ihipStream_tbEUlRKsE_EESM_SQ_SR_mSS_SV_bEUlT_E_NS1_11comp_targetILNS1_3genE2ELNS1_11target_archE906ELNS1_3gpuE6ELNS1_3repE0EEENS1_30default_config_static_selectorELNS0_4arch9wavefront6targetE0EEEvSP_
	.p2align	8
	.type	_ZN7rocprim17ROCPRIM_400000_NS6detail17trampoline_kernelINS0_14default_configENS1_29binary_search_config_selectorIsbEEZNS1_14transform_implILb0ES3_S5_N6thrust23THRUST_200600_302600_NS6detail15normal_iteratorINS8_10device_ptrIsEEEENSA_INSB_IbEEEEZNS1_13binary_searchIS3_S5_SD_SD_SF_NS1_16binary_search_opENS9_16wrapped_functionINS0_4lessIvEEbEEEE10hipError_tPvRmT1_T2_T3_mmT4_T5_P12ihipStream_tbEUlRKsE_EESM_SQ_SR_mSS_SV_bEUlT_E_NS1_11comp_targetILNS1_3genE2ELNS1_11target_archE906ELNS1_3gpuE6ELNS1_3repE0EEENS1_30default_config_static_selectorELNS0_4arch9wavefront6targetE0EEEvSP_,@function
_ZN7rocprim17ROCPRIM_400000_NS6detail17trampoline_kernelINS0_14default_configENS1_29binary_search_config_selectorIsbEEZNS1_14transform_implILb0ES3_S5_N6thrust23THRUST_200600_302600_NS6detail15normal_iteratorINS8_10device_ptrIsEEEENSA_INSB_IbEEEEZNS1_13binary_searchIS3_S5_SD_SD_SF_NS1_16binary_search_opENS9_16wrapped_functionINS0_4lessIvEEbEEEE10hipError_tPvRmT1_T2_T3_mmT4_T5_P12ihipStream_tbEUlRKsE_EESM_SQ_SR_mSS_SV_bEUlT_E_NS1_11comp_targetILNS1_3genE2ELNS1_11target_archE906ELNS1_3gpuE6ELNS1_3repE0EEENS1_30default_config_static_selectorELNS0_4arch9wavefront6targetE0EEEvSP_: ; @_ZN7rocprim17ROCPRIM_400000_NS6detail17trampoline_kernelINS0_14default_configENS1_29binary_search_config_selectorIsbEEZNS1_14transform_implILb0ES3_S5_N6thrust23THRUST_200600_302600_NS6detail15normal_iteratorINS8_10device_ptrIsEEEENSA_INSB_IbEEEEZNS1_13binary_searchIS3_S5_SD_SD_SF_NS1_16binary_search_opENS9_16wrapped_functionINS0_4lessIvEEbEEEE10hipError_tPvRmT1_T2_T3_mmT4_T5_P12ihipStream_tbEUlRKsE_EESM_SQ_SR_mSS_SV_bEUlT_E_NS1_11comp_targetILNS1_3genE2ELNS1_11target_archE906ELNS1_3gpuE6ELNS1_3repE0EEENS1_30default_config_static_selectorELNS0_4arch9wavefront6targetE0EEEvSP_
; %bb.0:
	.section	.rodata,"a",@progbits
	.p2align	6, 0x0
	.amdhsa_kernel _ZN7rocprim17ROCPRIM_400000_NS6detail17trampoline_kernelINS0_14default_configENS1_29binary_search_config_selectorIsbEEZNS1_14transform_implILb0ES3_S5_N6thrust23THRUST_200600_302600_NS6detail15normal_iteratorINS8_10device_ptrIsEEEENSA_INSB_IbEEEEZNS1_13binary_searchIS3_S5_SD_SD_SF_NS1_16binary_search_opENS9_16wrapped_functionINS0_4lessIvEEbEEEE10hipError_tPvRmT1_T2_T3_mmT4_T5_P12ihipStream_tbEUlRKsE_EESM_SQ_SR_mSS_SV_bEUlT_E_NS1_11comp_targetILNS1_3genE2ELNS1_11target_archE906ELNS1_3gpuE6ELNS1_3repE0EEENS1_30default_config_static_selectorELNS0_4arch9wavefront6targetE0EEEvSP_
		.amdhsa_group_segment_fixed_size 0
		.amdhsa_private_segment_fixed_size 0
		.amdhsa_kernarg_size 56
		.amdhsa_user_sgpr_count 15
		.amdhsa_user_sgpr_dispatch_ptr 0
		.amdhsa_user_sgpr_queue_ptr 0
		.amdhsa_user_sgpr_kernarg_segment_ptr 1
		.amdhsa_user_sgpr_dispatch_id 0
		.amdhsa_user_sgpr_private_segment_size 0
		.amdhsa_wavefront_size32 1
		.amdhsa_uses_dynamic_stack 0
		.amdhsa_enable_private_segment 0
		.amdhsa_system_sgpr_workgroup_id_x 1
		.amdhsa_system_sgpr_workgroup_id_y 0
		.amdhsa_system_sgpr_workgroup_id_z 0
		.amdhsa_system_sgpr_workgroup_info 0
		.amdhsa_system_vgpr_workitem_id 0
		.amdhsa_next_free_vgpr 1
		.amdhsa_next_free_sgpr 1
		.amdhsa_reserve_vcc 0
		.amdhsa_float_round_mode_32 0
		.amdhsa_float_round_mode_16_64 0
		.amdhsa_float_denorm_mode_32 3
		.amdhsa_float_denorm_mode_16_64 3
		.amdhsa_dx10_clamp 1
		.amdhsa_ieee_mode 1
		.amdhsa_fp16_overflow 0
		.amdhsa_workgroup_processor_mode 1
		.amdhsa_memory_ordered 1
		.amdhsa_forward_progress 0
		.amdhsa_shared_vgpr_count 0
		.amdhsa_exception_fp_ieee_invalid_op 0
		.amdhsa_exception_fp_denorm_src 0
		.amdhsa_exception_fp_ieee_div_zero 0
		.amdhsa_exception_fp_ieee_overflow 0
		.amdhsa_exception_fp_ieee_underflow 0
		.amdhsa_exception_fp_ieee_inexact 0
		.amdhsa_exception_int_div_zero 0
	.end_amdhsa_kernel
	.section	.text._ZN7rocprim17ROCPRIM_400000_NS6detail17trampoline_kernelINS0_14default_configENS1_29binary_search_config_selectorIsbEEZNS1_14transform_implILb0ES3_S5_N6thrust23THRUST_200600_302600_NS6detail15normal_iteratorINS8_10device_ptrIsEEEENSA_INSB_IbEEEEZNS1_13binary_searchIS3_S5_SD_SD_SF_NS1_16binary_search_opENS9_16wrapped_functionINS0_4lessIvEEbEEEE10hipError_tPvRmT1_T2_T3_mmT4_T5_P12ihipStream_tbEUlRKsE_EESM_SQ_SR_mSS_SV_bEUlT_E_NS1_11comp_targetILNS1_3genE2ELNS1_11target_archE906ELNS1_3gpuE6ELNS1_3repE0EEENS1_30default_config_static_selectorELNS0_4arch9wavefront6targetE0EEEvSP_,"axG",@progbits,_ZN7rocprim17ROCPRIM_400000_NS6detail17trampoline_kernelINS0_14default_configENS1_29binary_search_config_selectorIsbEEZNS1_14transform_implILb0ES3_S5_N6thrust23THRUST_200600_302600_NS6detail15normal_iteratorINS8_10device_ptrIsEEEENSA_INSB_IbEEEEZNS1_13binary_searchIS3_S5_SD_SD_SF_NS1_16binary_search_opENS9_16wrapped_functionINS0_4lessIvEEbEEEE10hipError_tPvRmT1_T2_T3_mmT4_T5_P12ihipStream_tbEUlRKsE_EESM_SQ_SR_mSS_SV_bEUlT_E_NS1_11comp_targetILNS1_3genE2ELNS1_11target_archE906ELNS1_3gpuE6ELNS1_3repE0EEENS1_30default_config_static_selectorELNS0_4arch9wavefront6targetE0EEEvSP_,comdat
.Lfunc_end532:
	.size	_ZN7rocprim17ROCPRIM_400000_NS6detail17trampoline_kernelINS0_14default_configENS1_29binary_search_config_selectorIsbEEZNS1_14transform_implILb0ES3_S5_N6thrust23THRUST_200600_302600_NS6detail15normal_iteratorINS8_10device_ptrIsEEEENSA_INSB_IbEEEEZNS1_13binary_searchIS3_S5_SD_SD_SF_NS1_16binary_search_opENS9_16wrapped_functionINS0_4lessIvEEbEEEE10hipError_tPvRmT1_T2_T3_mmT4_T5_P12ihipStream_tbEUlRKsE_EESM_SQ_SR_mSS_SV_bEUlT_E_NS1_11comp_targetILNS1_3genE2ELNS1_11target_archE906ELNS1_3gpuE6ELNS1_3repE0EEENS1_30default_config_static_selectorELNS0_4arch9wavefront6targetE0EEEvSP_, .Lfunc_end532-_ZN7rocprim17ROCPRIM_400000_NS6detail17trampoline_kernelINS0_14default_configENS1_29binary_search_config_selectorIsbEEZNS1_14transform_implILb0ES3_S5_N6thrust23THRUST_200600_302600_NS6detail15normal_iteratorINS8_10device_ptrIsEEEENSA_INSB_IbEEEEZNS1_13binary_searchIS3_S5_SD_SD_SF_NS1_16binary_search_opENS9_16wrapped_functionINS0_4lessIvEEbEEEE10hipError_tPvRmT1_T2_T3_mmT4_T5_P12ihipStream_tbEUlRKsE_EESM_SQ_SR_mSS_SV_bEUlT_E_NS1_11comp_targetILNS1_3genE2ELNS1_11target_archE906ELNS1_3gpuE6ELNS1_3repE0EEENS1_30default_config_static_selectorELNS0_4arch9wavefront6targetE0EEEvSP_
                                        ; -- End function
	.section	.AMDGPU.csdata,"",@progbits
; Kernel info:
; codeLenInByte = 0
; NumSgprs: 0
; NumVgprs: 0
; ScratchSize: 0
; MemoryBound: 0
; FloatMode: 240
; IeeeMode: 1
; LDSByteSize: 0 bytes/workgroup (compile time only)
; SGPRBlocks: 0
; VGPRBlocks: 0
; NumSGPRsForWavesPerEU: 1
; NumVGPRsForWavesPerEU: 1
; Occupancy: 16
; WaveLimiterHint : 0
; COMPUTE_PGM_RSRC2:SCRATCH_EN: 0
; COMPUTE_PGM_RSRC2:USER_SGPR: 15
; COMPUTE_PGM_RSRC2:TRAP_HANDLER: 0
; COMPUTE_PGM_RSRC2:TGID_X_EN: 1
; COMPUTE_PGM_RSRC2:TGID_Y_EN: 0
; COMPUTE_PGM_RSRC2:TGID_Z_EN: 0
; COMPUTE_PGM_RSRC2:TIDIG_COMP_CNT: 0
	.section	.text._ZN7rocprim17ROCPRIM_400000_NS6detail17trampoline_kernelINS0_14default_configENS1_29binary_search_config_selectorIsbEEZNS1_14transform_implILb0ES3_S5_N6thrust23THRUST_200600_302600_NS6detail15normal_iteratorINS8_10device_ptrIsEEEENSA_INSB_IbEEEEZNS1_13binary_searchIS3_S5_SD_SD_SF_NS1_16binary_search_opENS9_16wrapped_functionINS0_4lessIvEEbEEEE10hipError_tPvRmT1_T2_T3_mmT4_T5_P12ihipStream_tbEUlRKsE_EESM_SQ_SR_mSS_SV_bEUlT_E_NS1_11comp_targetILNS1_3genE10ELNS1_11target_archE1201ELNS1_3gpuE5ELNS1_3repE0EEENS1_30default_config_static_selectorELNS0_4arch9wavefront6targetE0EEEvSP_,"axG",@progbits,_ZN7rocprim17ROCPRIM_400000_NS6detail17trampoline_kernelINS0_14default_configENS1_29binary_search_config_selectorIsbEEZNS1_14transform_implILb0ES3_S5_N6thrust23THRUST_200600_302600_NS6detail15normal_iteratorINS8_10device_ptrIsEEEENSA_INSB_IbEEEEZNS1_13binary_searchIS3_S5_SD_SD_SF_NS1_16binary_search_opENS9_16wrapped_functionINS0_4lessIvEEbEEEE10hipError_tPvRmT1_T2_T3_mmT4_T5_P12ihipStream_tbEUlRKsE_EESM_SQ_SR_mSS_SV_bEUlT_E_NS1_11comp_targetILNS1_3genE10ELNS1_11target_archE1201ELNS1_3gpuE5ELNS1_3repE0EEENS1_30default_config_static_selectorELNS0_4arch9wavefront6targetE0EEEvSP_,comdat
	.protected	_ZN7rocprim17ROCPRIM_400000_NS6detail17trampoline_kernelINS0_14default_configENS1_29binary_search_config_selectorIsbEEZNS1_14transform_implILb0ES3_S5_N6thrust23THRUST_200600_302600_NS6detail15normal_iteratorINS8_10device_ptrIsEEEENSA_INSB_IbEEEEZNS1_13binary_searchIS3_S5_SD_SD_SF_NS1_16binary_search_opENS9_16wrapped_functionINS0_4lessIvEEbEEEE10hipError_tPvRmT1_T2_T3_mmT4_T5_P12ihipStream_tbEUlRKsE_EESM_SQ_SR_mSS_SV_bEUlT_E_NS1_11comp_targetILNS1_3genE10ELNS1_11target_archE1201ELNS1_3gpuE5ELNS1_3repE0EEENS1_30default_config_static_selectorELNS0_4arch9wavefront6targetE0EEEvSP_ ; -- Begin function _ZN7rocprim17ROCPRIM_400000_NS6detail17trampoline_kernelINS0_14default_configENS1_29binary_search_config_selectorIsbEEZNS1_14transform_implILb0ES3_S5_N6thrust23THRUST_200600_302600_NS6detail15normal_iteratorINS8_10device_ptrIsEEEENSA_INSB_IbEEEEZNS1_13binary_searchIS3_S5_SD_SD_SF_NS1_16binary_search_opENS9_16wrapped_functionINS0_4lessIvEEbEEEE10hipError_tPvRmT1_T2_T3_mmT4_T5_P12ihipStream_tbEUlRKsE_EESM_SQ_SR_mSS_SV_bEUlT_E_NS1_11comp_targetILNS1_3genE10ELNS1_11target_archE1201ELNS1_3gpuE5ELNS1_3repE0EEENS1_30default_config_static_selectorELNS0_4arch9wavefront6targetE0EEEvSP_
	.globl	_ZN7rocprim17ROCPRIM_400000_NS6detail17trampoline_kernelINS0_14default_configENS1_29binary_search_config_selectorIsbEEZNS1_14transform_implILb0ES3_S5_N6thrust23THRUST_200600_302600_NS6detail15normal_iteratorINS8_10device_ptrIsEEEENSA_INSB_IbEEEEZNS1_13binary_searchIS3_S5_SD_SD_SF_NS1_16binary_search_opENS9_16wrapped_functionINS0_4lessIvEEbEEEE10hipError_tPvRmT1_T2_T3_mmT4_T5_P12ihipStream_tbEUlRKsE_EESM_SQ_SR_mSS_SV_bEUlT_E_NS1_11comp_targetILNS1_3genE10ELNS1_11target_archE1201ELNS1_3gpuE5ELNS1_3repE0EEENS1_30default_config_static_selectorELNS0_4arch9wavefront6targetE0EEEvSP_
	.p2align	8
	.type	_ZN7rocprim17ROCPRIM_400000_NS6detail17trampoline_kernelINS0_14default_configENS1_29binary_search_config_selectorIsbEEZNS1_14transform_implILb0ES3_S5_N6thrust23THRUST_200600_302600_NS6detail15normal_iteratorINS8_10device_ptrIsEEEENSA_INSB_IbEEEEZNS1_13binary_searchIS3_S5_SD_SD_SF_NS1_16binary_search_opENS9_16wrapped_functionINS0_4lessIvEEbEEEE10hipError_tPvRmT1_T2_T3_mmT4_T5_P12ihipStream_tbEUlRKsE_EESM_SQ_SR_mSS_SV_bEUlT_E_NS1_11comp_targetILNS1_3genE10ELNS1_11target_archE1201ELNS1_3gpuE5ELNS1_3repE0EEENS1_30default_config_static_selectorELNS0_4arch9wavefront6targetE0EEEvSP_,@function
_ZN7rocprim17ROCPRIM_400000_NS6detail17trampoline_kernelINS0_14default_configENS1_29binary_search_config_selectorIsbEEZNS1_14transform_implILb0ES3_S5_N6thrust23THRUST_200600_302600_NS6detail15normal_iteratorINS8_10device_ptrIsEEEENSA_INSB_IbEEEEZNS1_13binary_searchIS3_S5_SD_SD_SF_NS1_16binary_search_opENS9_16wrapped_functionINS0_4lessIvEEbEEEE10hipError_tPvRmT1_T2_T3_mmT4_T5_P12ihipStream_tbEUlRKsE_EESM_SQ_SR_mSS_SV_bEUlT_E_NS1_11comp_targetILNS1_3genE10ELNS1_11target_archE1201ELNS1_3gpuE5ELNS1_3repE0EEENS1_30default_config_static_selectorELNS0_4arch9wavefront6targetE0EEEvSP_: ; @_ZN7rocprim17ROCPRIM_400000_NS6detail17trampoline_kernelINS0_14default_configENS1_29binary_search_config_selectorIsbEEZNS1_14transform_implILb0ES3_S5_N6thrust23THRUST_200600_302600_NS6detail15normal_iteratorINS8_10device_ptrIsEEEENSA_INSB_IbEEEEZNS1_13binary_searchIS3_S5_SD_SD_SF_NS1_16binary_search_opENS9_16wrapped_functionINS0_4lessIvEEbEEEE10hipError_tPvRmT1_T2_T3_mmT4_T5_P12ihipStream_tbEUlRKsE_EESM_SQ_SR_mSS_SV_bEUlT_E_NS1_11comp_targetILNS1_3genE10ELNS1_11target_archE1201ELNS1_3gpuE5ELNS1_3repE0EEENS1_30default_config_static_selectorELNS0_4arch9wavefront6targetE0EEEvSP_
; %bb.0:
	.section	.rodata,"a",@progbits
	.p2align	6, 0x0
	.amdhsa_kernel _ZN7rocprim17ROCPRIM_400000_NS6detail17trampoline_kernelINS0_14default_configENS1_29binary_search_config_selectorIsbEEZNS1_14transform_implILb0ES3_S5_N6thrust23THRUST_200600_302600_NS6detail15normal_iteratorINS8_10device_ptrIsEEEENSA_INSB_IbEEEEZNS1_13binary_searchIS3_S5_SD_SD_SF_NS1_16binary_search_opENS9_16wrapped_functionINS0_4lessIvEEbEEEE10hipError_tPvRmT1_T2_T3_mmT4_T5_P12ihipStream_tbEUlRKsE_EESM_SQ_SR_mSS_SV_bEUlT_E_NS1_11comp_targetILNS1_3genE10ELNS1_11target_archE1201ELNS1_3gpuE5ELNS1_3repE0EEENS1_30default_config_static_selectorELNS0_4arch9wavefront6targetE0EEEvSP_
		.amdhsa_group_segment_fixed_size 0
		.amdhsa_private_segment_fixed_size 0
		.amdhsa_kernarg_size 56
		.amdhsa_user_sgpr_count 15
		.amdhsa_user_sgpr_dispatch_ptr 0
		.amdhsa_user_sgpr_queue_ptr 0
		.amdhsa_user_sgpr_kernarg_segment_ptr 1
		.amdhsa_user_sgpr_dispatch_id 0
		.amdhsa_user_sgpr_private_segment_size 0
		.amdhsa_wavefront_size32 1
		.amdhsa_uses_dynamic_stack 0
		.amdhsa_enable_private_segment 0
		.amdhsa_system_sgpr_workgroup_id_x 1
		.amdhsa_system_sgpr_workgroup_id_y 0
		.amdhsa_system_sgpr_workgroup_id_z 0
		.amdhsa_system_sgpr_workgroup_info 0
		.amdhsa_system_vgpr_workitem_id 0
		.amdhsa_next_free_vgpr 1
		.amdhsa_next_free_sgpr 1
		.amdhsa_reserve_vcc 0
		.amdhsa_float_round_mode_32 0
		.amdhsa_float_round_mode_16_64 0
		.amdhsa_float_denorm_mode_32 3
		.amdhsa_float_denorm_mode_16_64 3
		.amdhsa_dx10_clamp 1
		.amdhsa_ieee_mode 1
		.amdhsa_fp16_overflow 0
		.amdhsa_workgroup_processor_mode 1
		.amdhsa_memory_ordered 1
		.amdhsa_forward_progress 0
		.amdhsa_shared_vgpr_count 0
		.amdhsa_exception_fp_ieee_invalid_op 0
		.amdhsa_exception_fp_denorm_src 0
		.amdhsa_exception_fp_ieee_div_zero 0
		.amdhsa_exception_fp_ieee_overflow 0
		.amdhsa_exception_fp_ieee_underflow 0
		.amdhsa_exception_fp_ieee_inexact 0
		.amdhsa_exception_int_div_zero 0
	.end_amdhsa_kernel
	.section	.text._ZN7rocprim17ROCPRIM_400000_NS6detail17trampoline_kernelINS0_14default_configENS1_29binary_search_config_selectorIsbEEZNS1_14transform_implILb0ES3_S5_N6thrust23THRUST_200600_302600_NS6detail15normal_iteratorINS8_10device_ptrIsEEEENSA_INSB_IbEEEEZNS1_13binary_searchIS3_S5_SD_SD_SF_NS1_16binary_search_opENS9_16wrapped_functionINS0_4lessIvEEbEEEE10hipError_tPvRmT1_T2_T3_mmT4_T5_P12ihipStream_tbEUlRKsE_EESM_SQ_SR_mSS_SV_bEUlT_E_NS1_11comp_targetILNS1_3genE10ELNS1_11target_archE1201ELNS1_3gpuE5ELNS1_3repE0EEENS1_30default_config_static_selectorELNS0_4arch9wavefront6targetE0EEEvSP_,"axG",@progbits,_ZN7rocprim17ROCPRIM_400000_NS6detail17trampoline_kernelINS0_14default_configENS1_29binary_search_config_selectorIsbEEZNS1_14transform_implILb0ES3_S5_N6thrust23THRUST_200600_302600_NS6detail15normal_iteratorINS8_10device_ptrIsEEEENSA_INSB_IbEEEEZNS1_13binary_searchIS3_S5_SD_SD_SF_NS1_16binary_search_opENS9_16wrapped_functionINS0_4lessIvEEbEEEE10hipError_tPvRmT1_T2_T3_mmT4_T5_P12ihipStream_tbEUlRKsE_EESM_SQ_SR_mSS_SV_bEUlT_E_NS1_11comp_targetILNS1_3genE10ELNS1_11target_archE1201ELNS1_3gpuE5ELNS1_3repE0EEENS1_30default_config_static_selectorELNS0_4arch9wavefront6targetE0EEEvSP_,comdat
.Lfunc_end533:
	.size	_ZN7rocprim17ROCPRIM_400000_NS6detail17trampoline_kernelINS0_14default_configENS1_29binary_search_config_selectorIsbEEZNS1_14transform_implILb0ES3_S5_N6thrust23THRUST_200600_302600_NS6detail15normal_iteratorINS8_10device_ptrIsEEEENSA_INSB_IbEEEEZNS1_13binary_searchIS3_S5_SD_SD_SF_NS1_16binary_search_opENS9_16wrapped_functionINS0_4lessIvEEbEEEE10hipError_tPvRmT1_T2_T3_mmT4_T5_P12ihipStream_tbEUlRKsE_EESM_SQ_SR_mSS_SV_bEUlT_E_NS1_11comp_targetILNS1_3genE10ELNS1_11target_archE1201ELNS1_3gpuE5ELNS1_3repE0EEENS1_30default_config_static_selectorELNS0_4arch9wavefront6targetE0EEEvSP_, .Lfunc_end533-_ZN7rocprim17ROCPRIM_400000_NS6detail17trampoline_kernelINS0_14default_configENS1_29binary_search_config_selectorIsbEEZNS1_14transform_implILb0ES3_S5_N6thrust23THRUST_200600_302600_NS6detail15normal_iteratorINS8_10device_ptrIsEEEENSA_INSB_IbEEEEZNS1_13binary_searchIS3_S5_SD_SD_SF_NS1_16binary_search_opENS9_16wrapped_functionINS0_4lessIvEEbEEEE10hipError_tPvRmT1_T2_T3_mmT4_T5_P12ihipStream_tbEUlRKsE_EESM_SQ_SR_mSS_SV_bEUlT_E_NS1_11comp_targetILNS1_3genE10ELNS1_11target_archE1201ELNS1_3gpuE5ELNS1_3repE0EEENS1_30default_config_static_selectorELNS0_4arch9wavefront6targetE0EEEvSP_
                                        ; -- End function
	.section	.AMDGPU.csdata,"",@progbits
; Kernel info:
; codeLenInByte = 0
; NumSgprs: 0
; NumVgprs: 0
; ScratchSize: 0
; MemoryBound: 0
; FloatMode: 240
; IeeeMode: 1
; LDSByteSize: 0 bytes/workgroup (compile time only)
; SGPRBlocks: 0
; VGPRBlocks: 0
; NumSGPRsForWavesPerEU: 1
; NumVGPRsForWavesPerEU: 1
; Occupancy: 16
; WaveLimiterHint : 0
; COMPUTE_PGM_RSRC2:SCRATCH_EN: 0
; COMPUTE_PGM_RSRC2:USER_SGPR: 15
; COMPUTE_PGM_RSRC2:TRAP_HANDLER: 0
; COMPUTE_PGM_RSRC2:TGID_X_EN: 1
; COMPUTE_PGM_RSRC2:TGID_Y_EN: 0
; COMPUTE_PGM_RSRC2:TGID_Z_EN: 0
; COMPUTE_PGM_RSRC2:TIDIG_COMP_CNT: 0
	.section	.text._ZN7rocprim17ROCPRIM_400000_NS6detail17trampoline_kernelINS0_14default_configENS1_29binary_search_config_selectorIsbEEZNS1_14transform_implILb0ES3_S5_N6thrust23THRUST_200600_302600_NS6detail15normal_iteratorINS8_10device_ptrIsEEEENSA_INSB_IbEEEEZNS1_13binary_searchIS3_S5_SD_SD_SF_NS1_16binary_search_opENS9_16wrapped_functionINS0_4lessIvEEbEEEE10hipError_tPvRmT1_T2_T3_mmT4_T5_P12ihipStream_tbEUlRKsE_EESM_SQ_SR_mSS_SV_bEUlT_E_NS1_11comp_targetILNS1_3genE10ELNS1_11target_archE1200ELNS1_3gpuE4ELNS1_3repE0EEENS1_30default_config_static_selectorELNS0_4arch9wavefront6targetE0EEEvSP_,"axG",@progbits,_ZN7rocprim17ROCPRIM_400000_NS6detail17trampoline_kernelINS0_14default_configENS1_29binary_search_config_selectorIsbEEZNS1_14transform_implILb0ES3_S5_N6thrust23THRUST_200600_302600_NS6detail15normal_iteratorINS8_10device_ptrIsEEEENSA_INSB_IbEEEEZNS1_13binary_searchIS3_S5_SD_SD_SF_NS1_16binary_search_opENS9_16wrapped_functionINS0_4lessIvEEbEEEE10hipError_tPvRmT1_T2_T3_mmT4_T5_P12ihipStream_tbEUlRKsE_EESM_SQ_SR_mSS_SV_bEUlT_E_NS1_11comp_targetILNS1_3genE10ELNS1_11target_archE1200ELNS1_3gpuE4ELNS1_3repE0EEENS1_30default_config_static_selectorELNS0_4arch9wavefront6targetE0EEEvSP_,comdat
	.protected	_ZN7rocprim17ROCPRIM_400000_NS6detail17trampoline_kernelINS0_14default_configENS1_29binary_search_config_selectorIsbEEZNS1_14transform_implILb0ES3_S5_N6thrust23THRUST_200600_302600_NS6detail15normal_iteratorINS8_10device_ptrIsEEEENSA_INSB_IbEEEEZNS1_13binary_searchIS3_S5_SD_SD_SF_NS1_16binary_search_opENS9_16wrapped_functionINS0_4lessIvEEbEEEE10hipError_tPvRmT1_T2_T3_mmT4_T5_P12ihipStream_tbEUlRKsE_EESM_SQ_SR_mSS_SV_bEUlT_E_NS1_11comp_targetILNS1_3genE10ELNS1_11target_archE1200ELNS1_3gpuE4ELNS1_3repE0EEENS1_30default_config_static_selectorELNS0_4arch9wavefront6targetE0EEEvSP_ ; -- Begin function _ZN7rocprim17ROCPRIM_400000_NS6detail17trampoline_kernelINS0_14default_configENS1_29binary_search_config_selectorIsbEEZNS1_14transform_implILb0ES3_S5_N6thrust23THRUST_200600_302600_NS6detail15normal_iteratorINS8_10device_ptrIsEEEENSA_INSB_IbEEEEZNS1_13binary_searchIS3_S5_SD_SD_SF_NS1_16binary_search_opENS9_16wrapped_functionINS0_4lessIvEEbEEEE10hipError_tPvRmT1_T2_T3_mmT4_T5_P12ihipStream_tbEUlRKsE_EESM_SQ_SR_mSS_SV_bEUlT_E_NS1_11comp_targetILNS1_3genE10ELNS1_11target_archE1200ELNS1_3gpuE4ELNS1_3repE0EEENS1_30default_config_static_selectorELNS0_4arch9wavefront6targetE0EEEvSP_
	.globl	_ZN7rocprim17ROCPRIM_400000_NS6detail17trampoline_kernelINS0_14default_configENS1_29binary_search_config_selectorIsbEEZNS1_14transform_implILb0ES3_S5_N6thrust23THRUST_200600_302600_NS6detail15normal_iteratorINS8_10device_ptrIsEEEENSA_INSB_IbEEEEZNS1_13binary_searchIS3_S5_SD_SD_SF_NS1_16binary_search_opENS9_16wrapped_functionINS0_4lessIvEEbEEEE10hipError_tPvRmT1_T2_T3_mmT4_T5_P12ihipStream_tbEUlRKsE_EESM_SQ_SR_mSS_SV_bEUlT_E_NS1_11comp_targetILNS1_3genE10ELNS1_11target_archE1200ELNS1_3gpuE4ELNS1_3repE0EEENS1_30default_config_static_selectorELNS0_4arch9wavefront6targetE0EEEvSP_
	.p2align	8
	.type	_ZN7rocprim17ROCPRIM_400000_NS6detail17trampoline_kernelINS0_14default_configENS1_29binary_search_config_selectorIsbEEZNS1_14transform_implILb0ES3_S5_N6thrust23THRUST_200600_302600_NS6detail15normal_iteratorINS8_10device_ptrIsEEEENSA_INSB_IbEEEEZNS1_13binary_searchIS3_S5_SD_SD_SF_NS1_16binary_search_opENS9_16wrapped_functionINS0_4lessIvEEbEEEE10hipError_tPvRmT1_T2_T3_mmT4_T5_P12ihipStream_tbEUlRKsE_EESM_SQ_SR_mSS_SV_bEUlT_E_NS1_11comp_targetILNS1_3genE10ELNS1_11target_archE1200ELNS1_3gpuE4ELNS1_3repE0EEENS1_30default_config_static_selectorELNS0_4arch9wavefront6targetE0EEEvSP_,@function
_ZN7rocprim17ROCPRIM_400000_NS6detail17trampoline_kernelINS0_14default_configENS1_29binary_search_config_selectorIsbEEZNS1_14transform_implILb0ES3_S5_N6thrust23THRUST_200600_302600_NS6detail15normal_iteratorINS8_10device_ptrIsEEEENSA_INSB_IbEEEEZNS1_13binary_searchIS3_S5_SD_SD_SF_NS1_16binary_search_opENS9_16wrapped_functionINS0_4lessIvEEbEEEE10hipError_tPvRmT1_T2_T3_mmT4_T5_P12ihipStream_tbEUlRKsE_EESM_SQ_SR_mSS_SV_bEUlT_E_NS1_11comp_targetILNS1_3genE10ELNS1_11target_archE1200ELNS1_3gpuE4ELNS1_3repE0EEENS1_30default_config_static_selectorELNS0_4arch9wavefront6targetE0EEEvSP_: ; @_ZN7rocprim17ROCPRIM_400000_NS6detail17trampoline_kernelINS0_14default_configENS1_29binary_search_config_selectorIsbEEZNS1_14transform_implILb0ES3_S5_N6thrust23THRUST_200600_302600_NS6detail15normal_iteratorINS8_10device_ptrIsEEEENSA_INSB_IbEEEEZNS1_13binary_searchIS3_S5_SD_SD_SF_NS1_16binary_search_opENS9_16wrapped_functionINS0_4lessIvEEbEEEE10hipError_tPvRmT1_T2_T3_mmT4_T5_P12ihipStream_tbEUlRKsE_EESM_SQ_SR_mSS_SV_bEUlT_E_NS1_11comp_targetILNS1_3genE10ELNS1_11target_archE1200ELNS1_3gpuE4ELNS1_3repE0EEENS1_30default_config_static_selectorELNS0_4arch9wavefront6targetE0EEEvSP_
; %bb.0:
	.section	.rodata,"a",@progbits
	.p2align	6, 0x0
	.amdhsa_kernel _ZN7rocprim17ROCPRIM_400000_NS6detail17trampoline_kernelINS0_14default_configENS1_29binary_search_config_selectorIsbEEZNS1_14transform_implILb0ES3_S5_N6thrust23THRUST_200600_302600_NS6detail15normal_iteratorINS8_10device_ptrIsEEEENSA_INSB_IbEEEEZNS1_13binary_searchIS3_S5_SD_SD_SF_NS1_16binary_search_opENS9_16wrapped_functionINS0_4lessIvEEbEEEE10hipError_tPvRmT1_T2_T3_mmT4_T5_P12ihipStream_tbEUlRKsE_EESM_SQ_SR_mSS_SV_bEUlT_E_NS1_11comp_targetILNS1_3genE10ELNS1_11target_archE1200ELNS1_3gpuE4ELNS1_3repE0EEENS1_30default_config_static_selectorELNS0_4arch9wavefront6targetE0EEEvSP_
		.amdhsa_group_segment_fixed_size 0
		.amdhsa_private_segment_fixed_size 0
		.amdhsa_kernarg_size 56
		.amdhsa_user_sgpr_count 15
		.amdhsa_user_sgpr_dispatch_ptr 0
		.amdhsa_user_sgpr_queue_ptr 0
		.amdhsa_user_sgpr_kernarg_segment_ptr 1
		.amdhsa_user_sgpr_dispatch_id 0
		.amdhsa_user_sgpr_private_segment_size 0
		.amdhsa_wavefront_size32 1
		.amdhsa_uses_dynamic_stack 0
		.amdhsa_enable_private_segment 0
		.amdhsa_system_sgpr_workgroup_id_x 1
		.amdhsa_system_sgpr_workgroup_id_y 0
		.amdhsa_system_sgpr_workgroup_id_z 0
		.amdhsa_system_sgpr_workgroup_info 0
		.amdhsa_system_vgpr_workitem_id 0
		.amdhsa_next_free_vgpr 1
		.amdhsa_next_free_sgpr 1
		.amdhsa_reserve_vcc 0
		.amdhsa_float_round_mode_32 0
		.amdhsa_float_round_mode_16_64 0
		.amdhsa_float_denorm_mode_32 3
		.amdhsa_float_denorm_mode_16_64 3
		.amdhsa_dx10_clamp 1
		.amdhsa_ieee_mode 1
		.amdhsa_fp16_overflow 0
		.amdhsa_workgroup_processor_mode 1
		.amdhsa_memory_ordered 1
		.amdhsa_forward_progress 0
		.amdhsa_shared_vgpr_count 0
		.amdhsa_exception_fp_ieee_invalid_op 0
		.amdhsa_exception_fp_denorm_src 0
		.amdhsa_exception_fp_ieee_div_zero 0
		.amdhsa_exception_fp_ieee_overflow 0
		.amdhsa_exception_fp_ieee_underflow 0
		.amdhsa_exception_fp_ieee_inexact 0
		.amdhsa_exception_int_div_zero 0
	.end_amdhsa_kernel
	.section	.text._ZN7rocprim17ROCPRIM_400000_NS6detail17trampoline_kernelINS0_14default_configENS1_29binary_search_config_selectorIsbEEZNS1_14transform_implILb0ES3_S5_N6thrust23THRUST_200600_302600_NS6detail15normal_iteratorINS8_10device_ptrIsEEEENSA_INSB_IbEEEEZNS1_13binary_searchIS3_S5_SD_SD_SF_NS1_16binary_search_opENS9_16wrapped_functionINS0_4lessIvEEbEEEE10hipError_tPvRmT1_T2_T3_mmT4_T5_P12ihipStream_tbEUlRKsE_EESM_SQ_SR_mSS_SV_bEUlT_E_NS1_11comp_targetILNS1_3genE10ELNS1_11target_archE1200ELNS1_3gpuE4ELNS1_3repE0EEENS1_30default_config_static_selectorELNS0_4arch9wavefront6targetE0EEEvSP_,"axG",@progbits,_ZN7rocprim17ROCPRIM_400000_NS6detail17trampoline_kernelINS0_14default_configENS1_29binary_search_config_selectorIsbEEZNS1_14transform_implILb0ES3_S5_N6thrust23THRUST_200600_302600_NS6detail15normal_iteratorINS8_10device_ptrIsEEEENSA_INSB_IbEEEEZNS1_13binary_searchIS3_S5_SD_SD_SF_NS1_16binary_search_opENS9_16wrapped_functionINS0_4lessIvEEbEEEE10hipError_tPvRmT1_T2_T3_mmT4_T5_P12ihipStream_tbEUlRKsE_EESM_SQ_SR_mSS_SV_bEUlT_E_NS1_11comp_targetILNS1_3genE10ELNS1_11target_archE1200ELNS1_3gpuE4ELNS1_3repE0EEENS1_30default_config_static_selectorELNS0_4arch9wavefront6targetE0EEEvSP_,comdat
.Lfunc_end534:
	.size	_ZN7rocprim17ROCPRIM_400000_NS6detail17trampoline_kernelINS0_14default_configENS1_29binary_search_config_selectorIsbEEZNS1_14transform_implILb0ES3_S5_N6thrust23THRUST_200600_302600_NS6detail15normal_iteratorINS8_10device_ptrIsEEEENSA_INSB_IbEEEEZNS1_13binary_searchIS3_S5_SD_SD_SF_NS1_16binary_search_opENS9_16wrapped_functionINS0_4lessIvEEbEEEE10hipError_tPvRmT1_T2_T3_mmT4_T5_P12ihipStream_tbEUlRKsE_EESM_SQ_SR_mSS_SV_bEUlT_E_NS1_11comp_targetILNS1_3genE10ELNS1_11target_archE1200ELNS1_3gpuE4ELNS1_3repE0EEENS1_30default_config_static_selectorELNS0_4arch9wavefront6targetE0EEEvSP_, .Lfunc_end534-_ZN7rocprim17ROCPRIM_400000_NS6detail17trampoline_kernelINS0_14default_configENS1_29binary_search_config_selectorIsbEEZNS1_14transform_implILb0ES3_S5_N6thrust23THRUST_200600_302600_NS6detail15normal_iteratorINS8_10device_ptrIsEEEENSA_INSB_IbEEEEZNS1_13binary_searchIS3_S5_SD_SD_SF_NS1_16binary_search_opENS9_16wrapped_functionINS0_4lessIvEEbEEEE10hipError_tPvRmT1_T2_T3_mmT4_T5_P12ihipStream_tbEUlRKsE_EESM_SQ_SR_mSS_SV_bEUlT_E_NS1_11comp_targetILNS1_3genE10ELNS1_11target_archE1200ELNS1_3gpuE4ELNS1_3repE0EEENS1_30default_config_static_selectorELNS0_4arch9wavefront6targetE0EEEvSP_
                                        ; -- End function
	.section	.AMDGPU.csdata,"",@progbits
; Kernel info:
; codeLenInByte = 0
; NumSgprs: 0
; NumVgprs: 0
; ScratchSize: 0
; MemoryBound: 0
; FloatMode: 240
; IeeeMode: 1
; LDSByteSize: 0 bytes/workgroup (compile time only)
; SGPRBlocks: 0
; VGPRBlocks: 0
; NumSGPRsForWavesPerEU: 1
; NumVGPRsForWavesPerEU: 1
; Occupancy: 16
; WaveLimiterHint : 0
; COMPUTE_PGM_RSRC2:SCRATCH_EN: 0
; COMPUTE_PGM_RSRC2:USER_SGPR: 15
; COMPUTE_PGM_RSRC2:TRAP_HANDLER: 0
; COMPUTE_PGM_RSRC2:TGID_X_EN: 1
; COMPUTE_PGM_RSRC2:TGID_Y_EN: 0
; COMPUTE_PGM_RSRC2:TGID_Z_EN: 0
; COMPUTE_PGM_RSRC2:TIDIG_COMP_CNT: 0
	.section	.text._ZN7rocprim17ROCPRIM_400000_NS6detail17trampoline_kernelINS0_14default_configENS1_29binary_search_config_selectorIsbEEZNS1_14transform_implILb0ES3_S5_N6thrust23THRUST_200600_302600_NS6detail15normal_iteratorINS8_10device_ptrIsEEEENSA_INSB_IbEEEEZNS1_13binary_searchIS3_S5_SD_SD_SF_NS1_16binary_search_opENS9_16wrapped_functionINS0_4lessIvEEbEEEE10hipError_tPvRmT1_T2_T3_mmT4_T5_P12ihipStream_tbEUlRKsE_EESM_SQ_SR_mSS_SV_bEUlT_E_NS1_11comp_targetILNS1_3genE9ELNS1_11target_archE1100ELNS1_3gpuE3ELNS1_3repE0EEENS1_30default_config_static_selectorELNS0_4arch9wavefront6targetE0EEEvSP_,"axG",@progbits,_ZN7rocprim17ROCPRIM_400000_NS6detail17trampoline_kernelINS0_14default_configENS1_29binary_search_config_selectorIsbEEZNS1_14transform_implILb0ES3_S5_N6thrust23THRUST_200600_302600_NS6detail15normal_iteratorINS8_10device_ptrIsEEEENSA_INSB_IbEEEEZNS1_13binary_searchIS3_S5_SD_SD_SF_NS1_16binary_search_opENS9_16wrapped_functionINS0_4lessIvEEbEEEE10hipError_tPvRmT1_T2_T3_mmT4_T5_P12ihipStream_tbEUlRKsE_EESM_SQ_SR_mSS_SV_bEUlT_E_NS1_11comp_targetILNS1_3genE9ELNS1_11target_archE1100ELNS1_3gpuE3ELNS1_3repE0EEENS1_30default_config_static_selectorELNS0_4arch9wavefront6targetE0EEEvSP_,comdat
	.protected	_ZN7rocprim17ROCPRIM_400000_NS6detail17trampoline_kernelINS0_14default_configENS1_29binary_search_config_selectorIsbEEZNS1_14transform_implILb0ES3_S5_N6thrust23THRUST_200600_302600_NS6detail15normal_iteratorINS8_10device_ptrIsEEEENSA_INSB_IbEEEEZNS1_13binary_searchIS3_S5_SD_SD_SF_NS1_16binary_search_opENS9_16wrapped_functionINS0_4lessIvEEbEEEE10hipError_tPvRmT1_T2_T3_mmT4_T5_P12ihipStream_tbEUlRKsE_EESM_SQ_SR_mSS_SV_bEUlT_E_NS1_11comp_targetILNS1_3genE9ELNS1_11target_archE1100ELNS1_3gpuE3ELNS1_3repE0EEENS1_30default_config_static_selectorELNS0_4arch9wavefront6targetE0EEEvSP_ ; -- Begin function _ZN7rocprim17ROCPRIM_400000_NS6detail17trampoline_kernelINS0_14default_configENS1_29binary_search_config_selectorIsbEEZNS1_14transform_implILb0ES3_S5_N6thrust23THRUST_200600_302600_NS6detail15normal_iteratorINS8_10device_ptrIsEEEENSA_INSB_IbEEEEZNS1_13binary_searchIS3_S5_SD_SD_SF_NS1_16binary_search_opENS9_16wrapped_functionINS0_4lessIvEEbEEEE10hipError_tPvRmT1_T2_T3_mmT4_T5_P12ihipStream_tbEUlRKsE_EESM_SQ_SR_mSS_SV_bEUlT_E_NS1_11comp_targetILNS1_3genE9ELNS1_11target_archE1100ELNS1_3gpuE3ELNS1_3repE0EEENS1_30default_config_static_selectorELNS0_4arch9wavefront6targetE0EEEvSP_
	.globl	_ZN7rocprim17ROCPRIM_400000_NS6detail17trampoline_kernelINS0_14default_configENS1_29binary_search_config_selectorIsbEEZNS1_14transform_implILb0ES3_S5_N6thrust23THRUST_200600_302600_NS6detail15normal_iteratorINS8_10device_ptrIsEEEENSA_INSB_IbEEEEZNS1_13binary_searchIS3_S5_SD_SD_SF_NS1_16binary_search_opENS9_16wrapped_functionINS0_4lessIvEEbEEEE10hipError_tPvRmT1_T2_T3_mmT4_T5_P12ihipStream_tbEUlRKsE_EESM_SQ_SR_mSS_SV_bEUlT_E_NS1_11comp_targetILNS1_3genE9ELNS1_11target_archE1100ELNS1_3gpuE3ELNS1_3repE0EEENS1_30default_config_static_selectorELNS0_4arch9wavefront6targetE0EEEvSP_
	.p2align	8
	.type	_ZN7rocprim17ROCPRIM_400000_NS6detail17trampoline_kernelINS0_14default_configENS1_29binary_search_config_selectorIsbEEZNS1_14transform_implILb0ES3_S5_N6thrust23THRUST_200600_302600_NS6detail15normal_iteratorINS8_10device_ptrIsEEEENSA_INSB_IbEEEEZNS1_13binary_searchIS3_S5_SD_SD_SF_NS1_16binary_search_opENS9_16wrapped_functionINS0_4lessIvEEbEEEE10hipError_tPvRmT1_T2_T3_mmT4_T5_P12ihipStream_tbEUlRKsE_EESM_SQ_SR_mSS_SV_bEUlT_E_NS1_11comp_targetILNS1_3genE9ELNS1_11target_archE1100ELNS1_3gpuE3ELNS1_3repE0EEENS1_30default_config_static_selectorELNS0_4arch9wavefront6targetE0EEEvSP_,@function
_ZN7rocprim17ROCPRIM_400000_NS6detail17trampoline_kernelINS0_14default_configENS1_29binary_search_config_selectorIsbEEZNS1_14transform_implILb0ES3_S5_N6thrust23THRUST_200600_302600_NS6detail15normal_iteratorINS8_10device_ptrIsEEEENSA_INSB_IbEEEEZNS1_13binary_searchIS3_S5_SD_SD_SF_NS1_16binary_search_opENS9_16wrapped_functionINS0_4lessIvEEbEEEE10hipError_tPvRmT1_T2_T3_mmT4_T5_P12ihipStream_tbEUlRKsE_EESM_SQ_SR_mSS_SV_bEUlT_E_NS1_11comp_targetILNS1_3genE9ELNS1_11target_archE1100ELNS1_3gpuE3ELNS1_3repE0EEENS1_30default_config_static_selectorELNS0_4arch9wavefront6targetE0EEEvSP_: ; @_ZN7rocprim17ROCPRIM_400000_NS6detail17trampoline_kernelINS0_14default_configENS1_29binary_search_config_selectorIsbEEZNS1_14transform_implILb0ES3_S5_N6thrust23THRUST_200600_302600_NS6detail15normal_iteratorINS8_10device_ptrIsEEEENSA_INSB_IbEEEEZNS1_13binary_searchIS3_S5_SD_SD_SF_NS1_16binary_search_opENS9_16wrapped_functionINS0_4lessIvEEbEEEE10hipError_tPvRmT1_T2_T3_mmT4_T5_P12ihipStream_tbEUlRKsE_EESM_SQ_SR_mSS_SV_bEUlT_E_NS1_11comp_targetILNS1_3genE9ELNS1_11target_archE1100ELNS1_3gpuE3ELNS1_3repE0EEENS1_30default_config_static_selectorELNS0_4arch9wavefront6targetE0EEEvSP_
; %bb.0:
	s_clause 0x2
	s_load_b256 s[4:11], s[0:1], 0x0
	s_load_b32 s2, s[0:1], 0x38
	s_load_b128 s[16:19], s[0:1], 0x20
	s_waitcnt lgkmcnt(0)
	s_lshl_b64 s[0:1], s[6:7], 1
	s_delay_alu instid0(SALU_CYCLE_1)
	s_add_u32 s3, s4, s0
	s_addc_u32 s4, s5, s1
	s_add_u32 s9, s10, s6
	s_addc_u32 s12, s11, s7
	s_lshl_b32 s10, s15, 9
	s_mov_b32 s11, 0
	s_add_i32 s2, s2, -1
	s_lshl_b64 s[0:1], s[10:11], 1
	s_mov_b32 s7, -1
	s_add_u32 s13, s3, s0
	s_addc_u32 s14, s4, s1
	s_cmp_lg_u32 s15, s2
	s_cbranch_scc0 .LBB535_50
; %bb.1:
	v_lshlrev_b32_e32 v1, 1, v0
	s_cmp_lg_u64 s[18:19], 0
	s_cselect_b32 s1, -1, 0
	s_cmp_eq_u64 s[18:19], 0
	s_delay_alu instid0(VALU_DEP_1) | instskip(NEXT) | instid1(VALU_DEP_1)
	v_add_co_u32 v1, s0, s13, v1
	v_add_co_ci_u32_e64 v2, null, s14, 0, s0
	s_mov_b32 s0, 0
	s_clause 0x7
	flat_load_u16 v7, v[1:2]
	flat_load_u16 v12, v[1:2] offset:128
	flat_load_u16 v11, v[1:2] offset:256
	;; [unrolled: 1-line block ×7, first 2 shown]
	v_mov_b32_e32 v1, 0
	v_mov_b32_e32 v2, 0
	s_cbranch_scc1 .LBB535_5
; %bb.2:
	v_mov_b32_e32 v1, 0
	v_dual_mov_b32 v2, 0 :: v_dual_mov_b32 v3, s18
	v_mov_b32_e32 v4, s19
	.p2align	6
.LBB535_3:                              ; =>This Inner Loop Header: Depth=1
	s_delay_alu instid0(VALU_DEP_2) | instskip(NEXT) | instid1(VALU_DEP_2)
	v_sub_co_u32 v13, vcc_lo, v3, v1
	v_sub_co_ci_u32_e32 v14, vcc_lo, v4, v2, vcc_lo
	s_delay_alu instid0(VALU_DEP_1) | instskip(SKIP_1) | instid1(VALU_DEP_2)
	v_lshrrev_b64 v[15:16], 1, v[13:14]
	v_lshrrev_b64 v[13:14], 6, v[13:14]
	v_add_co_u32 v15, vcc_lo, v15, v1
	s_delay_alu instid0(VALU_DEP_3) | instskip(NEXT) | instid1(VALU_DEP_2)
	v_add_co_ci_u32_e32 v16, vcc_lo, v16, v2, vcc_lo
	v_add_co_u32 v13, vcc_lo, v15, v13
	s_delay_alu instid0(VALU_DEP_2) | instskip(NEXT) | instid1(VALU_DEP_1)
	v_add_co_ci_u32_e32 v14, vcc_lo, v16, v14, vcc_lo
	v_lshlrev_b64 v[15:16], 1, v[13:14]
	s_delay_alu instid0(VALU_DEP_1) | instskip(NEXT) | instid1(VALU_DEP_2)
	v_add_co_u32 v15, vcc_lo, s16, v15
	v_add_co_ci_u32_e32 v16, vcc_lo, s17, v16, vcc_lo
	global_load_u16 v15, v[15:16], off
	v_add_co_u32 v16, vcc_lo, v13, 1
	v_add_co_ci_u32_e32 v17, vcc_lo, 0, v14, vcc_lo
	s_waitcnt vmcnt(0) lgkmcnt(7)
	v_cmp_lt_i16_e32 vcc_lo, v15, v7
	v_dual_cndmask_b32 v4, v14, v4 :: v_dual_cndmask_b32 v3, v13, v3
	s_delay_alu instid0(VALU_DEP_3) | instskip(NEXT) | instid1(VALU_DEP_1)
	v_dual_cndmask_b32 v2, v2, v17 :: v_dual_cndmask_b32 v1, v1, v16
	v_cmp_ge_u64_e32 vcc_lo, v[1:2], v[3:4]
	s_or_b32 s0, vcc_lo, s0
	s_delay_alu instid0(SALU_CYCLE_1)
	s_and_not1_b32 exec_lo, exec_lo, s0
	s_cbranch_execnz .LBB535_3
; %bb.4:
	s_or_b32 exec_lo, exec_lo, s0
.LBB535_5:
	s_mov_b32 s0, 0
	s_mov_b32 s2, exec_lo
	s_delay_alu instid0(VALU_DEP_1)
	v_cmpx_ne_u64_e64 s[18:19], v[1:2]
	s_cbranch_execz .LBB535_7
; %bb.6:
	v_lshlrev_b64 v[1:2], 1, v[1:2]
	s_delay_alu instid0(VALU_DEP_1) | instskip(NEXT) | instid1(VALU_DEP_2)
	v_add_co_u32 v1, vcc_lo, s16, v1
	v_add_co_ci_u32_e32 v2, vcc_lo, s17, v2, vcc_lo
	global_load_u16 v1, v[1:2], off
	s_waitcnt vmcnt(0) lgkmcnt(7)
	v_cmp_le_i16_e32 vcc_lo, v1, v7
	s_and_b32 s0, vcc_lo, exec_lo
.LBB535_7:
	s_or_b32 exec_lo, exec_lo, s2
	v_mov_b32_e32 v1, 0
	s_waitcnt vmcnt(7) lgkmcnt(7)
	v_cndmask_b32_e64 v7, 0, 1, s1
	v_mov_b32_e32 v2, 0
	s_and_not1_b32 vcc_lo, exec_lo, s1
	s_cbranch_vccnz .LBB535_11
; %bb.8:
	v_dual_mov_b32 v3, s18 :: v_dual_mov_b32 v4, s19
	s_mov_b32 s1, 0
	.p2align	6
.LBB535_9:                              ; =>This Inner Loop Header: Depth=1
	s_delay_alu instid0(VALU_DEP_1) | instskip(NEXT) | instid1(VALU_DEP_2)
	v_sub_co_u32 v13, vcc_lo, v3, v1
	v_sub_co_ci_u32_e32 v14, vcc_lo, v4, v2, vcc_lo
	s_delay_alu instid0(VALU_DEP_1) | instskip(SKIP_1) | instid1(VALU_DEP_2)
	v_lshrrev_b64 v[15:16], 1, v[13:14]
	v_lshrrev_b64 v[13:14], 6, v[13:14]
	v_add_co_u32 v15, vcc_lo, v15, v1
	s_delay_alu instid0(VALU_DEP_3) | instskip(NEXT) | instid1(VALU_DEP_2)
	v_add_co_ci_u32_e32 v16, vcc_lo, v16, v2, vcc_lo
	v_add_co_u32 v13, vcc_lo, v15, v13
	s_delay_alu instid0(VALU_DEP_2) | instskip(NEXT) | instid1(VALU_DEP_1)
	v_add_co_ci_u32_e32 v14, vcc_lo, v16, v14, vcc_lo
	v_lshlrev_b64 v[15:16], 1, v[13:14]
	s_delay_alu instid0(VALU_DEP_1) | instskip(NEXT) | instid1(VALU_DEP_2)
	v_add_co_u32 v15, vcc_lo, s16, v15
	v_add_co_ci_u32_e32 v16, vcc_lo, s17, v16, vcc_lo
	global_load_u16 v15, v[15:16], off
	v_add_co_u32 v16, vcc_lo, v13, 1
	v_add_co_ci_u32_e32 v17, vcc_lo, 0, v14, vcc_lo
	s_waitcnt vmcnt(0) lgkmcnt(6)
	v_cmp_lt_i16_e32 vcc_lo, v15, v12
	v_dual_cndmask_b32 v4, v14, v4 :: v_dual_cndmask_b32 v3, v13, v3
	s_delay_alu instid0(VALU_DEP_3) | instskip(NEXT) | instid1(VALU_DEP_1)
	v_dual_cndmask_b32 v2, v2, v17 :: v_dual_cndmask_b32 v1, v1, v16
	v_cmp_ge_u64_e32 vcc_lo, v[1:2], v[3:4]
	s_or_b32 s1, vcc_lo, s1
	s_delay_alu instid0(SALU_CYCLE_1)
	s_and_not1_b32 exec_lo, exec_lo, s1
	s_cbranch_execnz .LBB535_9
; %bb.10:
	s_or_b32 exec_lo, exec_lo, s1
.LBB535_11:
	s_mov_b32 s1, 0
	s_mov_b32 s2, exec_lo
	v_cmpx_ne_u64_e64 s[18:19], v[1:2]
	s_cbranch_execz .LBB535_13
; %bb.12:
	v_lshlrev_b64 v[1:2], 1, v[1:2]
	s_delay_alu instid0(VALU_DEP_1) | instskip(NEXT) | instid1(VALU_DEP_2)
	v_add_co_u32 v1, vcc_lo, s16, v1
	v_add_co_ci_u32_e32 v2, vcc_lo, s17, v2, vcc_lo
	global_load_u16 v1, v[1:2], off
	s_waitcnt vmcnt(0) lgkmcnt(6)
	v_cmp_le_i16_e32 vcc_lo, v1, v12
	s_and_b32 s1, vcc_lo, exec_lo
.LBB535_13:
	s_or_b32 exec_lo, exec_lo, s2
	v_cmp_ne_u32_e32 vcc_lo, 1, v7
	v_mov_b32_e32 v1, 0
	v_mov_b32_e32 v2, 0
	s_cbranch_vccnz .LBB535_17
; %bb.14:
	v_dual_mov_b32 v3, s18 :: v_dual_mov_b32 v4, s19
	s_mov_b32 s2, 0
	.p2align	6
.LBB535_15:                             ; =>This Inner Loop Header: Depth=1
	s_waitcnt vmcnt(6) lgkmcnt(6)
	s_delay_alu instid0(VALU_DEP_1) | instskip(NEXT) | instid1(VALU_DEP_2)
	v_sub_co_u32 v12, vcc_lo, v3, v1
	v_sub_co_ci_u32_e32 v13, vcc_lo, v4, v2, vcc_lo
	s_delay_alu instid0(VALU_DEP_1) | instskip(SKIP_1) | instid1(VALU_DEP_2)
	v_lshrrev_b64 v[14:15], 1, v[12:13]
	v_lshrrev_b64 v[12:13], 6, v[12:13]
	v_add_co_u32 v14, vcc_lo, v14, v1
	s_delay_alu instid0(VALU_DEP_3) | instskip(NEXT) | instid1(VALU_DEP_2)
	v_add_co_ci_u32_e32 v15, vcc_lo, v15, v2, vcc_lo
	v_add_co_u32 v12, vcc_lo, v14, v12
	s_delay_alu instid0(VALU_DEP_2) | instskip(NEXT) | instid1(VALU_DEP_1)
	v_add_co_ci_u32_e32 v13, vcc_lo, v15, v13, vcc_lo
	v_lshlrev_b64 v[14:15], 1, v[12:13]
	s_delay_alu instid0(VALU_DEP_1) | instskip(NEXT) | instid1(VALU_DEP_2)
	v_add_co_u32 v14, vcc_lo, s16, v14
	v_add_co_ci_u32_e32 v15, vcc_lo, s17, v15, vcc_lo
	global_load_u16 v14, v[14:15], off
	v_add_co_u32 v15, vcc_lo, v12, 1
	v_add_co_ci_u32_e32 v16, vcc_lo, 0, v13, vcc_lo
	s_waitcnt vmcnt(0) lgkmcnt(5)
	v_cmp_lt_i16_e32 vcc_lo, v14, v11
	v_dual_cndmask_b32 v4, v13, v4 :: v_dual_cndmask_b32 v3, v12, v3
	s_delay_alu instid0(VALU_DEP_3) | instskip(NEXT) | instid1(VALU_DEP_1)
	v_dual_cndmask_b32 v2, v2, v16 :: v_dual_cndmask_b32 v1, v1, v15
	v_cmp_ge_u64_e32 vcc_lo, v[1:2], v[3:4]
	s_or_b32 s2, vcc_lo, s2
	s_delay_alu instid0(SALU_CYCLE_1)
	s_and_not1_b32 exec_lo, exec_lo, s2
	s_cbranch_execnz .LBB535_15
; %bb.16:
	s_or_b32 exec_lo, exec_lo, s2
.LBB535_17:
	s_mov_b32 s2, 0
	s_mov_b32 s3, exec_lo
	s_delay_alu instid0(VALU_DEP_1)
	v_cmpx_ne_u64_e64 s[18:19], v[1:2]
	s_cbranch_execz .LBB535_19
; %bb.18:
	v_lshlrev_b64 v[1:2], 1, v[1:2]
	s_delay_alu instid0(VALU_DEP_1) | instskip(NEXT) | instid1(VALU_DEP_2)
	v_add_co_u32 v1, vcc_lo, s16, v1
	v_add_co_ci_u32_e32 v2, vcc_lo, s17, v2, vcc_lo
	global_load_u16 v1, v[1:2], off
	s_waitcnt vmcnt(0) lgkmcnt(5)
	v_cmp_le_i16_e32 vcc_lo, v1, v11
	s_and_b32 s2, vcc_lo, exec_lo
.LBB535_19:
	s_or_b32 exec_lo, exec_lo, s3
	v_cmp_ne_u32_e32 vcc_lo, 1, v7
	v_mov_b32_e32 v1, 0
	v_mov_b32_e32 v2, 0
	s_cbranch_vccnz .LBB535_23
; %bb.20:
	v_dual_mov_b32 v3, s18 :: v_dual_mov_b32 v4, s19
	s_mov_b32 s3, 0
	.p2align	6
.LBB535_21:                             ; =>This Inner Loop Header: Depth=1
	s_waitcnt vmcnt(5) lgkmcnt(5)
	s_delay_alu instid0(VALU_DEP_1) | instskip(NEXT) | instid1(VALU_DEP_2)
	v_sub_co_u32 v11, vcc_lo, v3, v1
	v_sub_co_ci_u32_e32 v12, vcc_lo, v4, v2, vcc_lo
	s_delay_alu instid0(VALU_DEP_1) | instskip(SKIP_1) | instid1(VALU_DEP_2)
	v_lshrrev_b64 v[13:14], 1, v[11:12]
	v_lshrrev_b64 v[11:12], 6, v[11:12]
	v_add_co_u32 v13, vcc_lo, v13, v1
	s_delay_alu instid0(VALU_DEP_3) | instskip(NEXT) | instid1(VALU_DEP_2)
	v_add_co_ci_u32_e32 v14, vcc_lo, v14, v2, vcc_lo
	v_add_co_u32 v11, vcc_lo, v13, v11
	s_delay_alu instid0(VALU_DEP_2) | instskip(NEXT) | instid1(VALU_DEP_1)
	v_add_co_ci_u32_e32 v12, vcc_lo, v14, v12, vcc_lo
	v_lshlrev_b64 v[13:14], 1, v[11:12]
	s_delay_alu instid0(VALU_DEP_1) | instskip(NEXT) | instid1(VALU_DEP_2)
	v_add_co_u32 v13, vcc_lo, s16, v13
	v_add_co_ci_u32_e32 v14, vcc_lo, s17, v14, vcc_lo
	global_load_u16 v13, v[13:14], off
	v_add_co_u32 v14, vcc_lo, v11, 1
	v_add_co_ci_u32_e32 v15, vcc_lo, 0, v12, vcc_lo
	s_waitcnt vmcnt(0) lgkmcnt(4)
	v_cmp_lt_i16_e32 vcc_lo, v13, v10
	v_dual_cndmask_b32 v4, v12, v4 :: v_dual_cndmask_b32 v3, v11, v3
	s_delay_alu instid0(VALU_DEP_3) | instskip(NEXT) | instid1(VALU_DEP_1)
	v_dual_cndmask_b32 v2, v2, v15 :: v_dual_cndmask_b32 v1, v1, v14
	v_cmp_ge_u64_e32 vcc_lo, v[1:2], v[3:4]
	s_or_b32 s3, vcc_lo, s3
	s_delay_alu instid0(SALU_CYCLE_1)
	s_and_not1_b32 exec_lo, exec_lo, s3
	s_cbranch_execnz .LBB535_21
; %bb.22:
	s_or_b32 exec_lo, exec_lo, s3
.LBB535_23:
	s_mov_b32 s3, 0
	s_mov_b32 s4, exec_lo
	s_delay_alu instid0(VALU_DEP_1)
	v_cmpx_ne_u64_e64 s[18:19], v[1:2]
	s_cbranch_execz .LBB535_25
; %bb.24:
	v_lshlrev_b64 v[1:2], 1, v[1:2]
	s_delay_alu instid0(VALU_DEP_1) | instskip(NEXT) | instid1(VALU_DEP_2)
	v_add_co_u32 v1, vcc_lo, s16, v1
	v_add_co_ci_u32_e32 v2, vcc_lo, s17, v2, vcc_lo
	global_load_u16 v1, v[1:2], off
	s_waitcnt vmcnt(0) lgkmcnt(4)
	v_cmp_le_i16_e32 vcc_lo, v1, v10
	s_and_b32 s3, vcc_lo, exec_lo
.LBB535_25:
	s_or_b32 exec_lo, exec_lo, s4
	v_cmp_ne_u32_e32 vcc_lo, 1, v7
	v_mov_b32_e32 v1, 0
	v_mov_b32_e32 v2, 0
	s_cbranch_vccnz .LBB535_29
; %bb.26:
	v_dual_mov_b32 v3, s18 :: v_dual_mov_b32 v4, s19
	s_mov_b32 s4, 0
	.p2align	6
.LBB535_27:                             ; =>This Inner Loop Header: Depth=1
	s_waitcnt vmcnt(4) lgkmcnt(4)
	s_delay_alu instid0(VALU_DEP_1) | instskip(NEXT) | instid1(VALU_DEP_2)
	v_sub_co_u32 v10, vcc_lo, v3, v1
	v_sub_co_ci_u32_e32 v11, vcc_lo, v4, v2, vcc_lo
	s_delay_alu instid0(VALU_DEP_1) | instskip(SKIP_1) | instid1(VALU_DEP_2)
	v_lshrrev_b64 v[12:13], 1, v[10:11]
	v_lshrrev_b64 v[10:11], 6, v[10:11]
	v_add_co_u32 v12, vcc_lo, v12, v1
	s_delay_alu instid0(VALU_DEP_3) | instskip(NEXT) | instid1(VALU_DEP_2)
	v_add_co_ci_u32_e32 v13, vcc_lo, v13, v2, vcc_lo
	v_add_co_u32 v10, vcc_lo, v12, v10
	s_delay_alu instid0(VALU_DEP_2) | instskip(NEXT) | instid1(VALU_DEP_1)
	v_add_co_ci_u32_e32 v11, vcc_lo, v13, v11, vcc_lo
	v_lshlrev_b64 v[12:13], 1, v[10:11]
	s_delay_alu instid0(VALU_DEP_1) | instskip(NEXT) | instid1(VALU_DEP_2)
	v_add_co_u32 v12, vcc_lo, s16, v12
	v_add_co_ci_u32_e32 v13, vcc_lo, s17, v13, vcc_lo
	global_load_u16 v12, v[12:13], off
	v_add_co_u32 v13, vcc_lo, v10, 1
	v_add_co_ci_u32_e32 v14, vcc_lo, 0, v11, vcc_lo
	s_waitcnt vmcnt(0) lgkmcnt(3)
	v_cmp_lt_i16_e32 vcc_lo, v12, v9
	v_dual_cndmask_b32 v4, v11, v4 :: v_dual_cndmask_b32 v3, v10, v3
	s_delay_alu instid0(VALU_DEP_3) | instskip(NEXT) | instid1(VALU_DEP_1)
	v_dual_cndmask_b32 v2, v2, v14 :: v_dual_cndmask_b32 v1, v1, v13
	v_cmp_ge_u64_e32 vcc_lo, v[1:2], v[3:4]
	s_or_b32 s4, vcc_lo, s4
	s_delay_alu instid0(SALU_CYCLE_1)
	s_and_not1_b32 exec_lo, exec_lo, s4
	s_cbranch_execnz .LBB535_27
; %bb.28:
	s_or_b32 exec_lo, exec_lo, s4
.LBB535_29:
	s_mov_b32 s4, 0
	s_mov_b32 s5, exec_lo
	s_delay_alu instid0(VALU_DEP_1)
	v_cmpx_ne_u64_e64 s[18:19], v[1:2]
	s_cbranch_execz .LBB535_31
; %bb.30:
	v_lshlrev_b64 v[1:2], 1, v[1:2]
	s_delay_alu instid0(VALU_DEP_1) | instskip(NEXT) | instid1(VALU_DEP_2)
	v_add_co_u32 v1, vcc_lo, s16, v1
	v_add_co_ci_u32_e32 v2, vcc_lo, s17, v2, vcc_lo
	global_load_u16 v1, v[1:2], off
	s_waitcnt vmcnt(0) lgkmcnt(3)
	v_cmp_le_i16_e32 vcc_lo, v1, v9
	s_and_b32 s4, vcc_lo, exec_lo
.LBB535_31:
	s_or_b32 exec_lo, exec_lo, s5
	v_cmp_ne_u32_e32 vcc_lo, 1, v7
	v_mov_b32_e32 v1, 0
	v_mov_b32_e32 v2, 0
	s_cbranch_vccnz .LBB535_35
; %bb.32:
	v_dual_mov_b32 v3, s18 :: v_dual_mov_b32 v4, s19
	s_mov_b32 s5, 0
	.p2align	6
.LBB535_33:                             ; =>This Inner Loop Header: Depth=1
	s_waitcnt vmcnt(3) lgkmcnt(3)
	s_delay_alu instid0(VALU_DEP_1) | instskip(NEXT) | instid1(VALU_DEP_2)
	v_sub_co_u32 v9, vcc_lo, v3, v1
	v_sub_co_ci_u32_e32 v10, vcc_lo, v4, v2, vcc_lo
	s_delay_alu instid0(VALU_DEP_1) | instskip(SKIP_1) | instid1(VALU_DEP_2)
	v_lshrrev_b64 v[11:12], 1, v[9:10]
	v_lshrrev_b64 v[9:10], 6, v[9:10]
	v_add_co_u32 v11, vcc_lo, v11, v1
	s_delay_alu instid0(VALU_DEP_3) | instskip(NEXT) | instid1(VALU_DEP_2)
	v_add_co_ci_u32_e32 v12, vcc_lo, v12, v2, vcc_lo
	v_add_co_u32 v9, vcc_lo, v11, v9
	s_delay_alu instid0(VALU_DEP_2) | instskip(NEXT) | instid1(VALU_DEP_1)
	v_add_co_ci_u32_e32 v10, vcc_lo, v12, v10, vcc_lo
	v_lshlrev_b64 v[11:12], 1, v[9:10]
	s_delay_alu instid0(VALU_DEP_1) | instskip(NEXT) | instid1(VALU_DEP_2)
	v_add_co_u32 v11, vcc_lo, s16, v11
	v_add_co_ci_u32_e32 v12, vcc_lo, s17, v12, vcc_lo
	global_load_u16 v11, v[11:12], off
	v_add_co_u32 v12, vcc_lo, v9, 1
	v_add_co_ci_u32_e32 v13, vcc_lo, 0, v10, vcc_lo
	s_waitcnt vmcnt(0) lgkmcnt(2)
	v_cmp_lt_i16_e32 vcc_lo, v11, v8
	v_dual_cndmask_b32 v4, v10, v4 :: v_dual_cndmask_b32 v3, v9, v3
	s_delay_alu instid0(VALU_DEP_3) | instskip(NEXT) | instid1(VALU_DEP_1)
	v_dual_cndmask_b32 v2, v2, v13 :: v_dual_cndmask_b32 v1, v1, v12
	v_cmp_ge_u64_e32 vcc_lo, v[1:2], v[3:4]
	s_or_b32 s5, vcc_lo, s5
	s_delay_alu instid0(SALU_CYCLE_1)
	s_and_not1_b32 exec_lo, exec_lo, s5
	s_cbranch_execnz .LBB535_33
; %bb.34:
	s_or_b32 exec_lo, exec_lo, s5
.LBB535_35:
	s_mov_b32 s5, 0
	s_mov_b32 s6, exec_lo
	s_delay_alu instid0(VALU_DEP_1)
	v_cmpx_ne_u64_e64 s[18:19], v[1:2]
	s_cbranch_execz .LBB535_37
; %bb.36:
	v_lshlrev_b64 v[1:2], 1, v[1:2]
	s_delay_alu instid0(VALU_DEP_1) | instskip(NEXT) | instid1(VALU_DEP_2)
	v_add_co_u32 v1, vcc_lo, s16, v1
	v_add_co_ci_u32_e32 v2, vcc_lo, s17, v2, vcc_lo
	global_load_u16 v1, v[1:2], off
	s_waitcnt vmcnt(0) lgkmcnt(2)
	v_cmp_le_i16_e32 vcc_lo, v1, v8
	s_and_b32 s5, vcc_lo, exec_lo
.LBB535_37:
	s_or_b32 exec_lo, exec_lo, s6
	v_cmp_ne_u32_e32 vcc_lo, 1, v7
	v_mov_b32_e32 v1, 0
	v_mov_b32_e32 v2, 0
	s_cbranch_vccnz .LBB535_41
; %bb.38:
	v_dual_mov_b32 v3, s18 :: v_dual_mov_b32 v4, s19
	s_mov_b32 s6, 0
	.p2align	6
.LBB535_39:                             ; =>This Inner Loop Header: Depth=1
	s_waitcnt vmcnt(2) lgkmcnt(2)
	s_delay_alu instid0(VALU_DEP_1) | instskip(NEXT) | instid1(VALU_DEP_2)
	v_sub_co_u32 v8, vcc_lo, v3, v1
	v_sub_co_ci_u32_e32 v9, vcc_lo, v4, v2, vcc_lo
	s_delay_alu instid0(VALU_DEP_1) | instskip(SKIP_1) | instid1(VALU_DEP_2)
	v_lshrrev_b64 v[10:11], 1, v[8:9]
	v_lshrrev_b64 v[8:9], 6, v[8:9]
	v_add_co_u32 v10, vcc_lo, v10, v1
	s_delay_alu instid0(VALU_DEP_3) | instskip(NEXT) | instid1(VALU_DEP_2)
	v_add_co_ci_u32_e32 v11, vcc_lo, v11, v2, vcc_lo
	v_add_co_u32 v8, vcc_lo, v10, v8
	s_delay_alu instid0(VALU_DEP_2) | instskip(NEXT) | instid1(VALU_DEP_1)
	v_add_co_ci_u32_e32 v9, vcc_lo, v11, v9, vcc_lo
	v_lshlrev_b64 v[10:11], 1, v[8:9]
	s_delay_alu instid0(VALU_DEP_1) | instskip(NEXT) | instid1(VALU_DEP_2)
	v_add_co_u32 v10, vcc_lo, s16, v10
	v_add_co_ci_u32_e32 v11, vcc_lo, s17, v11, vcc_lo
	global_load_u16 v10, v[10:11], off
	v_add_co_u32 v11, vcc_lo, v8, 1
	v_add_co_ci_u32_e32 v12, vcc_lo, 0, v9, vcc_lo
	s_waitcnt vmcnt(0) lgkmcnt(1)
	v_cmp_lt_i16_e32 vcc_lo, v10, v6
	v_dual_cndmask_b32 v4, v9, v4 :: v_dual_cndmask_b32 v3, v8, v3
	s_delay_alu instid0(VALU_DEP_3) | instskip(NEXT) | instid1(VALU_DEP_1)
	v_dual_cndmask_b32 v2, v2, v12 :: v_dual_cndmask_b32 v1, v1, v11
	v_cmp_ge_u64_e32 vcc_lo, v[1:2], v[3:4]
	s_or_b32 s6, vcc_lo, s6
	s_delay_alu instid0(SALU_CYCLE_1)
	s_and_not1_b32 exec_lo, exec_lo, s6
	s_cbranch_execnz .LBB535_39
; %bb.40:
	s_or_b32 exec_lo, exec_lo, s6
.LBB535_41:
	s_mov_b32 s6, 0
	s_mov_b32 s7, exec_lo
	s_delay_alu instid0(VALU_DEP_1)
	v_cmpx_ne_u64_e64 s[18:19], v[1:2]
	s_cbranch_execz .LBB535_43
; %bb.42:
	v_lshlrev_b64 v[1:2], 1, v[1:2]
	s_delay_alu instid0(VALU_DEP_1) | instskip(NEXT) | instid1(VALU_DEP_2)
	v_add_co_u32 v1, vcc_lo, s16, v1
	v_add_co_ci_u32_e32 v2, vcc_lo, s17, v2, vcc_lo
	global_load_u16 v1, v[1:2], off
	s_waitcnt vmcnt(0) lgkmcnt(1)
	v_cmp_le_i16_e32 vcc_lo, v1, v6
	s_and_b32 s6, vcc_lo, exec_lo
.LBB535_43:
	s_or_b32 exec_lo, exec_lo, s7
	v_cmp_ne_u32_e32 vcc_lo, 1, v7
	v_mov_b32_e32 v1, 0
	v_mov_b32_e32 v2, 0
	s_cbranch_vccnz .LBB535_47
; %bb.44:
	v_dual_mov_b32 v3, s18 :: v_dual_mov_b32 v4, s19
	s_mov_b32 s7, 0
	.p2align	6
.LBB535_45:                             ; =>This Inner Loop Header: Depth=1
	s_waitcnt vmcnt(1) lgkmcnt(1)
	s_delay_alu instid0(VALU_DEP_1) | instskip(NEXT) | instid1(VALU_DEP_2)
	v_sub_co_u32 v6, vcc_lo, v3, v1
	v_sub_co_ci_u32_e32 v7, vcc_lo, v4, v2, vcc_lo
	s_delay_alu instid0(VALU_DEP_1) | instskip(SKIP_1) | instid1(VALU_DEP_2)
	v_lshrrev_b64 v[8:9], 1, v[6:7]
	v_lshrrev_b64 v[6:7], 6, v[6:7]
	v_add_co_u32 v8, vcc_lo, v8, v1
	s_delay_alu instid0(VALU_DEP_3) | instskip(NEXT) | instid1(VALU_DEP_2)
	v_add_co_ci_u32_e32 v9, vcc_lo, v9, v2, vcc_lo
	v_add_co_u32 v6, vcc_lo, v8, v6
	s_delay_alu instid0(VALU_DEP_2) | instskip(NEXT) | instid1(VALU_DEP_1)
	v_add_co_ci_u32_e32 v7, vcc_lo, v9, v7, vcc_lo
	v_lshlrev_b64 v[8:9], 1, v[6:7]
	s_delay_alu instid0(VALU_DEP_1) | instskip(NEXT) | instid1(VALU_DEP_2)
	v_add_co_u32 v8, vcc_lo, s16, v8
	v_add_co_ci_u32_e32 v9, vcc_lo, s17, v9, vcc_lo
	global_load_u16 v8, v[8:9], off
	v_add_co_u32 v9, vcc_lo, v6, 1
	v_add_co_ci_u32_e32 v10, vcc_lo, 0, v7, vcc_lo
	s_waitcnt vmcnt(0) lgkmcnt(0)
	v_cmp_lt_i16_e32 vcc_lo, v8, v5
	v_dual_cndmask_b32 v4, v7, v4 :: v_dual_cndmask_b32 v3, v6, v3
	s_delay_alu instid0(VALU_DEP_3) | instskip(NEXT) | instid1(VALU_DEP_1)
	v_dual_cndmask_b32 v2, v2, v10 :: v_dual_cndmask_b32 v1, v1, v9
	v_cmp_ge_u64_e32 vcc_lo, v[1:2], v[3:4]
	s_or_b32 s7, vcc_lo, s7
	s_delay_alu instid0(SALU_CYCLE_1)
	s_and_not1_b32 exec_lo, exec_lo, s7
	s_cbranch_execnz .LBB535_45
; %bb.46:
	s_or_b32 exec_lo, exec_lo, s7
.LBB535_47:
	s_mov_b32 s7, 0
	s_mov_b32 s11, 0
	s_mov_b32 s15, exec_lo
	v_cmpx_ne_u64_e64 s[18:19], v[1:2]
	s_cbranch_execz .LBB535_49
; %bb.48:
	v_lshlrev_b64 v[1:2], 1, v[1:2]
	s_delay_alu instid0(VALU_DEP_1) | instskip(NEXT) | instid1(VALU_DEP_2)
	v_add_co_u32 v1, vcc_lo, s16, v1
	v_add_co_ci_u32_e32 v2, vcc_lo, s17, v2, vcc_lo
	global_load_u16 v1, v[1:2], off
	s_waitcnt vmcnt(0) lgkmcnt(0)
	v_cmp_le_i16_e32 vcc_lo, v1, v5
	s_and_b32 s11, vcc_lo, exec_lo
.LBB535_49:
	s_or_b32 exec_lo, exec_lo, s15
	s_waitcnt vmcnt(2) lgkmcnt(2)
	v_cndmask_b32_e64 v8, 0, 1, s0
	s_add_u32 s0, s9, s10
	v_cndmask_b32_e64 v7, 0, 1, s3
	s_addc_u32 s3, s12, 0
	v_add_co_u32 v1, s0, s0, v0
	s_delay_alu instid0(VALU_DEP_1)
	v_add_co_ci_u32_e64 v2, null, s3, 0, s0
	v_cndmask_b32_e64 v9, 0, 1, s1
	v_cndmask_b32_e64 v10, 0, 1, s2
	s_waitcnt vmcnt(1) lgkmcnt(1)
	v_cndmask_b32_e64 v6, 0, 1, s4
	v_cndmask_b32_e64 v4, 0, 1, s6
	s_waitcnt vmcnt(0) lgkmcnt(0)
	v_cndmask_b32_e64 v5, 0, 1, s5
	v_cndmask_b32_e64 v3, 0, 1, s11
	s_mov_b32 s11, -1
	s_clause 0x6
	flat_store_b8 v[1:2], v8
	flat_store_b8 v[1:2], v9 offset:64
	flat_store_b8 v[1:2], v10 offset:128
	;; [unrolled: 1-line block ×6, first 2 shown]
	s_and_b32 vcc_lo, exec_lo, s7
	s_cbranch_vccnz .LBB535_51
	s_branch .LBB535_141
.LBB535_50:
                                        ; implicit-def: $vgpr3
                                        ; implicit-def: $vgpr1_vgpr2
	s_and_b32 vcc_lo, exec_lo, s7
	s_cbranch_vccz .LBB535_141
.LBB535_51:
	s_sub_i32 s7, s8, s10
                                        ; implicit-def: $vgpr1_vgpr2_vgpr3_vgpr4
	s_delay_alu instid0(SALU_CYCLE_1) | instskip(NEXT) | instid1(VALU_DEP_1)
	v_cmp_gt_u32_e64 s0, s7, v0
	s_and_saveexec_b32 s1, s0
	s_cbranch_execz .LBB535_53
; %bb.52:
	v_lshlrev_b32_e32 v1, 1, v0
	s_delay_alu instid0(VALU_DEP_1) | instskip(NEXT) | instid1(VALU_DEP_1)
	v_add_co_u32 v1, s2, s13, v1
	v_add_co_ci_u32_e64 v2, null, s14, 0, s2
	flat_load_d16_b16 v1, v[1:2]
.LBB535_53:
	s_or_b32 exec_lo, exec_lo, s1
	v_or_b32_e32 v5, 64, v0
	s_delay_alu instid0(VALU_DEP_1) | instskip(NEXT) | instid1(VALU_DEP_1)
	v_cmp_gt_u32_e64 s1, s7, v5
	s_and_saveexec_b32 s2, s1
	s_cbranch_execz .LBB535_55
; %bb.54:
	v_lshlrev_b32_e32 v5, 1, v0
	s_delay_alu instid0(VALU_DEP_1) | instskip(NEXT) | instid1(VALU_DEP_1)
	v_add_co_u32 v5, s3, s13, v5
	v_add_co_ci_u32_e64 v6, null, s14, 0, s3
	s_waitcnt vmcnt(0) lgkmcnt(0)
	flat_load_d16_hi_b16 v1, v[5:6] offset:128
.LBB535_55:
	s_or_b32 exec_lo, exec_lo, s2
	v_or_b32_e32 v5, 0x80, v0
	s_delay_alu instid0(VALU_DEP_1) | instskip(NEXT) | instid1(VALU_DEP_1)
	v_cmp_gt_u32_e64 s2, s7, v5
	s_and_saveexec_b32 s3, s2
	s_cbranch_execz .LBB535_57
; %bb.56:
	v_lshlrev_b32_e32 v5, 1, v0
	s_delay_alu instid0(VALU_DEP_1) | instskip(NEXT) | instid1(VALU_DEP_1)
	v_add_co_u32 v5, s4, s13, v5
	v_add_co_ci_u32_e64 v6, null, s14, 0, s4
	flat_load_d16_b16 v2, v[5:6] offset:256
.LBB535_57:
	s_or_b32 exec_lo, exec_lo, s3
	v_or_b32_e32 v5, 0xc0, v0
	s_delay_alu instid0(VALU_DEP_1) | instskip(NEXT) | instid1(VALU_DEP_1)
	v_cmp_gt_u32_e64 s3, s7, v5
	s_and_saveexec_b32 s4, s3
	s_cbranch_execz .LBB535_59
; %bb.58:
	v_lshlrev_b32_e32 v5, 1, v0
	s_delay_alu instid0(VALU_DEP_1) | instskip(NEXT) | instid1(VALU_DEP_1)
	v_add_co_u32 v5, s5, s13, v5
	v_add_co_ci_u32_e64 v6, null, s14, 0, s5
	s_waitcnt vmcnt(0) lgkmcnt(0)
	flat_load_d16_hi_b16 v2, v[5:6] offset:384
.LBB535_59:
	s_or_b32 exec_lo, exec_lo, s4
	v_or_b32_e32 v5, 0x100, v0
	s_delay_alu instid0(VALU_DEP_1) | instskip(NEXT) | instid1(VALU_DEP_1)
	v_cmp_gt_u32_e64 s4, s7, v5
	s_and_saveexec_b32 s5, s4
	s_cbranch_execz .LBB535_61
; %bb.60:
	v_lshlrev_b32_e32 v5, 1, v0
	s_delay_alu instid0(VALU_DEP_1) | instskip(NEXT) | instid1(VALU_DEP_1)
	v_add_co_u32 v5, s6, s13, v5
	v_add_co_ci_u32_e64 v6, null, s14, 0, s6
	flat_load_d16_b16 v3, v[5:6] offset:512
.LBB535_61:
	;; [unrolled: 27-line block ×3, first 2 shown]
	s_or_b32 exec_lo, exec_lo, s8
	v_or_b32_e32 v5, 0x1c0, v0
	s_delay_alu instid0(VALU_DEP_1) | instskip(NEXT) | instid1(VALU_DEP_1)
	v_cmp_gt_u32_e64 s7, s7, v5
	s_and_saveexec_b32 s8, s7
	s_cbranch_execz .LBB535_67
; %bb.66:
	v_lshlrev_b32_e32 v5, 1, v0
	s_delay_alu instid0(VALU_DEP_1) | instskip(NEXT) | instid1(VALU_DEP_1)
	v_add_co_u32 v5, s13, s13, v5
	v_add_co_ci_u32_e64 v6, null, s14, 0, s13
	s_waitcnt vmcnt(0) lgkmcnt(0)
	flat_load_d16_hi_b16 v4, v[5:6] offset:896
.LBB535_67:
	s_or_b32 exec_lo, exec_lo, s8
	s_cmp_lg_u64 s[18:19], 0
                                        ; implicit-def: $vgpr9
	s_cselect_b32 s8, -1, 0
	s_and_saveexec_b32 s13, s0
	s_cbranch_execnz .LBB535_75
; %bb.68:
	s_or_b32 exec_lo, exec_lo, s13
                                        ; implicit-def: $vgpr10
	s_and_saveexec_b32 s13, s1
	s_cbranch_execnz .LBB535_82
.LBB535_69:
	s_or_b32 exec_lo, exec_lo, s13
                                        ; implicit-def: $vgpr7
	s_and_saveexec_b32 s13, s2
	s_cbranch_execnz .LBB535_89
.LBB535_70:
	s_or_b32 exec_lo, exec_lo, s13
                                        ; implicit-def: $vgpr8
	s_and_saveexec_b32 s13, s3
	s_cbranch_execnz .LBB535_96
.LBB535_71:
	s_or_b32 exec_lo, exec_lo, s13
                                        ; implicit-def: $vgpr11
	s_and_saveexec_b32 s13, s4
	s_cbranch_execnz .LBB535_103
.LBB535_72:
	s_or_b32 exec_lo, exec_lo, s13
                                        ; implicit-def: $vgpr12
	s_and_saveexec_b32 s13, s5
	s_cbranch_execnz .LBB535_110
.LBB535_73:
	s_or_b32 exec_lo, exec_lo, s13
                                        ; implicit-def: $vgpr5
	s_and_saveexec_b32 s13, s6
	s_cbranch_execnz .LBB535_117
.LBB535_74:
	s_or_b32 exec_lo, exec_lo, s13
                                        ; implicit-def: $vgpr3
	s_and_saveexec_b32 s13, s7
	s_cbranch_execnz .LBB535_124
	s_branch .LBB535_131
.LBB535_75:
	v_mov_b32_e32 v5, 0
	v_mov_b32_e32 v6, 0
	s_and_not1_b32 vcc_lo, exec_lo, s8
	s_cbranch_vccnz .LBB535_79
; %bb.76:
	v_dual_mov_b32 v7, s18 :: v_dual_mov_b32 v8, s19
	s_mov_b32 s14, 0
	.p2align	6
.LBB535_77:                             ; =>This Inner Loop Header: Depth=1
	s_delay_alu instid0(VALU_DEP_1) | instskip(NEXT) | instid1(VALU_DEP_2)
	v_sub_co_u32 v9, vcc_lo, v7, v5
	v_sub_co_ci_u32_e32 v10, vcc_lo, v8, v6, vcc_lo
	s_delay_alu instid0(VALU_DEP_1) | instskip(SKIP_1) | instid1(VALU_DEP_2)
	v_lshrrev_b64 v[11:12], 1, v[9:10]
	v_lshrrev_b64 v[9:10], 6, v[9:10]
	v_add_co_u32 v11, vcc_lo, v11, v5
	s_delay_alu instid0(VALU_DEP_3) | instskip(NEXT) | instid1(VALU_DEP_2)
	v_add_co_ci_u32_e32 v12, vcc_lo, v12, v6, vcc_lo
	v_add_co_u32 v9, vcc_lo, v11, v9
	s_delay_alu instid0(VALU_DEP_2) | instskip(NEXT) | instid1(VALU_DEP_1)
	v_add_co_ci_u32_e32 v10, vcc_lo, v12, v10, vcc_lo
	v_lshlrev_b64 v[11:12], 1, v[9:10]
	s_delay_alu instid0(VALU_DEP_1) | instskip(NEXT) | instid1(VALU_DEP_2)
	v_add_co_u32 v11, vcc_lo, s16, v11
	v_add_co_ci_u32_e32 v12, vcc_lo, s17, v12, vcc_lo
	global_load_u16 v11, v[11:12], off
	v_add_co_u32 v12, vcc_lo, v9, 1
	v_add_co_ci_u32_e32 v13, vcc_lo, 0, v10, vcc_lo
	s_waitcnt vmcnt(0) lgkmcnt(0)
	v_cmp_lt_i16_e32 vcc_lo, v11, v1
	v_dual_cndmask_b32 v8, v10, v8 :: v_dual_cndmask_b32 v7, v9, v7
	s_delay_alu instid0(VALU_DEP_3) | instskip(NEXT) | instid1(VALU_DEP_1)
	v_dual_cndmask_b32 v6, v6, v13 :: v_dual_cndmask_b32 v5, v5, v12
	v_cmp_ge_u64_e32 vcc_lo, v[5:6], v[7:8]
	s_or_b32 s14, vcc_lo, s14
	s_delay_alu instid0(SALU_CYCLE_1)
	s_and_not1_b32 exec_lo, exec_lo, s14
	s_cbranch_execnz .LBB535_77
; %bb.78:
	s_or_b32 exec_lo, exec_lo, s14
.LBB535_79:
	s_mov_b32 s15, 0
	s_mov_b32 s14, exec_lo
	v_cmpx_ne_u64_e64 s[18:19], v[5:6]
	s_cbranch_execz .LBB535_81
; %bb.80:
	v_lshlrev_b64 v[5:6], 1, v[5:6]
	s_delay_alu instid0(VALU_DEP_1) | instskip(NEXT) | instid1(VALU_DEP_2)
	v_add_co_u32 v5, vcc_lo, s16, v5
	v_add_co_ci_u32_e32 v6, vcc_lo, s17, v6, vcc_lo
	global_load_u16 v5, v[5:6], off
	s_waitcnt vmcnt(0) lgkmcnt(0)
	v_cmp_le_i16_e32 vcc_lo, v5, v1
	s_and_b32 s15, vcc_lo, exec_lo
.LBB535_81:
	s_or_b32 exec_lo, exec_lo, s14
	v_cndmask_b32_e64 v9, 0, 1, s15
	s_or_b32 exec_lo, exec_lo, s13
                                        ; implicit-def: $vgpr10
	s_and_saveexec_b32 s13, s1
	s_cbranch_execz .LBB535_69
.LBB535_82:
	v_mov_b32_e32 v5, 0
	s_waitcnt vmcnt(0) lgkmcnt(0)
	v_lshrrev_b32_e32 v1, 16, v1
	v_mov_b32_e32 v6, 0
	s_and_not1_b32 vcc_lo, exec_lo, s8
	s_cbranch_vccnz .LBB535_86
; %bb.83:
	v_dual_mov_b32 v7, s18 :: v_dual_mov_b32 v8, s19
	s_mov_b32 s14, 0
	.p2align	6
.LBB535_84:                             ; =>This Inner Loop Header: Depth=1
	s_delay_alu instid0(VALU_DEP_1) | instskip(NEXT) | instid1(VALU_DEP_2)
	v_sub_co_u32 v10, vcc_lo, v7, v5
	v_sub_co_ci_u32_e32 v11, vcc_lo, v8, v6, vcc_lo
	s_delay_alu instid0(VALU_DEP_1) | instskip(SKIP_1) | instid1(VALU_DEP_2)
	v_lshrrev_b64 v[12:13], 1, v[10:11]
	v_lshrrev_b64 v[10:11], 6, v[10:11]
	v_add_co_u32 v12, vcc_lo, v12, v5
	s_delay_alu instid0(VALU_DEP_3) | instskip(NEXT) | instid1(VALU_DEP_2)
	v_add_co_ci_u32_e32 v13, vcc_lo, v13, v6, vcc_lo
	v_add_co_u32 v10, vcc_lo, v12, v10
	s_delay_alu instid0(VALU_DEP_2) | instskip(NEXT) | instid1(VALU_DEP_1)
	v_add_co_ci_u32_e32 v11, vcc_lo, v13, v11, vcc_lo
	v_lshlrev_b64 v[12:13], 1, v[10:11]
	s_delay_alu instid0(VALU_DEP_1) | instskip(NEXT) | instid1(VALU_DEP_2)
	v_add_co_u32 v12, vcc_lo, s16, v12
	v_add_co_ci_u32_e32 v13, vcc_lo, s17, v13, vcc_lo
	global_load_u16 v12, v[12:13], off
	v_add_co_u32 v13, vcc_lo, v10, 1
	v_add_co_ci_u32_e32 v14, vcc_lo, 0, v11, vcc_lo
	s_waitcnt vmcnt(0)
	v_cmp_lt_i16_e32 vcc_lo, v12, v1
	v_dual_cndmask_b32 v8, v11, v8 :: v_dual_cndmask_b32 v7, v10, v7
	s_delay_alu instid0(VALU_DEP_3) | instskip(NEXT) | instid1(VALU_DEP_1)
	v_dual_cndmask_b32 v6, v6, v14 :: v_dual_cndmask_b32 v5, v5, v13
	v_cmp_ge_u64_e32 vcc_lo, v[5:6], v[7:8]
	s_or_b32 s14, vcc_lo, s14
	s_delay_alu instid0(SALU_CYCLE_1)
	s_and_not1_b32 exec_lo, exec_lo, s14
	s_cbranch_execnz .LBB535_84
; %bb.85:
	s_or_b32 exec_lo, exec_lo, s14
.LBB535_86:
	s_mov_b32 s15, 0
	s_mov_b32 s14, exec_lo
	v_cmpx_ne_u64_e64 s[18:19], v[5:6]
	s_cbranch_execz .LBB535_88
; %bb.87:
	v_lshlrev_b64 v[5:6], 1, v[5:6]
	s_delay_alu instid0(VALU_DEP_1) | instskip(NEXT) | instid1(VALU_DEP_2)
	v_add_co_u32 v5, vcc_lo, s16, v5
	v_add_co_ci_u32_e32 v6, vcc_lo, s17, v6, vcc_lo
	global_load_u16 v5, v[5:6], off
	s_waitcnt vmcnt(0)
	v_cmp_le_i16_e32 vcc_lo, v5, v1
	s_and_b32 s15, vcc_lo, exec_lo
.LBB535_88:
	s_or_b32 exec_lo, exec_lo, s14
	v_cndmask_b32_e64 v10, 0, 1, s15
	s_or_b32 exec_lo, exec_lo, s13
                                        ; implicit-def: $vgpr7
	s_and_saveexec_b32 s13, s2
	s_cbranch_execz .LBB535_70
.LBB535_89:
	v_mov_b32_e32 v5, 0
	v_mov_b32_e32 v6, 0
	s_and_not1_b32 vcc_lo, exec_lo, s8
	s_cbranch_vccnz .LBB535_93
; %bb.90:
	v_dual_mov_b32 v7, s18 :: v_dual_mov_b32 v8, s19
	s_mov_b32 s14, 0
	.p2align	6
.LBB535_91:                             ; =>This Inner Loop Header: Depth=1
	s_delay_alu instid0(VALU_DEP_1) | instskip(NEXT) | instid1(VALU_DEP_2)
	v_sub_co_u32 v11, vcc_lo, v7, v5
	v_sub_co_ci_u32_e32 v12, vcc_lo, v8, v6, vcc_lo
	s_delay_alu instid0(VALU_DEP_1) | instskip(SKIP_2) | instid1(VALU_DEP_2)
	v_lshrrev_b64 v[13:14], 1, v[11:12]
	v_lshrrev_b64 v[11:12], 6, v[11:12]
	s_waitcnt vmcnt(0) lgkmcnt(0)
	v_add_co_u32 v1, vcc_lo, v13, v5
	s_delay_alu instid0(VALU_DEP_3) | instskip(NEXT) | instid1(VALU_DEP_2)
	v_add_co_ci_u32_e32 v13, vcc_lo, v14, v6, vcc_lo
	v_add_co_u32 v11, vcc_lo, v1, v11
	s_delay_alu instid0(VALU_DEP_2) | instskip(NEXT) | instid1(VALU_DEP_1)
	v_add_co_ci_u32_e32 v12, vcc_lo, v13, v12, vcc_lo
	v_lshlrev_b64 v[13:14], 1, v[11:12]
	s_delay_alu instid0(VALU_DEP_1) | instskip(NEXT) | instid1(VALU_DEP_2)
	v_add_co_u32 v13, vcc_lo, s16, v13
	v_add_co_ci_u32_e32 v14, vcc_lo, s17, v14, vcc_lo
	global_load_u16 v1, v[13:14], off
	v_add_co_u32 v13, vcc_lo, v11, 1
	v_add_co_ci_u32_e32 v14, vcc_lo, 0, v12, vcc_lo
	s_waitcnt vmcnt(0)
	v_cmp_lt_i16_e32 vcc_lo, v1, v2
	v_dual_cndmask_b32 v8, v12, v8 :: v_dual_cndmask_b32 v7, v11, v7
	s_delay_alu instid0(VALU_DEP_3) | instskip(NEXT) | instid1(VALU_DEP_1)
	v_dual_cndmask_b32 v6, v6, v14 :: v_dual_cndmask_b32 v5, v5, v13
	v_cmp_ge_u64_e32 vcc_lo, v[5:6], v[7:8]
	s_or_b32 s14, vcc_lo, s14
	s_delay_alu instid0(SALU_CYCLE_1)
	s_and_not1_b32 exec_lo, exec_lo, s14
	s_cbranch_execnz .LBB535_91
; %bb.92:
	s_or_b32 exec_lo, exec_lo, s14
.LBB535_93:
	s_mov_b32 s15, 0
	s_mov_b32 s14, exec_lo
	v_cmpx_ne_u64_e64 s[18:19], v[5:6]
	s_cbranch_execz .LBB535_95
; %bb.94:
	v_lshlrev_b64 v[5:6], 1, v[5:6]
	s_delay_alu instid0(VALU_DEP_1) | instskip(NEXT) | instid1(VALU_DEP_2)
	v_add_co_u32 v5, vcc_lo, s16, v5
	v_add_co_ci_u32_e32 v6, vcc_lo, s17, v6, vcc_lo
	s_waitcnt lgkmcnt(0)
	global_load_u16 v1, v[5:6], off
	s_waitcnt vmcnt(0)
	v_cmp_le_i16_e32 vcc_lo, v1, v2
	s_and_b32 s15, vcc_lo, exec_lo
.LBB535_95:
	s_or_b32 exec_lo, exec_lo, s14
	v_cndmask_b32_e64 v7, 0, 1, s15
	s_or_b32 exec_lo, exec_lo, s13
                                        ; implicit-def: $vgpr8
	s_and_saveexec_b32 s13, s3
	s_cbranch_execz .LBB535_71
.LBB535_96:
	s_waitcnt vmcnt(0) lgkmcnt(0)
	v_lshrrev_b32_e32 v8, 16, v2
	v_mov_b32_e32 v1, 0
	v_mov_b32_e32 v2, 0
	s_and_not1_b32 vcc_lo, exec_lo, s8
	s_cbranch_vccnz .LBB535_100
; %bb.97:
	v_dual_mov_b32 v5, s18 :: v_dual_mov_b32 v6, s19
	s_mov_b32 s14, 0
	.p2align	6
.LBB535_98:                             ; =>This Inner Loop Header: Depth=1
	s_delay_alu instid0(VALU_DEP_1) | instskip(NEXT) | instid1(VALU_DEP_2)
	v_sub_co_u32 v11, vcc_lo, v5, v1
	v_sub_co_ci_u32_e32 v12, vcc_lo, v6, v2, vcc_lo
	s_delay_alu instid0(VALU_DEP_1) | instskip(SKIP_1) | instid1(VALU_DEP_2)
	v_lshrrev_b64 v[13:14], 1, v[11:12]
	v_lshrrev_b64 v[11:12], 6, v[11:12]
	v_add_co_u32 v13, vcc_lo, v13, v1
	s_delay_alu instid0(VALU_DEP_3) | instskip(NEXT) | instid1(VALU_DEP_2)
	v_add_co_ci_u32_e32 v14, vcc_lo, v14, v2, vcc_lo
	v_add_co_u32 v11, vcc_lo, v13, v11
	s_delay_alu instid0(VALU_DEP_2) | instskip(NEXT) | instid1(VALU_DEP_1)
	v_add_co_ci_u32_e32 v12, vcc_lo, v14, v12, vcc_lo
	v_lshlrev_b64 v[13:14], 1, v[11:12]
	s_delay_alu instid0(VALU_DEP_1) | instskip(NEXT) | instid1(VALU_DEP_2)
	v_add_co_u32 v13, vcc_lo, s16, v13
	v_add_co_ci_u32_e32 v14, vcc_lo, s17, v14, vcc_lo
	global_load_u16 v13, v[13:14], off
	v_add_co_u32 v14, vcc_lo, v11, 1
	v_add_co_ci_u32_e32 v15, vcc_lo, 0, v12, vcc_lo
	s_waitcnt vmcnt(0)
	v_cmp_lt_i16_e32 vcc_lo, v13, v8
	v_dual_cndmask_b32 v6, v12, v6 :: v_dual_cndmask_b32 v5, v11, v5
	s_delay_alu instid0(VALU_DEP_3) | instskip(NEXT) | instid1(VALU_DEP_1)
	v_dual_cndmask_b32 v2, v2, v15 :: v_dual_cndmask_b32 v1, v1, v14
	v_cmp_ge_u64_e32 vcc_lo, v[1:2], v[5:6]
	s_or_b32 s14, vcc_lo, s14
	s_delay_alu instid0(SALU_CYCLE_1)
	s_and_not1_b32 exec_lo, exec_lo, s14
	s_cbranch_execnz .LBB535_98
; %bb.99:
	s_or_b32 exec_lo, exec_lo, s14
.LBB535_100:
	s_mov_b32 s15, 0
	s_mov_b32 s14, exec_lo
	v_cmpx_ne_u64_e64 s[18:19], v[1:2]
	s_cbranch_execz .LBB535_102
; %bb.101:
	v_lshlrev_b64 v[1:2], 1, v[1:2]
	s_delay_alu instid0(VALU_DEP_1) | instskip(NEXT) | instid1(VALU_DEP_2)
	v_add_co_u32 v1, vcc_lo, s16, v1
	v_add_co_ci_u32_e32 v2, vcc_lo, s17, v2, vcc_lo
	global_load_u16 v1, v[1:2], off
	s_waitcnt vmcnt(0)
	v_cmp_le_i16_e32 vcc_lo, v1, v8
	s_and_b32 s15, vcc_lo, exec_lo
.LBB535_102:
	s_or_b32 exec_lo, exec_lo, s14
	v_cndmask_b32_e64 v8, 0, 1, s15
	s_or_b32 exec_lo, exec_lo, s13
                                        ; implicit-def: $vgpr11
	s_and_saveexec_b32 s13, s4
	s_cbranch_execz .LBB535_72
.LBB535_103:
	s_waitcnt vmcnt(0) lgkmcnt(0)
	v_mov_b32_e32 v1, 0
	v_mov_b32_e32 v2, 0
	s_and_not1_b32 vcc_lo, exec_lo, s8
	s_cbranch_vccnz .LBB535_107
; %bb.104:
	v_dual_mov_b32 v5, s18 :: v_dual_mov_b32 v6, s19
	s_mov_b32 s14, 0
	.p2align	6
.LBB535_105:                            ; =>This Inner Loop Header: Depth=1
	s_delay_alu instid0(VALU_DEP_1) | instskip(NEXT) | instid1(VALU_DEP_2)
	v_sub_co_u32 v11, vcc_lo, v5, v1
	v_sub_co_ci_u32_e32 v12, vcc_lo, v6, v2, vcc_lo
	s_delay_alu instid0(VALU_DEP_1) | instskip(SKIP_1) | instid1(VALU_DEP_2)
	v_lshrrev_b64 v[13:14], 1, v[11:12]
	v_lshrrev_b64 v[11:12], 6, v[11:12]
	v_add_co_u32 v13, vcc_lo, v13, v1
	s_delay_alu instid0(VALU_DEP_3) | instskip(NEXT) | instid1(VALU_DEP_2)
	v_add_co_ci_u32_e32 v14, vcc_lo, v14, v2, vcc_lo
	v_add_co_u32 v11, vcc_lo, v13, v11
	s_delay_alu instid0(VALU_DEP_2) | instskip(NEXT) | instid1(VALU_DEP_1)
	v_add_co_ci_u32_e32 v12, vcc_lo, v14, v12, vcc_lo
	v_lshlrev_b64 v[13:14], 1, v[11:12]
	s_delay_alu instid0(VALU_DEP_1) | instskip(NEXT) | instid1(VALU_DEP_2)
	v_add_co_u32 v13, vcc_lo, s16, v13
	v_add_co_ci_u32_e32 v14, vcc_lo, s17, v14, vcc_lo
	global_load_u16 v13, v[13:14], off
	v_add_co_u32 v14, vcc_lo, v11, 1
	v_add_co_ci_u32_e32 v15, vcc_lo, 0, v12, vcc_lo
	s_waitcnt vmcnt(0)
	v_cmp_lt_i16_e32 vcc_lo, v13, v3
	v_dual_cndmask_b32 v6, v12, v6 :: v_dual_cndmask_b32 v5, v11, v5
	s_delay_alu instid0(VALU_DEP_3) | instskip(NEXT) | instid1(VALU_DEP_1)
	v_dual_cndmask_b32 v2, v2, v15 :: v_dual_cndmask_b32 v1, v1, v14
	v_cmp_ge_u64_e32 vcc_lo, v[1:2], v[5:6]
	s_or_b32 s14, vcc_lo, s14
	s_delay_alu instid0(SALU_CYCLE_1)
	s_and_not1_b32 exec_lo, exec_lo, s14
	s_cbranch_execnz .LBB535_105
; %bb.106:
	s_or_b32 exec_lo, exec_lo, s14
.LBB535_107:
	s_mov_b32 s15, 0
	s_mov_b32 s14, exec_lo
	v_cmpx_ne_u64_e64 s[18:19], v[1:2]
	s_cbranch_execz .LBB535_109
; %bb.108:
	v_lshlrev_b64 v[1:2], 1, v[1:2]
	s_delay_alu instid0(VALU_DEP_1) | instskip(NEXT) | instid1(VALU_DEP_2)
	v_add_co_u32 v1, vcc_lo, s16, v1
	v_add_co_ci_u32_e32 v2, vcc_lo, s17, v2, vcc_lo
	global_load_u16 v1, v[1:2], off
	s_waitcnt vmcnt(0)
	v_cmp_le_i16_e32 vcc_lo, v1, v3
	s_and_b32 s15, vcc_lo, exec_lo
.LBB535_109:
	s_or_b32 exec_lo, exec_lo, s14
	v_cndmask_b32_e64 v11, 0, 1, s15
	s_or_b32 exec_lo, exec_lo, s13
                                        ; implicit-def: $vgpr12
	s_and_saveexec_b32 s13, s5
	s_cbranch_execz .LBB535_73
.LBB535_110:
	s_waitcnt vmcnt(0) lgkmcnt(0)
	v_mov_b32_e32 v1, 0
	v_lshrrev_b32_e32 v3, 16, v3
	v_mov_b32_e32 v2, 0
	s_and_not1_b32 vcc_lo, exec_lo, s8
	s_cbranch_vccnz .LBB535_114
; %bb.111:
	v_dual_mov_b32 v5, s18 :: v_dual_mov_b32 v6, s19
	s_mov_b32 s14, 0
	.p2align	6
.LBB535_112:                            ; =>This Inner Loop Header: Depth=1
	s_delay_alu instid0(VALU_DEP_1) | instskip(NEXT) | instid1(VALU_DEP_2)
	v_sub_co_u32 v12, vcc_lo, v5, v1
	v_sub_co_ci_u32_e32 v13, vcc_lo, v6, v2, vcc_lo
	s_delay_alu instid0(VALU_DEP_1) | instskip(SKIP_1) | instid1(VALU_DEP_2)
	v_lshrrev_b64 v[14:15], 1, v[12:13]
	v_lshrrev_b64 v[12:13], 6, v[12:13]
	v_add_co_u32 v14, vcc_lo, v14, v1
	s_delay_alu instid0(VALU_DEP_3) | instskip(NEXT) | instid1(VALU_DEP_2)
	v_add_co_ci_u32_e32 v15, vcc_lo, v15, v2, vcc_lo
	v_add_co_u32 v12, vcc_lo, v14, v12
	s_delay_alu instid0(VALU_DEP_2) | instskip(NEXT) | instid1(VALU_DEP_1)
	v_add_co_ci_u32_e32 v13, vcc_lo, v15, v13, vcc_lo
	v_lshlrev_b64 v[14:15], 1, v[12:13]
	s_delay_alu instid0(VALU_DEP_1) | instskip(NEXT) | instid1(VALU_DEP_2)
	v_add_co_u32 v14, vcc_lo, s16, v14
	v_add_co_ci_u32_e32 v15, vcc_lo, s17, v15, vcc_lo
	global_load_u16 v14, v[14:15], off
	v_add_co_u32 v15, vcc_lo, v12, 1
	v_add_co_ci_u32_e32 v16, vcc_lo, 0, v13, vcc_lo
	s_waitcnt vmcnt(0)
	v_cmp_lt_i16_e32 vcc_lo, v14, v3
	v_dual_cndmask_b32 v6, v13, v6 :: v_dual_cndmask_b32 v5, v12, v5
	s_delay_alu instid0(VALU_DEP_3) | instskip(NEXT) | instid1(VALU_DEP_1)
	v_dual_cndmask_b32 v2, v2, v16 :: v_dual_cndmask_b32 v1, v1, v15
	v_cmp_ge_u64_e32 vcc_lo, v[1:2], v[5:6]
	s_or_b32 s14, vcc_lo, s14
	s_delay_alu instid0(SALU_CYCLE_1)
	s_and_not1_b32 exec_lo, exec_lo, s14
	s_cbranch_execnz .LBB535_112
; %bb.113:
	s_or_b32 exec_lo, exec_lo, s14
.LBB535_114:
	s_mov_b32 s15, 0
	s_mov_b32 s14, exec_lo
	v_cmpx_ne_u64_e64 s[18:19], v[1:2]
	s_cbranch_execz .LBB535_116
; %bb.115:
	v_lshlrev_b64 v[1:2], 1, v[1:2]
	s_delay_alu instid0(VALU_DEP_1) | instskip(NEXT) | instid1(VALU_DEP_2)
	v_add_co_u32 v1, vcc_lo, s16, v1
	v_add_co_ci_u32_e32 v2, vcc_lo, s17, v2, vcc_lo
	global_load_u16 v1, v[1:2], off
	s_waitcnt vmcnt(0)
	v_cmp_le_i16_e32 vcc_lo, v1, v3
	s_and_b32 s15, vcc_lo, exec_lo
.LBB535_116:
	s_or_b32 exec_lo, exec_lo, s14
	v_cndmask_b32_e64 v12, 0, 1, s15
	s_or_b32 exec_lo, exec_lo, s13
                                        ; implicit-def: $vgpr5
	s_and_saveexec_b32 s13, s6
	s_cbranch_execz .LBB535_74
.LBB535_117:
	s_waitcnt vmcnt(0) lgkmcnt(0)
	v_mov_b32_e32 v1, 0
	v_mov_b32_e32 v2, 0
	s_and_not1_b32 vcc_lo, exec_lo, s8
	s_cbranch_vccnz .LBB535_121
; %bb.118:
	v_dual_mov_b32 v5, s18 :: v_dual_mov_b32 v6, s19
	s_mov_b32 s14, 0
	.p2align	6
.LBB535_119:                            ; =>This Inner Loop Header: Depth=1
	s_delay_alu instid0(VALU_DEP_1) | instskip(NEXT) | instid1(VALU_DEP_2)
	v_sub_co_u32 v13, vcc_lo, v5, v1
	v_sub_co_ci_u32_e32 v14, vcc_lo, v6, v2, vcc_lo
	s_delay_alu instid0(VALU_DEP_1) | instskip(SKIP_1) | instid1(VALU_DEP_2)
	v_lshrrev_b64 v[15:16], 1, v[13:14]
	v_lshrrev_b64 v[13:14], 6, v[13:14]
	v_add_co_u32 v3, vcc_lo, v15, v1
	s_delay_alu instid0(VALU_DEP_3) | instskip(NEXT) | instid1(VALU_DEP_2)
	v_add_co_ci_u32_e32 v15, vcc_lo, v16, v2, vcc_lo
	v_add_co_u32 v13, vcc_lo, v3, v13
	s_delay_alu instid0(VALU_DEP_2) | instskip(NEXT) | instid1(VALU_DEP_1)
	v_add_co_ci_u32_e32 v14, vcc_lo, v15, v14, vcc_lo
	v_lshlrev_b64 v[15:16], 1, v[13:14]
	s_delay_alu instid0(VALU_DEP_1) | instskip(NEXT) | instid1(VALU_DEP_2)
	v_add_co_u32 v15, vcc_lo, s16, v15
	v_add_co_ci_u32_e32 v16, vcc_lo, s17, v16, vcc_lo
	global_load_u16 v3, v[15:16], off
	v_add_co_u32 v15, vcc_lo, v13, 1
	v_add_co_ci_u32_e32 v16, vcc_lo, 0, v14, vcc_lo
	s_waitcnt vmcnt(0)
	v_cmp_lt_i16_e32 vcc_lo, v3, v4
	v_dual_cndmask_b32 v6, v14, v6 :: v_dual_cndmask_b32 v5, v13, v5
	s_delay_alu instid0(VALU_DEP_3) | instskip(NEXT) | instid1(VALU_DEP_1)
	v_dual_cndmask_b32 v2, v2, v16 :: v_dual_cndmask_b32 v1, v1, v15
	v_cmp_ge_u64_e32 vcc_lo, v[1:2], v[5:6]
	s_or_b32 s14, vcc_lo, s14
	s_delay_alu instid0(SALU_CYCLE_1)
	s_and_not1_b32 exec_lo, exec_lo, s14
	s_cbranch_execnz .LBB535_119
; %bb.120:
	s_or_b32 exec_lo, exec_lo, s14
.LBB535_121:
	s_mov_b32 s15, 0
	s_mov_b32 s14, exec_lo
	v_cmpx_ne_u64_e64 s[18:19], v[1:2]
	s_cbranch_execz .LBB535_123
; %bb.122:
	v_lshlrev_b64 v[1:2], 1, v[1:2]
	s_delay_alu instid0(VALU_DEP_1) | instskip(NEXT) | instid1(VALU_DEP_2)
	v_add_co_u32 v1, vcc_lo, s16, v1
	v_add_co_ci_u32_e32 v2, vcc_lo, s17, v2, vcc_lo
	global_load_u16 v1, v[1:2], off
	s_waitcnt vmcnt(0)
	v_cmp_le_i16_e32 vcc_lo, v1, v4
	s_and_b32 s15, vcc_lo, exec_lo
.LBB535_123:
	s_or_b32 exec_lo, exec_lo, s14
	v_cndmask_b32_e64 v5, 0, 1, s15
	s_or_b32 exec_lo, exec_lo, s13
                                        ; implicit-def: $vgpr3
	s_and_saveexec_b32 s13, s7
	s_cbranch_execz .LBB535_131
.LBB535_124:
	s_waitcnt vmcnt(0) lgkmcnt(0)
	v_mov_b32_e32 v1, 0
	v_lshrrev_b32_e32 v6, 16, v4
	v_mov_b32_e32 v2, 0
	s_and_not1_b32 vcc_lo, exec_lo, s8
	s_cbranch_vccnz .LBB535_128
; %bb.125:
	v_dual_mov_b32 v3, s18 :: v_dual_mov_b32 v4, s19
	s_mov_b32 s8, 0
	.p2align	6
.LBB535_126:                            ; =>This Inner Loop Header: Depth=1
	s_delay_alu instid0(VALU_DEP_1) | instskip(NEXT) | instid1(VALU_DEP_2)
	v_sub_co_u32 v13, vcc_lo, v3, v1
	v_sub_co_ci_u32_e32 v14, vcc_lo, v4, v2, vcc_lo
	s_delay_alu instid0(VALU_DEP_1) | instskip(SKIP_1) | instid1(VALU_DEP_2)
	v_lshrrev_b64 v[15:16], 1, v[13:14]
	v_lshrrev_b64 v[13:14], 6, v[13:14]
	v_add_co_u32 v15, vcc_lo, v15, v1
	s_delay_alu instid0(VALU_DEP_3) | instskip(NEXT) | instid1(VALU_DEP_2)
	v_add_co_ci_u32_e32 v16, vcc_lo, v16, v2, vcc_lo
	v_add_co_u32 v13, vcc_lo, v15, v13
	s_delay_alu instid0(VALU_DEP_2) | instskip(NEXT) | instid1(VALU_DEP_1)
	v_add_co_ci_u32_e32 v14, vcc_lo, v16, v14, vcc_lo
	v_lshlrev_b64 v[15:16], 1, v[13:14]
	s_delay_alu instid0(VALU_DEP_1) | instskip(NEXT) | instid1(VALU_DEP_2)
	v_add_co_u32 v15, vcc_lo, s16, v15
	v_add_co_ci_u32_e32 v16, vcc_lo, s17, v16, vcc_lo
	global_load_u16 v15, v[15:16], off
	v_add_co_u32 v16, vcc_lo, v13, 1
	v_add_co_ci_u32_e32 v17, vcc_lo, 0, v14, vcc_lo
	s_waitcnt vmcnt(0)
	v_cmp_lt_i16_e32 vcc_lo, v15, v6
	v_dual_cndmask_b32 v4, v14, v4 :: v_dual_cndmask_b32 v3, v13, v3
	s_delay_alu instid0(VALU_DEP_3) | instskip(NEXT) | instid1(VALU_DEP_1)
	v_dual_cndmask_b32 v2, v2, v17 :: v_dual_cndmask_b32 v1, v1, v16
	v_cmp_ge_u64_e32 vcc_lo, v[1:2], v[3:4]
	s_or_b32 s8, vcc_lo, s8
	s_delay_alu instid0(SALU_CYCLE_1)
	s_and_not1_b32 exec_lo, exec_lo, s8
	s_cbranch_execnz .LBB535_126
; %bb.127:
	s_or_b32 exec_lo, exec_lo, s8
.LBB535_128:
	s_mov_b32 s14, 0
	s_mov_b32 s8, exec_lo
	v_cmpx_ne_u64_e64 s[18:19], v[1:2]
	s_cbranch_execz .LBB535_130
; %bb.129:
	v_lshlrev_b64 v[1:2], 1, v[1:2]
	s_delay_alu instid0(VALU_DEP_1) | instskip(NEXT) | instid1(VALU_DEP_2)
	v_add_co_u32 v1, vcc_lo, s16, v1
	v_add_co_ci_u32_e32 v2, vcc_lo, s17, v2, vcc_lo
	global_load_u16 v1, v[1:2], off
	s_waitcnt vmcnt(0)
	v_cmp_le_i16_e32 vcc_lo, v1, v6
	s_and_b32 s14, vcc_lo, exec_lo
.LBB535_130:
	s_or_b32 exec_lo, exec_lo, s8
	v_cndmask_b32_e64 v3, 0, 1, s14
.LBB535_131:
	s_or_b32 exec_lo, exec_lo, s13
	s_add_u32 s8, s9, s10
	s_addc_u32 s9, s12, 0
	s_waitcnt vmcnt(0) lgkmcnt(0)
	v_add_co_u32 v1, s8, s8, v0
	s_delay_alu instid0(VALU_DEP_1) | instskip(SKIP_1) | instid1(SALU_CYCLE_1)
	v_add_co_ci_u32_e64 v2, null, s9, 0, s8
	s_and_saveexec_b32 s8, s0
	s_xor_b32 s0, exec_lo, s8
	s_cbranch_execnz .LBB535_144
; %bb.132:
	s_or_b32 exec_lo, exec_lo, s0
	s_and_saveexec_b32 s0, s1
	s_cbranch_execnz .LBB535_145
.LBB535_133:
	s_or_b32 exec_lo, exec_lo, s0
	s_and_saveexec_b32 s0, s2
	s_cbranch_execnz .LBB535_146
.LBB535_134:
	s_or_b32 exec_lo, exec_lo, s0
	s_and_saveexec_b32 s0, s3
	s_cbranch_execnz .LBB535_147
.LBB535_135:
	s_or_b32 exec_lo, exec_lo, s0
	s_and_saveexec_b32 s0, s4
	s_cbranch_execnz .LBB535_148
.LBB535_136:
	s_or_b32 exec_lo, exec_lo, s0
	s_and_saveexec_b32 s0, s5
	s_cbranch_execnz .LBB535_149
.LBB535_137:
	s_or_b32 exec_lo, exec_lo, s0
	s_and_saveexec_b32 s0, s6
	s_cbranch_execnz .LBB535_150
.LBB535_138:
	s_or_b32 exec_lo, exec_lo, s0
	s_and_saveexec_b32 s0, s7
.LBB535_139:
	s_or_b32 s11, s11, exec_lo
.LBB535_140:
	s_or_b32 exec_lo, exec_lo, s0
.LBB535_141:
	s_and_saveexec_b32 s0, s11
	s_cbranch_execnz .LBB535_143
; %bb.142:
	s_endpgm
.LBB535_143:
	flat_store_b8 v[1:2], v3 offset:448
	s_endpgm
.LBB535_144:
	flat_store_b8 v[1:2], v9
	s_or_b32 exec_lo, exec_lo, s0
	s_and_saveexec_b32 s0, s1
	s_cbranch_execz .LBB535_133
.LBB535_145:
	flat_store_b8 v[1:2], v10 offset:64
	s_or_b32 exec_lo, exec_lo, s0
	s_and_saveexec_b32 s0, s2
	s_cbranch_execz .LBB535_134
.LBB535_146:
	flat_store_b8 v[1:2], v7 offset:128
	s_or_b32 exec_lo, exec_lo, s0
	s_and_saveexec_b32 s0, s3
	s_cbranch_execz .LBB535_135
.LBB535_147:
	flat_store_b8 v[1:2], v8 offset:192
	s_or_b32 exec_lo, exec_lo, s0
	s_and_saveexec_b32 s0, s4
	s_cbranch_execz .LBB535_136
.LBB535_148:
	flat_store_b8 v[1:2], v11 offset:256
	s_or_b32 exec_lo, exec_lo, s0
	s_and_saveexec_b32 s0, s5
	s_cbranch_execz .LBB535_137
.LBB535_149:
	flat_store_b8 v[1:2], v12 offset:320
	s_or_b32 exec_lo, exec_lo, s0
	s_and_saveexec_b32 s0, s6
	s_cbranch_execz .LBB535_138
.LBB535_150:
	flat_store_b8 v[1:2], v5 offset:384
	s_or_b32 exec_lo, exec_lo, s0
	s_and_saveexec_b32 s0, s7
	s_cbranch_execnz .LBB535_139
	s_branch .LBB535_140
	.section	.rodata,"a",@progbits
	.p2align	6, 0x0
	.amdhsa_kernel _ZN7rocprim17ROCPRIM_400000_NS6detail17trampoline_kernelINS0_14default_configENS1_29binary_search_config_selectorIsbEEZNS1_14transform_implILb0ES3_S5_N6thrust23THRUST_200600_302600_NS6detail15normal_iteratorINS8_10device_ptrIsEEEENSA_INSB_IbEEEEZNS1_13binary_searchIS3_S5_SD_SD_SF_NS1_16binary_search_opENS9_16wrapped_functionINS0_4lessIvEEbEEEE10hipError_tPvRmT1_T2_T3_mmT4_T5_P12ihipStream_tbEUlRKsE_EESM_SQ_SR_mSS_SV_bEUlT_E_NS1_11comp_targetILNS1_3genE9ELNS1_11target_archE1100ELNS1_3gpuE3ELNS1_3repE0EEENS1_30default_config_static_selectorELNS0_4arch9wavefront6targetE0EEEvSP_
		.amdhsa_group_segment_fixed_size 0
		.amdhsa_private_segment_fixed_size 0
		.amdhsa_kernarg_size 312
		.amdhsa_user_sgpr_count 15
		.amdhsa_user_sgpr_dispatch_ptr 0
		.amdhsa_user_sgpr_queue_ptr 0
		.amdhsa_user_sgpr_kernarg_segment_ptr 1
		.amdhsa_user_sgpr_dispatch_id 0
		.amdhsa_user_sgpr_private_segment_size 0
		.amdhsa_wavefront_size32 1
		.amdhsa_uses_dynamic_stack 0
		.amdhsa_enable_private_segment 0
		.amdhsa_system_sgpr_workgroup_id_x 1
		.amdhsa_system_sgpr_workgroup_id_y 0
		.amdhsa_system_sgpr_workgroup_id_z 0
		.amdhsa_system_sgpr_workgroup_info 0
		.amdhsa_system_vgpr_workitem_id 0
		.amdhsa_next_free_vgpr 18
		.amdhsa_next_free_sgpr 20
		.amdhsa_reserve_vcc 1
		.amdhsa_float_round_mode_32 0
		.amdhsa_float_round_mode_16_64 0
		.amdhsa_float_denorm_mode_32 3
		.amdhsa_float_denorm_mode_16_64 3
		.amdhsa_dx10_clamp 1
		.amdhsa_ieee_mode 1
		.amdhsa_fp16_overflow 0
		.amdhsa_workgroup_processor_mode 1
		.amdhsa_memory_ordered 1
		.amdhsa_forward_progress 0
		.amdhsa_shared_vgpr_count 0
		.amdhsa_exception_fp_ieee_invalid_op 0
		.amdhsa_exception_fp_denorm_src 0
		.amdhsa_exception_fp_ieee_div_zero 0
		.amdhsa_exception_fp_ieee_overflow 0
		.amdhsa_exception_fp_ieee_underflow 0
		.amdhsa_exception_fp_ieee_inexact 0
		.amdhsa_exception_int_div_zero 0
	.end_amdhsa_kernel
	.section	.text._ZN7rocprim17ROCPRIM_400000_NS6detail17trampoline_kernelINS0_14default_configENS1_29binary_search_config_selectorIsbEEZNS1_14transform_implILb0ES3_S5_N6thrust23THRUST_200600_302600_NS6detail15normal_iteratorINS8_10device_ptrIsEEEENSA_INSB_IbEEEEZNS1_13binary_searchIS3_S5_SD_SD_SF_NS1_16binary_search_opENS9_16wrapped_functionINS0_4lessIvEEbEEEE10hipError_tPvRmT1_T2_T3_mmT4_T5_P12ihipStream_tbEUlRKsE_EESM_SQ_SR_mSS_SV_bEUlT_E_NS1_11comp_targetILNS1_3genE9ELNS1_11target_archE1100ELNS1_3gpuE3ELNS1_3repE0EEENS1_30default_config_static_selectorELNS0_4arch9wavefront6targetE0EEEvSP_,"axG",@progbits,_ZN7rocprim17ROCPRIM_400000_NS6detail17trampoline_kernelINS0_14default_configENS1_29binary_search_config_selectorIsbEEZNS1_14transform_implILb0ES3_S5_N6thrust23THRUST_200600_302600_NS6detail15normal_iteratorINS8_10device_ptrIsEEEENSA_INSB_IbEEEEZNS1_13binary_searchIS3_S5_SD_SD_SF_NS1_16binary_search_opENS9_16wrapped_functionINS0_4lessIvEEbEEEE10hipError_tPvRmT1_T2_T3_mmT4_T5_P12ihipStream_tbEUlRKsE_EESM_SQ_SR_mSS_SV_bEUlT_E_NS1_11comp_targetILNS1_3genE9ELNS1_11target_archE1100ELNS1_3gpuE3ELNS1_3repE0EEENS1_30default_config_static_selectorELNS0_4arch9wavefront6targetE0EEEvSP_,comdat
.Lfunc_end535:
	.size	_ZN7rocprim17ROCPRIM_400000_NS6detail17trampoline_kernelINS0_14default_configENS1_29binary_search_config_selectorIsbEEZNS1_14transform_implILb0ES3_S5_N6thrust23THRUST_200600_302600_NS6detail15normal_iteratorINS8_10device_ptrIsEEEENSA_INSB_IbEEEEZNS1_13binary_searchIS3_S5_SD_SD_SF_NS1_16binary_search_opENS9_16wrapped_functionINS0_4lessIvEEbEEEE10hipError_tPvRmT1_T2_T3_mmT4_T5_P12ihipStream_tbEUlRKsE_EESM_SQ_SR_mSS_SV_bEUlT_E_NS1_11comp_targetILNS1_3genE9ELNS1_11target_archE1100ELNS1_3gpuE3ELNS1_3repE0EEENS1_30default_config_static_selectorELNS0_4arch9wavefront6targetE0EEEvSP_, .Lfunc_end535-_ZN7rocprim17ROCPRIM_400000_NS6detail17trampoline_kernelINS0_14default_configENS1_29binary_search_config_selectorIsbEEZNS1_14transform_implILb0ES3_S5_N6thrust23THRUST_200600_302600_NS6detail15normal_iteratorINS8_10device_ptrIsEEEENSA_INSB_IbEEEEZNS1_13binary_searchIS3_S5_SD_SD_SF_NS1_16binary_search_opENS9_16wrapped_functionINS0_4lessIvEEbEEEE10hipError_tPvRmT1_T2_T3_mmT4_T5_P12ihipStream_tbEUlRKsE_EESM_SQ_SR_mSS_SV_bEUlT_E_NS1_11comp_targetILNS1_3genE9ELNS1_11target_archE1100ELNS1_3gpuE3ELNS1_3repE0EEENS1_30default_config_static_selectorELNS0_4arch9wavefront6targetE0EEEvSP_
                                        ; -- End function
	.section	.AMDGPU.csdata,"",@progbits
; Kernel info:
; codeLenInByte = 5736
; NumSgprs: 22
; NumVgprs: 18
; ScratchSize: 0
; MemoryBound: 0
; FloatMode: 240
; IeeeMode: 1
; LDSByteSize: 0 bytes/workgroup (compile time only)
; SGPRBlocks: 2
; VGPRBlocks: 2
; NumSGPRsForWavesPerEU: 22
; NumVGPRsForWavesPerEU: 18
; Occupancy: 16
; WaveLimiterHint : 1
; COMPUTE_PGM_RSRC2:SCRATCH_EN: 0
; COMPUTE_PGM_RSRC2:USER_SGPR: 15
; COMPUTE_PGM_RSRC2:TRAP_HANDLER: 0
; COMPUTE_PGM_RSRC2:TGID_X_EN: 1
; COMPUTE_PGM_RSRC2:TGID_Y_EN: 0
; COMPUTE_PGM_RSRC2:TGID_Z_EN: 0
; COMPUTE_PGM_RSRC2:TIDIG_COMP_CNT: 0
	.section	.text._ZN7rocprim17ROCPRIM_400000_NS6detail17trampoline_kernelINS0_14default_configENS1_29binary_search_config_selectorIsbEEZNS1_14transform_implILb0ES3_S5_N6thrust23THRUST_200600_302600_NS6detail15normal_iteratorINS8_10device_ptrIsEEEENSA_INSB_IbEEEEZNS1_13binary_searchIS3_S5_SD_SD_SF_NS1_16binary_search_opENS9_16wrapped_functionINS0_4lessIvEEbEEEE10hipError_tPvRmT1_T2_T3_mmT4_T5_P12ihipStream_tbEUlRKsE_EESM_SQ_SR_mSS_SV_bEUlT_E_NS1_11comp_targetILNS1_3genE8ELNS1_11target_archE1030ELNS1_3gpuE2ELNS1_3repE0EEENS1_30default_config_static_selectorELNS0_4arch9wavefront6targetE0EEEvSP_,"axG",@progbits,_ZN7rocprim17ROCPRIM_400000_NS6detail17trampoline_kernelINS0_14default_configENS1_29binary_search_config_selectorIsbEEZNS1_14transform_implILb0ES3_S5_N6thrust23THRUST_200600_302600_NS6detail15normal_iteratorINS8_10device_ptrIsEEEENSA_INSB_IbEEEEZNS1_13binary_searchIS3_S5_SD_SD_SF_NS1_16binary_search_opENS9_16wrapped_functionINS0_4lessIvEEbEEEE10hipError_tPvRmT1_T2_T3_mmT4_T5_P12ihipStream_tbEUlRKsE_EESM_SQ_SR_mSS_SV_bEUlT_E_NS1_11comp_targetILNS1_3genE8ELNS1_11target_archE1030ELNS1_3gpuE2ELNS1_3repE0EEENS1_30default_config_static_selectorELNS0_4arch9wavefront6targetE0EEEvSP_,comdat
	.protected	_ZN7rocprim17ROCPRIM_400000_NS6detail17trampoline_kernelINS0_14default_configENS1_29binary_search_config_selectorIsbEEZNS1_14transform_implILb0ES3_S5_N6thrust23THRUST_200600_302600_NS6detail15normal_iteratorINS8_10device_ptrIsEEEENSA_INSB_IbEEEEZNS1_13binary_searchIS3_S5_SD_SD_SF_NS1_16binary_search_opENS9_16wrapped_functionINS0_4lessIvEEbEEEE10hipError_tPvRmT1_T2_T3_mmT4_T5_P12ihipStream_tbEUlRKsE_EESM_SQ_SR_mSS_SV_bEUlT_E_NS1_11comp_targetILNS1_3genE8ELNS1_11target_archE1030ELNS1_3gpuE2ELNS1_3repE0EEENS1_30default_config_static_selectorELNS0_4arch9wavefront6targetE0EEEvSP_ ; -- Begin function _ZN7rocprim17ROCPRIM_400000_NS6detail17trampoline_kernelINS0_14default_configENS1_29binary_search_config_selectorIsbEEZNS1_14transform_implILb0ES3_S5_N6thrust23THRUST_200600_302600_NS6detail15normal_iteratorINS8_10device_ptrIsEEEENSA_INSB_IbEEEEZNS1_13binary_searchIS3_S5_SD_SD_SF_NS1_16binary_search_opENS9_16wrapped_functionINS0_4lessIvEEbEEEE10hipError_tPvRmT1_T2_T3_mmT4_T5_P12ihipStream_tbEUlRKsE_EESM_SQ_SR_mSS_SV_bEUlT_E_NS1_11comp_targetILNS1_3genE8ELNS1_11target_archE1030ELNS1_3gpuE2ELNS1_3repE0EEENS1_30default_config_static_selectorELNS0_4arch9wavefront6targetE0EEEvSP_
	.globl	_ZN7rocprim17ROCPRIM_400000_NS6detail17trampoline_kernelINS0_14default_configENS1_29binary_search_config_selectorIsbEEZNS1_14transform_implILb0ES3_S5_N6thrust23THRUST_200600_302600_NS6detail15normal_iteratorINS8_10device_ptrIsEEEENSA_INSB_IbEEEEZNS1_13binary_searchIS3_S5_SD_SD_SF_NS1_16binary_search_opENS9_16wrapped_functionINS0_4lessIvEEbEEEE10hipError_tPvRmT1_T2_T3_mmT4_T5_P12ihipStream_tbEUlRKsE_EESM_SQ_SR_mSS_SV_bEUlT_E_NS1_11comp_targetILNS1_3genE8ELNS1_11target_archE1030ELNS1_3gpuE2ELNS1_3repE0EEENS1_30default_config_static_selectorELNS0_4arch9wavefront6targetE0EEEvSP_
	.p2align	8
	.type	_ZN7rocprim17ROCPRIM_400000_NS6detail17trampoline_kernelINS0_14default_configENS1_29binary_search_config_selectorIsbEEZNS1_14transform_implILb0ES3_S5_N6thrust23THRUST_200600_302600_NS6detail15normal_iteratorINS8_10device_ptrIsEEEENSA_INSB_IbEEEEZNS1_13binary_searchIS3_S5_SD_SD_SF_NS1_16binary_search_opENS9_16wrapped_functionINS0_4lessIvEEbEEEE10hipError_tPvRmT1_T2_T3_mmT4_T5_P12ihipStream_tbEUlRKsE_EESM_SQ_SR_mSS_SV_bEUlT_E_NS1_11comp_targetILNS1_3genE8ELNS1_11target_archE1030ELNS1_3gpuE2ELNS1_3repE0EEENS1_30default_config_static_selectorELNS0_4arch9wavefront6targetE0EEEvSP_,@function
_ZN7rocprim17ROCPRIM_400000_NS6detail17trampoline_kernelINS0_14default_configENS1_29binary_search_config_selectorIsbEEZNS1_14transform_implILb0ES3_S5_N6thrust23THRUST_200600_302600_NS6detail15normal_iteratorINS8_10device_ptrIsEEEENSA_INSB_IbEEEEZNS1_13binary_searchIS3_S5_SD_SD_SF_NS1_16binary_search_opENS9_16wrapped_functionINS0_4lessIvEEbEEEE10hipError_tPvRmT1_T2_T3_mmT4_T5_P12ihipStream_tbEUlRKsE_EESM_SQ_SR_mSS_SV_bEUlT_E_NS1_11comp_targetILNS1_3genE8ELNS1_11target_archE1030ELNS1_3gpuE2ELNS1_3repE0EEENS1_30default_config_static_selectorELNS0_4arch9wavefront6targetE0EEEvSP_: ; @_ZN7rocprim17ROCPRIM_400000_NS6detail17trampoline_kernelINS0_14default_configENS1_29binary_search_config_selectorIsbEEZNS1_14transform_implILb0ES3_S5_N6thrust23THRUST_200600_302600_NS6detail15normal_iteratorINS8_10device_ptrIsEEEENSA_INSB_IbEEEEZNS1_13binary_searchIS3_S5_SD_SD_SF_NS1_16binary_search_opENS9_16wrapped_functionINS0_4lessIvEEbEEEE10hipError_tPvRmT1_T2_T3_mmT4_T5_P12ihipStream_tbEUlRKsE_EESM_SQ_SR_mSS_SV_bEUlT_E_NS1_11comp_targetILNS1_3genE8ELNS1_11target_archE1030ELNS1_3gpuE2ELNS1_3repE0EEENS1_30default_config_static_selectorELNS0_4arch9wavefront6targetE0EEEvSP_
; %bb.0:
	.section	.rodata,"a",@progbits
	.p2align	6, 0x0
	.amdhsa_kernel _ZN7rocprim17ROCPRIM_400000_NS6detail17trampoline_kernelINS0_14default_configENS1_29binary_search_config_selectorIsbEEZNS1_14transform_implILb0ES3_S5_N6thrust23THRUST_200600_302600_NS6detail15normal_iteratorINS8_10device_ptrIsEEEENSA_INSB_IbEEEEZNS1_13binary_searchIS3_S5_SD_SD_SF_NS1_16binary_search_opENS9_16wrapped_functionINS0_4lessIvEEbEEEE10hipError_tPvRmT1_T2_T3_mmT4_T5_P12ihipStream_tbEUlRKsE_EESM_SQ_SR_mSS_SV_bEUlT_E_NS1_11comp_targetILNS1_3genE8ELNS1_11target_archE1030ELNS1_3gpuE2ELNS1_3repE0EEENS1_30default_config_static_selectorELNS0_4arch9wavefront6targetE0EEEvSP_
		.amdhsa_group_segment_fixed_size 0
		.amdhsa_private_segment_fixed_size 0
		.amdhsa_kernarg_size 56
		.amdhsa_user_sgpr_count 15
		.amdhsa_user_sgpr_dispatch_ptr 0
		.amdhsa_user_sgpr_queue_ptr 0
		.amdhsa_user_sgpr_kernarg_segment_ptr 1
		.amdhsa_user_sgpr_dispatch_id 0
		.amdhsa_user_sgpr_private_segment_size 0
		.amdhsa_wavefront_size32 1
		.amdhsa_uses_dynamic_stack 0
		.amdhsa_enable_private_segment 0
		.amdhsa_system_sgpr_workgroup_id_x 1
		.amdhsa_system_sgpr_workgroup_id_y 0
		.amdhsa_system_sgpr_workgroup_id_z 0
		.amdhsa_system_sgpr_workgroup_info 0
		.amdhsa_system_vgpr_workitem_id 0
		.amdhsa_next_free_vgpr 1
		.amdhsa_next_free_sgpr 1
		.amdhsa_reserve_vcc 0
		.amdhsa_float_round_mode_32 0
		.amdhsa_float_round_mode_16_64 0
		.amdhsa_float_denorm_mode_32 3
		.amdhsa_float_denorm_mode_16_64 3
		.amdhsa_dx10_clamp 1
		.amdhsa_ieee_mode 1
		.amdhsa_fp16_overflow 0
		.amdhsa_workgroup_processor_mode 1
		.amdhsa_memory_ordered 1
		.amdhsa_forward_progress 0
		.amdhsa_shared_vgpr_count 0
		.amdhsa_exception_fp_ieee_invalid_op 0
		.amdhsa_exception_fp_denorm_src 0
		.amdhsa_exception_fp_ieee_div_zero 0
		.amdhsa_exception_fp_ieee_overflow 0
		.amdhsa_exception_fp_ieee_underflow 0
		.amdhsa_exception_fp_ieee_inexact 0
		.amdhsa_exception_int_div_zero 0
	.end_amdhsa_kernel
	.section	.text._ZN7rocprim17ROCPRIM_400000_NS6detail17trampoline_kernelINS0_14default_configENS1_29binary_search_config_selectorIsbEEZNS1_14transform_implILb0ES3_S5_N6thrust23THRUST_200600_302600_NS6detail15normal_iteratorINS8_10device_ptrIsEEEENSA_INSB_IbEEEEZNS1_13binary_searchIS3_S5_SD_SD_SF_NS1_16binary_search_opENS9_16wrapped_functionINS0_4lessIvEEbEEEE10hipError_tPvRmT1_T2_T3_mmT4_T5_P12ihipStream_tbEUlRKsE_EESM_SQ_SR_mSS_SV_bEUlT_E_NS1_11comp_targetILNS1_3genE8ELNS1_11target_archE1030ELNS1_3gpuE2ELNS1_3repE0EEENS1_30default_config_static_selectorELNS0_4arch9wavefront6targetE0EEEvSP_,"axG",@progbits,_ZN7rocprim17ROCPRIM_400000_NS6detail17trampoline_kernelINS0_14default_configENS1_29binary_search_config_selectorIsbEEZNS1_14transform_implILb0ES3_S5_N6thrust23THRUST_200600_302600_NS6detail15normal_iteratorINS8_10device_ptrIsEEEENSA_INSB_IbEEEEZNS1_13binary_searchIS3_S5_SD_SD_SF_NS1_16binary_search_opENS9_16wrapped_functionINS0_4lessIvEEbEEEE10hipError_tPvRmT1_T2_T3_mmT4_T5_P12ihipStream_tbEUlRKsE_EESM_SQ_SR_mSS_SV_bEUlT_E_NS1_11comp_targetILNS1_3genE8ELNS1_11target_archE1030ELNS1_3gpuE2ELNS1_3repE0EEENS1_30default_config_static_selectorELNS0_4arch9wavefront6targetE0EEEvSP_,comdat
.Lfunc_end536:
	.size	_ZN7rocprim17ROCPRIM_400000_NS6detail17trampoline_kernelINS0_14default_configENS1_29binary_search_config_selectorIsbEEZNS1_14transform_implILb0ES3_S5_N6thrust23THRUST_200600_302600_NS6detail15normal_iteratorINS8_10device_ptrIsEEEENSA_INSB_IbEEEEZNS1_13binary_searchIS3_S5_SD_SD_SF_NS1_16binary_search_opENS9_16wrapped_functionINS0_4lessIvEEbEEEE10hipError_tPvRmT1_T2_T3_mmT4_T5_P12ihipStream_tbEUlRKsE_EESM_SQ_SR_mSS_SV_bEUlT_E_NS1_11comp_targetILNS1_3genE8ELNS1_11target_archE1030ELNS1_3gpuE2ELNS1_3repE0EEENS1_30default_config_static_selectorELNS0_4arch9wavefront6targetE0EEEvSP_, .Lfunc_end536-_ZN7rocprim17ROCPRIM_400000_NS6detail17trampoline_kernelINS0_14default_configENS1_29binary_search_config_selectorIsbEEZNS1_14transform_implILb0ES3_S5_N6thrust23THRUST_200600_302600_NS6detail15normal_iteratorINS8_10device_ptrIsEEEENSA_INSB_IbEEEEZNS1_13binary_searchIS3_S5_SD_SD_SF_NS1_16binary_search_opENS9_16wrapped_functionINS0_4lessIvEEbEEEE10hipError_tPvRmT1_T2_T3_mmT4_T5_P12ihipStream_tbEUlRKsE_EESM_SQ_SR_mSS_SV_bEUlT_E_NS1_11comp_targetILNS1_3genE8ELNS1_11target_archE1030ELNS1_3gpuE2ELNS1_3repE0EEENS1_30default_config_static_selectorELNS0_4arch9wavefront6targetE0EEEvSP_
                                        ; -- End function
	.section	.AMDGPU.csdata,"",@progbits
; Kernel info:
; codeLenInByte = 0
; NumSgprs: 0
; NumVgprs: 0
; ScratchSize: 0
; MemoryBound: 0
; FloatMode: 240
; IeeeMode: 1
; LDSByteSize: 0 bytes/workgroup (compile time only)
; SGPRBlocks: 0
; VGPRBlocks: 0
; NumSGPRsForWavesPerEU: 1
; NumVGPRsForWavesPerEU: 1
; Occupancy: 16
; WaveLimiterHint : 0
; COMPUTE_PGM_RSRC2:SCRATCH_EN: 0
; COMPUTE_PGM_RSRC2:USER_SGPR: 15
; COMPUTE_PGM_RSRC2:TRAP_HANDLER: 0
; COMPUTE_PGM_RSRC2:TGID_X_EN: 1
; COMPUTE_PGM_RSRC2:TGID_Y_EN: 0
; COMPUTE_PGM_RSRC2:TGID_Z_EN: 0
; COMPUTE_PGM_RSRC2:TIDIG_COMP_CNT: 0
	.section	.text._ZN7rocprim17ROCPRIM_400000_NS6detail17trampoline_kernelINS0_14default_configENS1_29binary_search_config_selectorIsiEEZNS1_14transform_implILb0ES3_S5_N6thrust23THRUST_200600_302600_NS6detail15normal_iteratorINS8_10device_ptrIsEEEENSA_INSB_IiEEEEZNS1_13binary_searchIS3_S5_SD_SD_SF_NS1_16binary_search_opENS9_16wrapped_functionINS0_4lessIvEEbEEEE10hipError_tPvRmT1_T2_T3_mmT4_T5_P12ihipStream_tbEUlRKsE_EESM_SQ_SR_mSS_SV_bEUlT_E_NS1_11comp_targetILNS1_3genE0ELNS1_11target_archE4294967295ELNS1_3gpuE0ELNS1_3repE0EEENS1_30default_config_static_selectorELNS0_4arch9wavefront6targetE0EEEvSP_,"axG",@progbits,_ZN7rocprim17ROCPRIM_400000_NS6detail17trampoline_kernelINS0_14default_configENS1_29binary_search_config_selectorIsiEEZNS1_14transform_implILb0ES3_S5_N6thrust23THRUST_200600_302600_NS6detail15normal_iteratorINS8_10device_ptrIsEEEENSA_INSB_IiEEEEZNS1_13binary_searchIS3_S5_SD_SD_SF_NS1_16binary_search_opENS9_16wrapped_functionINS0_4lessIvEEbEEEE10hipError_tPvRmT1_T2_T3_mmT4_T5_P12ihipStream_tbEUlRKsE_EESM_SQ_SR_mSS_SV_bEUlT_E_NS1_11comp_targetILNS1_3genE0ELNS1_11target_archE4294967295ELNS1_3gpuE0ELNS1_3repE0EEENS1_30default_config_static_selectorELNS0_4arch9wavefront6targetE0EEEvSP_,comdat
	.protected	_ZN7rocprim17ROCPRIM_400000_NS6detail17trampoline_kernelINS0_14default_configENS1_29binary_search_config_selectorIsiEEZNS1_14transform_implILb0ES3_S5_N6thrust23THRUST_200600_302600_NS6detail15normal_iteratorINS8_10device_ptrIsEEEENSA_INSB_IiEEEEZNS1_13binary_searchIS3_S5_SD_SD_SF_NS1_16binary_search_opENS9_16wrapped_functionINS0_4lessIvEEbEEEE10hipError_tPvRmT1_T2_T3_mmT4_T5_P12ihipStream_tbEUlRKsE_EESM_SQ_SR_mSS_SV_bEUlT_E_NS1_11comp_targetILNS1_3genE0ELNS1_11target_archE4294967295ELNS1_3gpuE0ELNS1_3repE0EEENS1_30default_config_static_selectorELNS0_4arch9wavefront6targetE0EEEvSP_ ; -- Begin function _ZN7rocprim17ROCPRIM_400000_NS6detail17trampoline_kernelINS0_14default_configENS1_29binary_search_config_selectorIsiEEZNS1_14transform_implILb0ES3_S5_N6thrust23THRUST_200600_302600_NS6detail15normal_iteratorINS8_10device_ptrIsEEEENSA_INSB_IiEEEEZNS1_13binary_searchIS3_S5_SD_SD_SF_NS1_16binary_search_opENS9_16wrapped_functionINS0_4lessIvEEbEEEE10hipError_tPvRmT1_T2_T3_mmT4_T5_P12ihipStream_tbEUlRKsE_EESM_SQ_SR_mSS_SV_bEUlT_E_NS1_11comp_targetILNS1_3genE0ELNS1_11target_archE4294967295ELNS1_3gpuE0ELNS1_3repE0EEENS1_30default_config_static_selectorELNS0_4arch9wavefront6targetE0EEEvSP_
	.globl	_ZN7rocprim17ROCPRIM_400000_NS6detail17trampoline_kernelINS0_14default_configENS1_29binary_search_config_selectorIsiEEZNS1_14transform_implILb0ES3_S5_N6thrust23THRUST_200600_302600_NS6detail15normal_iteratorINS8_10device_ptrIsEEEENSA_INSB_IiEEEEZNS1_13binary_searchIS3_S5_SD_SD_SF_NS1_16binary_search_opENS9_16wrapped_functionINS0_4lessIvEEbEEEE10hipError_tPvRmT1_T2_T3_mmT4_T5_P12ihipStream_tbEUlRKsE_EESM_SQ_SR_mSS_SV_bEUlT_E_NS1_11comp_targetILNS1_3genE0ELNS1_11target_archE4294967295ELNS1_3gpuE0ELNS1_3repE0EEENS1_30default_config_static_selectorELNS0_4arch9wavefront6targetE0EEEvSP_
	.p2align	8
	.type	_ZN7rocprim17ROCPRIM_400000_NS6detail17trampoline_kernelINS0_14default_configENS1_29binary_search_config_selectorIsiEEZNS1_14transform_implILb0ES3_S5_N6thrust23THRUST_200600_302600_NS6detail15normal_iteratorINS8_10device_ptrIsEEEENSA_INSB_IiEEEEZNS1_13binary_searchIS3_S5_SD_SD_SF_NS1_16binary_search_opENS9_16wrapped_functionINS0_4lessIvEEbEEEE10hipError_tPvRmT1_T2_T3_mmT4_T5_P12ihipStream_tbEUlRKsE_EESM_SQ_SR_mSS_SV_bEUlT_E_NS1_11comp_targetILNS1_3genE0ELNS1_11target_archE4294967295ELNS1_3gpuE0ELNS1_3repE0EEENS1_30default_config_static_selectorELNS0_4arch9wavefront6targetE0EEEvSP_,@function
_ZN7rocprim17ROCPRIM_400000_NS6detail17trampoline_kernelINS0_14default_configENS1_29binary_search_config_selectorIsiEEZNS1_14transform_implILb0ES3_S5_N6thrust23THRUST_200600_302600_NS6detail15normal_iteratorINS8_10device_ptrIsEEEENSA_INSB_IiEEEEZNS1_13binary_searchIS3_S5_SD_SD_SF_NS1_16binary_search_opENS9_16wrapped_functionINS0_4lessIvEEbEEEE10hipError_tPvRmT1_T2_T3_mmT4_T5_P12ihipStream_tbEUlRKsE_EESM_SQ_SR_mSS_SV_bEUlT_E_NS1_11comp_targetILNS1_3genE0ELNS1_11target_archE4294967295ELNS1_3gpuE0ELNS1_3repE0EEENS1_30default_config_static_selectorELNS0_4arch9wavefront6targetE0EEEvSP_: ; @_ZN7rocprim17ROCPRIM_400000_NS6detail17trampoline_kernelINS0_14default_configENS1_29binary_search_config_selectorIsiEEZNS1_14transform_implILb0ES3_S5_N6thrust23THRUST_200600_302600_NS6detail15normal_iteratorINS8_10device_ptrIsEEEENSA_INSB_IiEEEEZNS1_13binary_searchIS3_S5_SD_SD_SF_NS1_16binary_search_opENS9_16wrapped_functionINS0_4lessIvEEbEEEE10hipError_tPvRmT1_T2_T3_mmT4_T5_P12ihipStream_tbEUlRKsE_EESM_SQ_SR_mSS_SV_bEUlT_E_NS1_11comp_targetILNS1_3genE0ELNS1_11target_archE4294967295ELNS1_3gpuE0ELNS1_3repE0EEENS1_30default_config_static_selectorELNS0_4arch9wavefront6targetE0EEEvSP_
; %bb.0:
	.section	.rodata,"a",@progbits
	.p2align	6, 0x0
	.amdhsa_kernel _ZN7rocprim17ROCPRIM_400000_NS6detail17trampoline_kernelINS0_14default_configENS1_29binary_search_config_selectorIsiEEZNS1_14transform_implILb0ES3_S5_N6thrust23THRUST_200600_302600_NS6detail15normal_iteratorINS8_10device_ptrIsEEEENSA_INSB_IiEEEEZNS1_13binary_searchIS3_S5_SD_SD_SF_NS1_16binary_search_opENS9_16wrapped_functionINS0_4lessIvEEbEEEE10hipError_tPvRmT1_T2_T3_mmT4_T5_P12ihipStream_tbEUlRKsE_EESM_SQ_SR_mSS_SV_bEUlT_E_NS1_11comp_targetILNS1_3genE0ELNS1_11target_archE4294967295ELNS1_3gpuE0ELNS1_3repE0EEENS1_30default_config_static_selectorELNS0_4arch9wavefront6targetE0EEEvSP_
		.amdhsa_group_segment_fixed_size 0
		.amdhsa_private_segment_fixed_size 0
		.amdhsa_kernarg_size 56
		.amdhsa_user_sgpr_count 15
		.amdhsa_user_sgpr_dispatch_ptr 0
		.amdhsa_user_sgpr_queue_ptr 0
		.amdhsa_user_sgpr_kernarg_segment_ptr 1
		.amdhsa_user_sgpr_dispatch_id 0
		.amdhsa_user_sgpr_private_segment_size 0
		.amdhsa_wavefront_size32 1
		.amdhsa_uses_dynamic_stack 0
		.amdhsa_enable_private_segment 0
		.amdhsa_system_sgpr_workgroup_id_x 1
		.amdhsa_system_sgpr_workgroup_id_y 0
		.amdhsa_system_sgpr_workgroup_id_z 0
		.amdhsa_system_sgpr_workgroup_info 0
		.amdhsa_system_vgpr_workitem_id 0
		.amdhsa_next_free_vgpr 1
		.amdhsa_next_free_sgpr 1
		.amdhsa_reserve_vcc 0
		.amdhsa_float_round_mode_32 0
		.amdhsa_float_round_mode_16_64 0
		.amdhsa_float_denorm_mode_32 3
		.amdhsa_float_denorm_mode_16_64 3
		.amdhsa_dx10_clamp 1
		.amdhsa_ieee_mode 1
		.amdhsa_fp16_overflow 0
		.amdhsa_workgroup_processor_mode 1
		.amdhsa_memory_ordered 1
		.amdhsa_forward_progress 0
		.amdhsa_shared_vgpr_count 0
		.amdhsa_exception_fp_ieee_invalid_op 0
		.amdhsa_exception_fp_denorm_src 0
		.amdhsa_exception_fp_ieee_div_zero 0
		.amdhsa_exception_fp_ieee_overflow 0
		.amdhsa_exception_fp_ieee_underflow 0
		.amdhsa_exception_fp_ieee_inexact 0
		.amdhsa_exception_int_div_zero 0
	.end_amdhsa_kernel
	.section	.text._ZN7rocprim17ROCPRIM_400000_NS6detail17trampoline_kernelINS0_14default_configENS1_29binary_search_config_selectorIsiEEZNS1_14transform_implILb0ES3_S5_N6thrust23THRUST_200600_302600_NS6detail15normal_iteratorINS8_10device_ptrIsEEEENSA_INSB_IiEEEEZNS1_13binary_searchIS3_S5_SD_SD_SF_NS1_16binary_search_opENS9_16wrapped_functionINS0_4lessIvEEbEEEE10hipError_tPvRmT1_T2_T3_mmT4_T5_P12ihipStream_tbEUlRKsE_EESM_SQ_SR_mSS_SV_bEUlT_E_NS1_11comp_targetILNS1_3genE0ELNS1_11target_archE4294967295ELNS1_3gpuE0ELNS1_3repE0EEENS1_30default_config_static_selectorELNS0_4arch9wavefront6targetE0EEEvSP_,"axG",@progbits,_ZN7rocprim17ROCPRIM_400000_NS6detail17trampoline_kernelINS0_14default_configENS1_29binary_search_config_selectorIsiEEZNS1_14transform_implILb0ES3_S5_N6thrust23THRUST_200600_302600_NS6detail15normal_iteratorINS8_10device_ptrIsEEEENSA_INSB_IiEEEEZNS1_13binary_searchIS3_S5_SD_SD_SF_NS1_16binary_search_opENS9_16wrapped_functionINS0_4lessIvEEbEEEE10hipError_tPvRmT1_T2_T3_mmT4_T5_P12ihipStream_tbEUlRKsE_EESM_SQ_SR_mSS_SV_bEUlT_E_NS1_11comp_targetILNS1_3genE0ELNS1_11target_archE4294967295ELNS1_3gpuE0ELNS1_3repE0EEENS1_30default_config_static_selectorELNS0_4arch9wavefront6targetE0EEEvSP_,comdat
.Lfunc_end537:
	.size	_ZN7rocprim17ROCPRIM_400000_NS6detail17trampoline_kernelINS0_14default_configENS1_29binary_search_config_selectorIsiEEZNS1_14transform_implILb0ES3_S5_N6thrust23THRUST_200600_302600_NS6detail15normal_iteratorINS8_10device_ptrIsEEEENSA_INSB_IiEEEEZNS1_13binary_searchIS3_S5_SD_SD_SF_NS1_16binary_search_opENS9_16wrapped_functionINS0_4lessIvEEbEEEE10hipError_tPvRmT1_T2_T3_mmT4_T5_P12ihipStream_tbEUlRKsE_EESM_SQ_SR_mSS_SV_bEUlT_E_NS1_11comp_targetILNS1_3genE0ELNS1_11target_archE4294967295ELNS1_3gpuE0ELNS1_3repE0EEENS1_30default_config_static_selectorELNS0_4arch9wavefront6targetE0EEEvSP_, .Lfunc_end537-_ZN7rocprim17ROCPRIM_400000_NS6detail17trampoline_kernelINS0_14default_configENS1_29binary_search_config_selectorIsiEEZNS1_14transform_implILb0ES3_S5_N6thrust23THRUST_200600_302600_NS6detail15normal_iteratorINS8_10device_ptrIsEEEENSA_INSB_IiEEEEZNS1_13binary_searchIS3_S5_SD_SD_SF_NS1_16binary_search_opENS9_16wrapped_functionINS0_4lessIvEEbEEEE10hipError_tPvRmT1_T2_T3_mmT4_T5_P12ihipStream_tbEUlRKsE_EESM_SQ_SR_mSS_SV_bEUlT_E_NS1_11comp_targetILNS1_3genE0ELNS1_11target_archE4294967295ELNS1_3gpuE0ELNS1_3repE0EEENS1_30default_config_static_selectorELNS0_4arch9wavefront6targetE0EEEvSP_
                                        ; -- End function
	.section	.AMDGPU.csdata,"",@progbits
; Kernel info:
; codeLenInByte = 0
; NumSgprs: 0
; NumVgprs: 0
; ScratchSize: 0
; MemoryBound: 0
; FloatMode: 240
; IeeeMode: 1
; LDSByteSize: 0 bytes/workgroup (compile time only)
; SGPRBlocks: 0
; VGPRBlocks: 0
; NumSGPRsForWavesPerEU: 1
; NumVGPRsForWavesPerEU: 1
; Occupancy: 16
; WaveLimiterHint : 0
; COMPUTE_PGM_RSRC2:SCRATCH_EN: 0
; COMPUTE_PGM_RSRC2:USER_SGPR: 15
; COMPUTE_PGM_RSRC2:TRAP_HANDLER: 0
; COMPUTE_PGM_RSRC2:TGID_X_EN: 1
; COMPUTE_PGM_RSRC2:TGID_Y_EN: 0
; COMPUTE_PGM_RSRC2:TGID_Z_EN: 0
; COMPUTE_PGM_RSRC2:TIDIG_COMP_CNT: 0
	.section	.text._ZN7rocprim17ROCPRIM_400000_NS6detail17trampoline_kernelINS0_14default_configENS1_29binary_search_config_selectorIsiEEZNS1_14transform_implILb0ES3_S5_N6thrust23THRUST_200600_302600_NS6detail15normal_iteratorINS8_10device_ptrIsEEEENSA_INSB_IiEEEEZNS1_13binary_searchIS3_S5_SD_SD_SF_NS1_16binary_search_opENS9_16wrapped_functionINS0_4lessIvEEbEEEE10hipError_tPvRmT1_T2_T3_mmT4_T5_P12ihipStream_tbEUlRKsE_EESM_SQ_SR_mSS_SV_bEUlT_E_NS1_11comp_targetILNS1_3genE5ELNS1_11target_archE942ELNS1_3gpuE9ELNS1_3repE0EEENS1_30default_config_static_selectorELNS0_4arch9wavefront6targetE0EEEvSP_,"axG",@progbits,_ZN7rocprim17ROCPRIM_400000_NS6detail17trampoline_kernelINS0_14default_configENS1_29binary_search_config_selectorIsiEEZNS1_14transform_implILb0ES3_S5_N6thrust23THRUST_200600_302600_NS6detail15normal_iteratorINS8_10device_ptrIsEEEENSA_INSB_IiEEEEZNS1_13binary_searchIS3_S5_SD_SD_SF_NS1_16binary_search_opENS9_16wrapped_functionINS0_4lessIvEEbEEEE10hipError_tPvRmT1_T2_T3_mmT4_T5_P12ihipStream_tbEUlRKsE_EESM_SQ_SR_mSS_SV_bEUlT_E_NS1_11comp_targetILNS1_3genE5ELNS1_11target_archE942ELNS1_3gpuE9ELNS1_3repE0EEENS1_30default_config_static_selectorELNS0_4arch9wavefront6targetE0EEEvSP_,comdat
	.protected	_ZN7rocprim17ROCPRIM_400000_NS6detail17trampoline_kernelINS0_14default_configENS1_29binary_search_config_selectorIsiEEZNS1_14transform_implILb0ES3_S5_N6thrust23THRUST_200600_302600_NS6detail15normal_iteratorINS8_10device_ptrIsEEEENSA_INSB_IiEEEEZNS1_13binary_searchIS3_S5_SD_SD_SF_NS1_16binary_search_opENS9_16wrapped_functionINS0_4lessIvEEbEEEE10hipError_tPvRmT1_T2_T3_mmT4_T5_P12ihipStream_tbEUlRKsE_EESM_SQ_SR_mSS_SV_bEUlT_E_NS1_11comp_targetILNS1_3genE5ELNS1_11target_archE942ELNS1_3gpuE9ELNS1_3repE0EEENS1_30default_config_static_selectorELNS0_4arch9wavefront6targetE0EEEvSP_ ; -- Begin function _ZN7rocprim17ROCPRIM_400000_NS6detail17trampoline_kernelINS0_14default_configENS1_29binary_search_config_selectorIsiEEZNS1_14transform_implILb0ES3_S5_N6thrust23THRUST_200600_302600_NS6detail15normal_iteratorINS8_10device_ptrIsEEEENSA_INSB_IiEEEEZNS1_13binary_searchIS3_S5_SD_SD_SF_NS1_16binary_search_opENS9_16wrapped_functionINS0_4lessIvEEbEEEE10hipError_tPvRmT1_T2_T3_mmT4_T5_P12ihipStream_tbEUlRKsE_EESM_SQ_SR_mSS_SV_bEUlT_E_NS1_11comp_targetILNS1_3genE5ELNS1_11target_archE942ELNS1_3gpuE9ELNS1_3repE0EEENS1_30default_config_static_selectorELNS0_4arch9wavefront6targetE0EEEvSP_
	.globl	_ZN7rocprim17ROCPRIM_400000_NS6detail17trampoline_kernelINS0_14default_configENS1_29binary_search_config_selectorIsiEEZNS1_14transform_implILb0ES3_S5_N6thrust23THRUST_200600_302600_NS6detail15normal_iteratorINS8_10device_ptrIsEEEENSA_INSB_IiEEEEZNS1_13binary_searchIS3_S5_SD_SD_SF_NS1_16binary_search_opENS9_16wrapped_functionINS0_4lessIvEEbEEEE10hipError_tPvRmT1_T2_T3_mmT4_T5_P12ihipStream_tbEUlRKsE_EESM_SQ_SR_mSS_SV_bEUlT_E_NS1_11comp_targetILNS1_3genE5ELNS1_11target_archE942ELNS1_3gpuE9ELNS1_3repE0EEENS1_30default_config_static_selectorELNS0_4arch9wavefront6targetE0EEEvSP_
	.p2align	8
	.type	_ZN7rocprim17ROCPRIM_400000_NS6detail17trampoline_kernelINS0_14default_configENS1_29binary_search_config_selectorIsiEEZNS1_14transform_implILb0ES3_S5_N6thrust23THRUST_200600_302600_NS6detail15normal_iteratorINS8_10device_ptrIsEEEENSA_INSB_IiEEEEZNS1_13binary_searchIS3_S5_SD_SD_SF_NS1_16binary_search_opENS9_16wrapped_functionINS0_4lessIvEEbEEEE10hipError_tPvRmT1_T2_T3_mmT4_T5_P12ihipStream_tbEUlRKsE_EESM_SQ_SR_mSS_SV_bEUlT_E_NS1_11comp_targetILNS1_3genE5ELNS1_11target_archE942ELNS1_3gpuE9ELNS1_3repE0EEENS1_30default_config_static_selectorELNS0_4arch9wavefront6targetE0EEEvSP_,@function
_ZN7rocprim17ROCPRIM_400000_NS6detail17trampoline_kernelINS0_14default_configENS1_29binary_search_config_selectorIsiEEZNS1_14transform_implILb0ES3_S5_N6thrust23THRUST_200600_302600_NS6detail15normal_iteratorINS8_10device_ptrIsEEEENSA_INSB_IiEEEEZNS1_13binary_searchIS3_S5_SD_SD_SF_NS1_16binary_search_opENS9_16wrapped_functionINS0_4lessIvEEbEEEE10hipError_tPvRmT1_T2_T3_mmT4_T5_P12ihipStream_tbEUlRKsE_EESM_SQ_SR_mSS_SV_bEUlT_E_NS1_11comp_targetILNS1_3genE5ELNS1_11target_archE942ELNS1_3gpuE9ELNS1_3repE0EEENS1_30default_config_static_selectorELNS0_4arch9wavefront6targetE0EEEvSP_: ; @_ZN7rocprim17ROCPRIM_400000_NS6detail17trampoline_kernelINS0_14default_configENS1_29binary_search_config_selectorIsiEEZNS1_14transform_implILb0ES3_S5_N6thrust23THRUST_200600_302600_NS6detail15normal_iteratorINS8_10device_ptrIsEEEENSA_INSB_IiEEEEZNS1_13binary_searchIS3_S5_SD_SD_SF_NS1_16binary_search_opENS9_16wrapped_functionINS0_4lessIvEEbEEEE10hipError_tPvRmT1_T2_T3_mmT4_T5_P12ihipStream_tbEUlRKsE_EESM_SQ_SR_mSS_SV_bEUlT_E_NS1_11comp_targetILNS1_3genE5ELNS1_11target_archE942ELNS1_3gpuE9ELNS1_3repE0EEENS1_30default_config_static_selectorELNS0_4arch9wavefront6targetE0EEEvSP_
; %bb.0:
	.section	.rodata,"a",@progbits
	.p2align	6, 0x0
	.amdhsa_kernel _ZN7rocprim17ROCPRIM_400000_NS6detail17trampoline_kernelINS0_14default_configENS1_29binary_search_config_selectorIsiEEZNS1_14transform_implILb0ES3_S5_N6thrust23THRUST_200600_302600_NS6detail15normal_iteratorINS8_10device_ptrIsEEEENSA_INSB_IiEEEEZNS1_13binary_searchIS3_S5_SD_SD_SF_NS1_16binary_search_opENS9_16wrapped_functionINS0_4lessIvEEbEEEE10hipError_tPvRmT1_T2_T3_mmT4_T5_P12ihipStream_tbEUlRKsE_EESM_SQ_SR_mSS_SV_bEUlT_E_NS1_11comp_targetILNS1_3genE5ELNS1_11target_archE942ELNS1_3gpuE9ELNS1_3repE0EEENS1_30default_config_static_selectorELNS0_4arch9wavefront6targetE0EEEvSP_
		.amdhsa_group_segment_fixed_size 0
		.amdhsa_private_segment_fixed_size 0
		.amdhsa_kernarg_size 56
		.amdhsa_user_sgpr_count 15
		.amdhsa_user_sgpr_dispatch_ptr 0
		.amdhsa_user_sgpr_queue_ptr 0
		.amdhsa_user_sgpr_kernarg_segment_ptr 1
		.amdhsa_user_sgpr_dispatch_id 0
		.amdhsa_user_sgpr_private_segment_size 0
		.amdhsa_wavefront_size32 1
		.amdhsa_uses_dynamic_stack 0
		.amdhsa_enable_private_segment 0
		.amdhsa_system_sgpr_workgroup_id_x 1
		.amdhsa_system_sgpr_workgroup_id_y 0
		.amdhsa_system_sgpr_workgroup_id_z 0
		.amdhsa_system_sgpr_workgroup_info 0
		.amdhsa_system_vgpr_workitem_id 0
		.amdhsa_next_free_vgpr 1
		.amdhsa_next_free_sgpr 1
		.amdhsa_reserve_vcc 0
		.amdhsa_float_round_mode_32 0
		.amdhsa_float_round_mode_16_64 0
		.amdhsa_float_denorm_mode_32 3
		.amdhsa_float_denorm_mode_16_64 3
		.amdhsa_dx10_clamp 1
		.amdhsa_ieee_mode 1
		.amdhsa_fp16_overflow 0
		.amdhsa_workgroup_processor_mode 1
		.amdhsa_memory_ordered 1
		.amdhsa_forward_progress 0
		.amdhsa_shared_vgpr_count 0
		.amdhsa_exception_fp_ieee_invalid_op 0
		.amdhsa_exception_fp_denorm_src 0
		.amdhsa_exception_fp_ieee_div_zero 0
		.amdhsa_exception_fp_ieee_overflow 0
		.amdhsa_exception_fp_ieee_underflow 0
		.amdhsa_exception_fp_ieee_inexact 0
		.amdhsa_exception_int_div_zero 0
	.end_amdhsa_kernel
	.section	.text._ZN7rocprim17ROCPRIM_400000_NS6detail17trampoline_kernelINS0_14default_configENS1_29binary_search_config_selectorIsiEEZNS1_14transform_implILb0ES3_S5_N6thrust23THRUST_200600_302600_NS6detail15normal_iteratorINS8_10device_ptrIsEEEENSA_INSB_IiEEEEZNS1_13binary_searchIS3_S5_SD_SD_SF_NS1_16binary_search_opENS9_16wrapped_functionINS0_4lessIvEEbEEEE10hipError_tPvRmT1_T2_T3_mmT4_T5_P12ihipStream_tbEUlRKsE_EESM_SQ_SR_mSS_SV_bEUlT_E_NS1_11comp_targetILNS1_3genE5ELNS1_11target_archE942ELNS1_3gpuE9ELNS1_3repE0EEENS1_30default_config_static_selectorELNS0_4arch9wavefront6targetE0EEEvSP_,"axG",@progbits,_ZN7rocprim17ROCPRIM_400000_NS6detail17trampoline_kernelINS0_14default_configENS1_29binary_search_config_selectorIsiEEZNS1_14transform_implILb0ES3_S5_N6thrust23THRUST_200600_302600_NS6detail15normal_iteratorINS8_10device_ptrIsEEEENSA_INSB_IiEEEEZNS1_13binary_searchIS3_S5_SD_SD_SF_NS1_16binary_search_opENS9_16wrapped_functionINS0_4lessIvEEbEEEE10hipError_tPvRmT1_T2_T3_mmT4_T5_P12ihipStream_tbEUlRKsE_EESM_SQ_SR_mSS_SV_bEUlT_E_NS1_11comp_targetILNS1_3genE5ELNS1_11target_archE942ELNS1_3gpuE9ELNS1_3repE0EEENS1_30default_config_static_selectorELNS0_4arch9wavefront6targetE0EEEvSP_,comdat
.Lfunc_end538:
	.size	_ZN7rocprim17ROCPRIM_400000_NS6detail17trampoline_kernelINS0_14default_configENS1_29binary_search_config_selectorIsiEEZNS1_14transform_implILb0ES3_S5_N6thrust23THRUST_200600_302600_NS6detail15normal_iteratorINS8_10device_ptrIsEEEENSA_INSB_IiEEEEZNS1_13binary_searchIS3_S5_SD_SD_SF_NS1_16binary_search_opENS9_16wrapped_functionINS0_4lessIvEEbEEEE10hipError_tPvRmT1_T2_T3_mmT4_T5_P12ihipStream_tbEUlRKsE_EESM_SQ_SR_mSS_SV_bEUlT_E_NS1_11comp_targetILNS1_3genE5ELNS1_11target_archE942ELNS1_3gpuE9ELNS1_3repE0EEENS1_30default_config_static_selectorELNS0_4arch9wavefront6targetE0EEEvSP_, .Lfunc_end538-_ZN7rocprim17ROCPRIM_400000_NS6detail17trampoline_kernelINS0_14default_configENS1_29binary_search_config_selectorIsiEEZNS1_14transform_implILb0ES3_S5_N6thrust23THRUST_200600_302600_NS6detail15normal_iteratorINS8_10device_ptrIsEEEENSA_INSB_IiEEEEZNS1_13binary_searchIS3_S5_SD_SD_SF_NS1_16binary_search_opENS9_16wrapped_functionINS0_4lessIvEEbEEEE10hipError_tPvRmT1_T2_T3_mmT4_T5_P12ihipStream_tbEUlRKsE_EESM_SQ_SR_mSS_SV_bEUlT_E_NS1_11comp_targetILNS1_3genE5ELNS1_11target_archE942ELNS1_3gpuE9ELNS1_3repE0EEENS1_30default_config_static_selectorELNS0_4arch9wavefront6targetE0EEEvSP_
                                        ; -- End function
	.section	.AMDGPU.csdata,"",@progbits
; Kernel info:
; codeLenInByte = 0
; NumSgprs: 0
; NumVgprs: 0
; ScratchSize: 0
; MemoryBound: 0
; FloatMode: 240
; IeeeMode: 1
; LDSByteSize: 0 bytes/workgroup (compile time only)
; SGPRBlocks: 0
; VGPRBlocks: 0
; NumSGPRsForWavesPerEU: 1
; NumVGPRsForWavesPerEU: 1
; Occupancy: 16
; WaveLimiterHint : 0
; COMPUTE_PGM_RSRC2:SCRATCH_EN: 0
; COMPUTE_PGM_RSRC2:USER_SGPR: 15
; COMPUTE_PGM_RSRC2:TRAP_HANDLER: 0
; COMPUTE_PGM_RSRC2:TGID_X_EN: 1
; COMPUTE_PGM_RSRC2:TGID_Y_EN: 0
; COMPUTE_PGM_RSRC2:TGID_Z_EN: 0
; COMPUTE_PGM_RSRC2:TIDIG_COMP_CNT: 0
	.section	.text._ZN7rocprim17ROCPRIM_400000_NS6detail17trampoline_kernelINS0_14default_configENS1_29binary_search_config_selectorIsiEEZNS1_14transform_implILb0ES3_S5_N6thrust23THRUST_200600_302600_NS6detail15normal_iteratorINS8_10device_ptrIsEEEENSA_INSB_IiEEEEZNS1_13binary_searchIS3_S5_SD_SD_SF_NS1_16binary_search_opENS9_16wrapped_functionINS0_4lessIvEEbEEEE10hipError_tPvRmT1_T2_T3_mmT4_T5_P12ihipStream_tbEUlRKsE_EESM_SQ_SR_mSS_SV_bEUlT_E_NS1_11comp_targetILNS1_3genE4ELNS1_11target_archE910ELNS1_3gpuE8ELNS1_3repE0EEENS1_30default_config_static_selectorELNS0_4arch9wavefront6targetE0EEEvSP_,"axG",@progbits,_ZN7rocprim17ROCPRIM_400000_NS6detail17trampoline_kernelINS0_14default_configENS1_29binary_search_config_selectorIsiEEZNS1_14transform_implILb0ES3_S5_N6thrust23THRUST_200600_302600_NS6detail15normal_iteratorINS8_10device_ptrIsEEEENSA_INSB_IiEEEEZNS1_13binary_searchIS3_S5_SD_SD_SF_NS1_16binary_search_opENS9_16wrapped_functionINS0_4lessIvEEbEEEE10hipError_tPvRmT1_T2_T3_mmT4_T5_P12ihipStream_tbEUlRKsE_EESM_SQ_SR_mSS_SV_bEUlT_E_NS1_11comp_targetILNS1_3genE4ELNS1_11target_archE910ELNS1_3gpuE8ELNS1_3repE0EEENS1_30default_config_static_selectorELNS0_4arch9wavefront6targetE0EEEvSP_,comdat
	.protected	_ZN7rocprim17ROCPRIM_400000_NS6detail17trampoline_kernelINS0_14default_configENS1_29binary_search_config_selectorIsiEEZNS1_14transform_implILb0ES3_S5_N6thrust23THRUST_200600_302600_NS6detail15normal_iteratorINS8_10device_ptrIsEEEENSA_INSB_IiEEEEZNS1_13binary_searchIS3_S5_SD_SD_SF_NS1_16binary_search_opENS9_16wrapped_functionINS0_4lessIvEEbEEEE10hipError_tPvRmT1_T2_T3_mmT4_T5_P12ihipStream_tbEUlRKsE_EESM_SQ_SR_mSS_SV_bEUlT_E_NS1_11comp_targetILNS1_3genE4ELNS1_11target_archE910ELNS1_3gpuE8ELNS1_3repE0EEENS1_30default_config_static_selectorELNS0_4arch9wavefront6targetE0EEEvSP_ ; -- Begin function _ZN7rocprim17ROCPRIM_400000_NS6detail17trampoline_kernelINS0_14default_configENS1_29binary_search_config_selectorIsiEEZNS1_14transform_implILb0ES3_S5_N6thrust23THRUST_200600_302600_NS6detail15normal_iteratorINS8_10device_ptrIsEEEENSA_INSB_IiEEEEZNS1_13binary_searchIS3_S5_SD_SD_SF_NS1_16binary_search_opENS9_16wrapped_functionINS0_4lessIvEEbEEEE10hipError_tPvRmT1_T2_T3_mmT4_T5_P12ihipStream_tbEUlRKsE_EESM_SQ_SR_mSS_SV_bEUlT_E_NS1_11comp_targetILNS1_3genE4ELNS1_11target_archE910ELNS1_3gpuE8ELNS1_3repE0EEENS1_30default_config_static_selectorELNS0_4arch9wavefront6targetE0EEEvSP_
	.globl	_ZN7rocprim17ROCPRIM_400000_NS6detail17trampoline_kernelINS0_14default_configENS1_29binary_search_config_selectorIsiEEZNS1_14transform_implILb0ES3_S5_N6thrust23THRUST_200600_302600_NS6detail15normal_iteratorINS8_10device_ptrIsEEEENSA_INSB_IiEEEEZNS1_13binary_searchIS3_S5_SD_SD_SF_NS1_16binary_search_opENS9_16wrapped_functionINS0_4lessIvEEbEEEE10hipError_tPvRmT1_T2_T3_mmT4_T5_P12ihipStream_tbEUlRKsE_EESM_SQ_SR_mSS_SV_bEUlT_E_NS1_11comp_targetILNS1_3genE4ELNS1_11target_archE910ELNS1_3gpuE8ELNS1_3repE0EEENS1_30default_config_static_selectorELNS0_4arch9wavefront6targetE0EEEvSP_
	.p2align	8
	.type	_ZN7rocprim17ROCPRIM_400000_NS6detail17trampoline_kernelINS0_14default_configENS1_29binary_search_config_selectorIsiEEZNS1_14transform_implILb0ES3_S5_N6thrust23THRUST_200600_302600_NS6detail15normal_iteratorINS8_10device_ptrIsEEEENSA_INSB_IiEEEEZNS1_13binary_searchIS3_S5_SD_SD_SF_NS1_16binary_search_opENS9_16wrapped_functionINS0_4lessIvEEbEEEE10hipError_tPvRmT1_T2_T3_mmT4_T5_P12ihipStream_tbEUlRKsE_EESM_SQ_SR_mSS_SV_bEUlT_E_NS1_11comp_targetILNS1_3genE4ELNS1_11target_archE910ELNS1_3gpuE8ELNS1_3repE0EEENS1_30default_config_static_selectorELNS0_4arch9wavefront6targetE0EEEvSP_,@function
_ZN7rocprim17ROCPRIM_400000_NS6detail17trampoline_kernelINS0_14default_configENS1_29binary_search_config_selectorIsiEEZNS1_14transform_implILb0ES3_S5_N6thrust23THRUST_200600_302600_NS6detail15normal_iteratorINS8_10device_ptrIsEEEENSA_INSB_IiEEEEZNS1_13binary_searchIS3_S5_SD_SD_SF_NS1_16binary_search_opENS9_16wrapped_functionINS0_4lessIvEEbEEEE10hipError_tPvRmT1_T2_T3_mmT4_T5_P12ihipStream_tbEUlRKsE_EESM_SQ_SR_mSS_SV_bEUlT_E_NS1_11comp_targetILNS1_3genE4ELNS1_11target_archE910ELNS1_3gpuE8ELNS1_3repE0EEENS1_30default_config_static_selectorELNS0_4arch9wavefront6targetE0EEEvSP_: ; @_ZN7rocprim17ROCPRIM_400000_NS6detail17trampoline_kernelINS0_14default_configENS1_29binary_search_config_selectorIsiEEZNS1_14transform_implILb0ES3_S5_N6thrust23THRUST_200600_302600_NS6detail15normal_iteratorINS8_10device_ptrIsEEEENSA_INSB_IiEEEEZNS1_13binary_searchIS3_S5_SD_SD_SF_NS1_16binary_search_opENS9_16wrapped_functionINS0_4lessIvEEbEEEE10hipError_tPvRmT1_T2_T3_mmT4_T5_P12ihipStream_tbEUlRKsE_EESM_SQ_SR_mSS_SV_bEUlT_E_NS1_11comp_targetILNS1_3genE4ELNS1_11target_archE910ELNS1_3gpuE8ELNS1_3repE0EEENS1_30default_config_static_selectorELNS0_4arch9wavefront6targetE0EEEvSP_
; %bb.0:
	.section	.rodata,"a",@progbits
	.p2align	6, 0x0
	.amdhsa_kernel _ZN7rocprim17ROCPRIM_400000_NS6detail17trampoline_kernelINS0_14default_configENS1_29binary_search_config_selectorIsiEEZNS1_14transform_implILb0ES3_S5_N6thrust23THRUST_200600_302600_NS6detail15normal_iteratorINS8_10device_ptrIsEEEENSA_INSB_IiEEEEZNS1_13binary_searchIS3_S5_SD_SD_SF_NS1_16binary_search_opENS9_16wrapped_functionINS0_4lessIvEEbEEEE10hipError_tPvRmT1_T2_T3_mmT4_T5_P12ihipStream_tbEUlRKsE_EESM_SQ_SR_mSS_SV_bEUlT_E_NS1_11comp_targetILNS1_3genE4ELNS1_11target_archE910ELNS1_3gpuE8ELNS1_3repE0EEENS1_30default_config_static_selectorELNS0_4arch9wavefront6targetE0EEEvSP_
		.amdhsa_group_segment_fixed_size 0
		.amdhsa_private_segment_fixed_size 0
		.amdhsa_kernarg_size 56
		.amdhsa_user_sgpr_count 15
		.amdhsa_user_sgpr_dispatch_ptr 0
		.amdhsa_user_sgpr_queue_ptr 0
		.amdhsa_user_sgpr_kernarg_segment_ptr 1
		.amdhsa_user_sgpr_dispatch_id 0
		.amdhsa_user_sgpr_private_segment_size 0
		.amdhsa_wavefront_size32 1
		.amdhsa_uses_dynamic_stack 0
		.amdhsa_enable_private_segment 0
		.amdhsa_system_sgpr_workgroup_id_x 1
		.amdhsa_system_sgpr_workgroup_id_y 0
		.amdhsa_system_sgpr_workgroup_id_z 0
		.amdhsa_system_sgpr_workgroup_info 0
		.amdhsa_system_vgpr_workitem_id 0
		.amdhsa_next_free_vgpr 1
		.amdhsa_next_free_sgpr 1
		.amdhsa_reserve_vcc 0
		.amdhsa_float_round_mode_32 0
		.amdhsa_float_round_mode_16_64 0
		.amdhsa_float_denorm_mode_32 3
		.amdhsa_float_denorm_mode_16_64 3
		.amdhsa_dx10_clamp 1
		.amdhsa_ieee_mode 1
		.amdhsa_fp16_overflow 0
		.amdhsa_workgroup_processor_mode 1
		.amdhsa_memory_ordered 1
		.amdhsa_forward_progress 0
		.amdhsa_shared_vgpr_count 0
		.amdhsa_exception_fp_ieee_invalid_op 0
		.amdhsa_exception_fp_denorm_src 0
		.amdhsa_exception_fp_ieee_div_zero 0
		.amdhsa_exception_fp_ieee_overflow 0
		.amdhsa_exception_fp_ieee_underflow 0
		.amdhsa_exception_fp_ieee_inexact 0
		.amdhsa_exception_int_div_zero 0
	.end_amdhsa_kernel
	.section	.text._ZN7rocprim17ROCPRIM_400000_NS6detail17trampoline_kernelINS0_14default_configENS1_29binary_search_config_selectorIsiEEZNS1_14transform_implILb0ES3_S5_N6thrust23THRUST_200600_302600_NS6detail15normal_iteratorINS8_10device_ptrIsEEEENSA_INSB_IiEEEEZNS1_13binary_searchIS3_S5_SD_SD_SF_NS1_16binary_search_opENS9_16wrapped_functionINS0_4lessIvEEbEEEE10hipError_tPvRmT1_T2_T3_mmT4_T5_P12ihipStream_tbEUlRKsE_EESM_SQ_SR_mSS_SV_bEUlT_E_NS1_11comp_targetILNS1_3genE4ELNS1_11target_archE910ELNS1_3gpuE8ELNS1_3repE0EEENS1_30default_config_static_selectorELNS0_4arch9wavefront6targetE0EEEvSP_,"axG",@progbits,_ZN7rocprim17ROCPRIM_400000_NS6detail17trampoline_kernelINS0_14default_configENS1_29binary_search_config_selectorIsiEEZNS1_14transform_implILb0ES3_S5_N6thrust23THRUST_200600_302600_NS6detail15normal_iteratorINS8_10device_ptrIsEEEENSA_INSB_IiEEEEZNS1_13binary_searchIS3_S5_SD_SD_SF_NS1_16binary_search_opENS9_16wrapped_functionINS0_4lessIvEEbEEEE10hipError_tPvRmT1_T2_T3_mmT4_T5_P12ihipStream_tbEUlRKsE_EESM_SQ_SR_mSS_SV_bEUlT_E_NS1_11comp_targetILNS1_3genE4ELNS1_11target_archE910ELNS1_3gpuE8ELNS1_3repE0EEENS1_30default_config_static_selectorELNS0_4arch9wavefront6targetE0EEEvSP_,comdat
.Lfunc_end539:
	.size	_ZN7rocprim17ROCPRIM_400000_NS6detail17trampoline_kernelINS0_14default_configENS1_29binary_search_config_selectorIsiEEZNS1_14transform_implILb0ES3_S5_N6thrust23THRUST_200600_302600_NS6detail15normal_iteratorINS8_10device_ptrIsEEEENSA_INSB_IiEEEEZNS1_13binary_searchIS3_S5_SD_SD_SF_NS1_16binary_search_opENS9_16wrapped_functionINS0_4lessIvEEbEEEE10hipError_tPvRmT1_T2_T3_mmT4_T5_P12ihipStream_tbEUlRKsE_EESM_SQ_SR_mSS_SV_bEUlT_E_NS1_11comp_targetILNS1_3genE4ELNS1_11target_archE910ELNS1_3gpuE8ELNS1_3repE0EEENS1_30default_config_static_selectorELNS0_4arch9wavefront6targetE0EEEvSP_, .Lfunc_end539-_ZN7rocprim17ROCPRIM_400000_NS6detail17trampoline_kernelINS0_14default_configENS1_29binary_search_config_selectorIsiEEZNS1_14transform_implILb0ES3_S5_N6thrust23THRUST_200600_302600_NS6detail15normal_iteratorINS8_10device_ptrIsEEEENSA_INSB_IiEEEEZNS1_13binary_searchIS3_S5_SD_SD_SF_NS1_16binary_search_opENS9_16wrapped_functionINS0_4lessIvEEbEEEE10hipError_tPvRmT1_T2_T3_mmT4_T5_P12ihipStream_tbEUlRKsE_EESM_SQ_SR_mSS_SV_bEUlT_E_NS1_11comp_targetILNS1_3genE4ELNS1_11target_archE910ELNS1_3gpuE8ELNS1_3repE0EEENS1_30default_config_static_selectorELNS0_4arch9wavefront6targetE0EEEvSP_
                                        ; -- End function
	.section	.AMDGPU.csdata,"",@progbits
; Kernel info:
; codeLenInByte = 0
; NumSgprs: 0
; NumVgprs: 0
; ScratchSize: 0
; MemoryBound: 0
; FloatMode: 240
; IeeeMode: 1
; LDSByteSize: 0 bytes/workgroup (compile time only)
; SGPRBlocks: 0
; VGPRBlocks: 0
; NumSGPRsForWavesPerEU: 1
; NumVGPRsForWavesPerEU: 1
; Occupancy: 16
; WaveLimiterHint : 0
; COMPUTE_PGM_RSRC2:SCRATCH_EN: 0
; COMPUTE_PGM_RSRC2:USER_SGPR: 15
; COMPUTE_PGM_RSRC2:TRAP_HANDLER: 0
; COMPUTE_PGM_RSRC2:TGID_X_EN: 1
; COMPUTE_PGM_RSRC2:TGID_Y_EN: 0
; COMPUTE_PGM_RSRC2:TGID_Z_EN: 0
; COMPUTE_PGM_RSRC2:TIDIG_COMP_CNT: 0
	.section	.text._ZN7rocprim17ROCPRIM_400000_NS6detail17trampoline_kernelINS0_14default_configENS1_29binary_search_config_selectorIsiEEZNS1_14transform_implILb0ES3_S5_N6thrust23THRUST_200600_302600_NS6detail15normal_iteratorINS8_10device_ptrIsEEEENSA_INSB_IiEEEEZNS1_13binary_searchIS3_S5_SD_SD_SF_NS1_16binary_search_opENS9_16wrapped_functionINS0_4lessIvEEbEEEE10hipError_tPvRmT1_T2_T3_mmT4_T5_P12ihipStream_tbEUlRKsE_EESM_SQ_SR_mSS_SV_bEUlT_E_NS1_11comp_targetILNS1_3genE3ELNS1_11target_archE908ELNS1_3gpuE7ELNS1_3repE0EEENS1_30default_config_static_selectorELNS0_4arch9wavefront6targetE0EEEvSP_,"axG",@progbits,_ZN7rocprim17ROCPRIM_400000_NS6detail17trampoline_kernelINS0_14default_configENS1_29binary_search_config_selectorIsiEEZNS1_14transform_implILb0ES3_S5_N6thrust23THRUST_200600_302600_NS6detail15normal_iteratorINS8_10device_ptrIsEEEENSA_INSB_IiEEEEZNS1_13binary_searchIS3_S5_SD_SD_SF_NS1_16binary_search_opENS9_16wrapped_functionINS0_4lessIvEEbEEEE10hipError_tPvRmT1_T2_T3_mmT4_T5_P12ihipStream_tbEUlRKsE_EESM_SQ_SR_mSS_SV_bEUlT_E_NS1_11comp_targetILNS1_3genE3ELNS1_11target_archE908ELNS1_3gpuE7ELNS1_3repE0EEENS1_30default_config_static_selectorELNS0_4arch9wavefront6targetE0EEEvSP_,comdat
	.protected	_ZN7rocprim17ROCPRIM_400000_NS6detail17trampoline_kernelINS0_14default_configENS1_29binary_search_config_selectorIsiEEZNS1_14transform_implILb0ES3_S5_N6thrust23THRUST_200600_302600_NS6detail15normal_iteratorINS8_10device_ptrIsEEEENSA_INSB_IiEEEEZNS1_13binary_searchIS3_S5_SD_SD_SF_NS1_16binary_search_opENS9_16wrapped_functionINS0_4lessIvEEbEEEE10hipError_tPvRmT1_T2_T3_mmT4_T5_P12ihipStream_tbEUlRKsE_EESM_SQ_SR_mSS_SV_bEUlT_E_NS1_11comp_targetILNS1_3genE3ELNS1_11target_archE908ELNS1_3gpuE7ELNS1_3repE0EEENS1_30default_config_static_selectorELNS0_4arch9wavefront6targetE0EEEvSP_ ; -- Begin function _ZN7rocprim17ROCPRIM_400000_NS6detail17trampoline_kernelINS0_14default_configENS1_29binary_search_config_selectorIsiEEZNS1_14transform_implILb0ES3_S5_N6thrust23THRUST_200600_302600_NS6detail15normal_iteratorINS8_10device_ptrIsEEEENSA_INSB_IiEEEEZNS1_13binary_searchIS3_S5_SD_SD_SF_NS1_16binary_search_opENS9_16wrapped_functionINS0_4lessIvEEbEEEE10hipError_tPvRmT1_T2_T3_mmT4_T5_P12ihipStream_tbEUlRKsE_EESM_SQ_SR_mSS_SV_bEUlT_E_NS1_11comp_targetILNS1_3genE3ELNS1_11target_archE908ELNS1_3gpuE7ELNS1_3repE0EEENS1_30default_config_static_selectorELNS0_4arch9wavefront6targetE0EEEvSP_
	.globl	_ZN7rocprim17ROCPRIM_400000_NS6detail17trampoline_kernelINS0_14default_configENS1_29binary_search_config_selectorIsiEEZNS1_14transform_implILb0ES3_S5_N6thrust23THRUST_200600_302600_NS6detail15normal_iteratorINS8_10device_ptrIsEEEENSA_INSB_IiEEEEZNS1_13binary_searchIS3_S5_SD_SD_SF_NS1_16binary_search_opENS9_16wrapped_functionINS0_4lessIvEEbEEEE10hipError_tPvRmT1_T2_T3_mmT4_T5_P12ihipStream_tbEUlRKsE_EESM_SQ_SR_mSS_SV_bEUlT_E_NS1_11comp_targetILNS1_3genE3ELNS1_11target_archE908ELNS1_3gpuE7ELNS1_3repE0EEENS1_30default_config_static_selectorELNS0_4arch9wavefront6targetE0EEEvSP_
	.p2align	8
	.type	_ZN7rocprim17ROCPRIM_400000_NS6detail17trampoline_kernelINS0_14default_configENS1_29binary_search_config_selectorIsiEEZNS1_14transform_implILb0ES3_S5_N6thrust23THRUST_200600_302600_NS6detail15normal_iteratorINS8_10device_ptrIsEEEENSA_INSB_IiEEEEZNS1_13binary_searchIS3_S5_SD_SD_SF_NS1_16binary_search_opENS9_16wrapped_functionINS0_4lessIvEEbEEEE10hipError_tPvRmT1_T2_T3_mmT4_T5_P12ihipStream_tbEUlRKsE_EESM_SQ_SR_mSS_SV_bEUlT_E_NS1_11comp_targetILNS1_3genE3ELNS1_11target_archE908ELNS1_3gpuE7ELNS1_3repE0EEENS1_30default_config_static_selectorELNS0_4arch9wavefront6targetE0EEEvSP_,@function
_ZN7rocprim17ROCPRIM_400000_NS6detail17trampoline_kernelINS0_14default_configENS1_29binary_search_config_selectorIsiEEZNS1_14transform_implILb0ES3_S5_N6thrust23THRUST_200600_302600_NS6detail15normal_iteratorINS8_10device_ptrIsEEEENSA_INSB_IiEEEEZNS1_13binary_searchIS3_S5_SD_SD_SF_NS1_16binary_search_opENS9_16wrapped_functionINS0_4lessIvEEbEEEE10hipError_tPvRmT1_T2_T3_mmT4_T5_P12ihipStream_tbEUlRKsE_EESM_SQ_SR_mSS_SV_bEUlT_E_NS1_11comp_targetILNS1_3genE3ELNS1_11target_archE908ELNS1_3gpuE7ELNS1_3repE0EEENS1_30default_config_static_selectorELNS0_4arch9wavefront6targetE0EEEvSP_: ; @_ZN7rocprim17ROCPRIM_400000_NS6detail17trampoline_kernelINS0_14default_configENS1_29binary_search_config_selectorIsiEEZNS1_14transform_implILb0ES3_S5_N6thrust23THRUST_200600_302600_NS6detail15normal_iteratorINS8_10device_ptrIsEEEENSA_INSB_IiEEEEZNS1_13binary_searchIS3_S5_SD_SD_SF_NS1_16binary_search_opENS9_16wrapped_functionINS0_4lessIvEEbEEEE10hipError_tPvRmT1_T2_T3_mmT4_T5_P12ihipStream_tbEUlRKsE_EESM_SQ_SR_mSS_SV_bEUlT_E_NS1_11comp_targetILNS1_3genE3ELNS1_11target_archE908ELNS1_3gpuE7ELNS1_3repE0EEENS1_30default_config_static_selectorELNS0_4arch9wavefront6targetE0EEEvSP_
; %bb.0:
	.section	.rodata,"a",@progbits
	.p2align	6, 0x0
	.amdhsa_kernel _ZN7rocprim17ROCPRIM_400000_NS6detail17trampoline_kernelINS0_14default_configENS1_29binary_search_config_selectorIsiEEZNS1_14transform_implILb0ES3_S5_N6thrust23THRUST_200600_302600_NS6detail15normal_iteratorINS8_10device_ptrIsEEEENSA_INSB_IiEEEEZNS1_13binary_searchIS3_S5_SD_SD_SF_NS1_16binary_search_opENS9_16wrapped_functionINS0_4lessIvEEbEEEE10hipError_tPvRmT1_T2_T3_mmT4_T5_P12ihipStream_tbEUlRKsE_EESM_SQ_SR_mSS_SV_bEUlT_E_NS1_11comp_targetILNS1_3genE3ELNS1_11target_archE908ELNS1_3gpuE7ELNS1_3repE0EEENS1_30default_config_static_selectorELNS0_4arch9wavefront6targetE0EEEvSP_
		.amdhsa_group_segment_fixed_size 0
		.amdhsa_private_segment_fixed_size 0
		.amdhsa_kernarg_size 56
		.amdhsa_user_sgpr_count 15
		.amdhsa_user_sgpr_dispatch_ptr 0
		.amdhsa_user_sgpr_queue_ptr 0
		.amdhsa_user_sgpr_kernarg_segment_ptr 1
		.amdhsa_user_sgpr_dispatch_id 0
		.amdhsa_user_sgpr_private_segment_size 0
		.amdhsa_wavefront_size32 1
		.amdhsa_uses_dynamic_stack 0
		.amdhsa_enable_private_segment 0
		.amdhsa_system_sgpr_workgroup_id_x 1
		.amdhsa_system_sgpr_workgroup_id_y 0
		.amdhsa_system_sgpr_workgroup_id_z 0
		.amdhsa_system_sgpr_workgroup_info 0
		.amdhsa_system_vgpr_workitem_id 0
		.amdhsa_next_free_vgpr 1
		.amdhsa_next_free_sgpr 1
		.amdhsa_reserve_vcc 0
		.amdhsa_float_round_mode_32 0
		.amdhsa_float_round_mode_16_64 0
		.amdhsa_float_denorm_mode_32 3
		.amdhsa_float_denorm_mode_16_64 3
		.amdhsa_dx10_clamp 1
		.amdhsa_ieee_mode 1
		.amdhsa_fp16_overflow 0
		.amdhsa_workgroup_processor_mode 1
		.amdhsa_memory_ordered 1
		.amdhsa_forward_progress 0
		.amdhsa_shared_vgpr_count 0
		.amdhsa_exception_fp_ieee_invalid_op 0
		.amdhsa_exception_fp_denorm_src 0
		.amdhsa_exception_fp_ieee_div_zero 0
		.amdhsa_exception_fp_ieee_overflow 0
		.amdhsa_exception_fp_ieee_underflow 0
		.amdhsa_exception_fp_ieee_inexact 0
		.amdhsa_exception_int_div_zero 0
	.end_amdhsa_kernel
	.section	.text._ZN7rocprim17ROCPRIM_400000_NS6detail17trampoline_kernelINS0_14default_configENS1_29binary_search_config_selectorIsiEEZNS1_14transform_implILb0ES3_S5_N6thrust23THRUST_200600_302600_NS6detail15normal_iteratorINS8_10device_ptrIsEEEENSA_INSB_IiEEEEZNS1_13binary_searchIS3_S5_SD_SD_SF_NS1_16binary_search_opENS9_16wrapped_functionINS0_4lessIvEEbEEEE10hipError_tPvRmT1_T2_T3_mmT4_T5_P12ihipStream_tbEUlRKsE_EESM_SQ_SR_mSS_SV_bEUlT_E_NS1_11comp_targetILNS1_3genE3ELNS1_11target_archE908ELNS1_3gpuE7ELNS1_3repE0EEENS1_30default_config_static_selectorELNS0_4arch9wavefront6targetE0EEEvSP_,"axG",@progbits,_ZN7rocprim17ROCPRIM_400000_NS6detail17trampoline_kernelINS0_14default_configENS1_29binary_search_config_selectorIsiEEZNS1_14transform_implILb0ES3_S5_N6thrust23THRUST_200600_302600_NS6detail15normal_iteratorINS8_10device_ptrIsEEEENSA_INSB_IiEEEEZNS1_13binary_searchIS3_S5_SD_SD_SF_NS1_16binary_search_opENS9_16wrapped_functionINS0_4lessIvEEbEEEE10hipError_tPvRmT1_T2_T3_mmT4_T5_P12ihipStream_tbEUlRKsE_EESM_SQ_SR_mSS_SV_bEUlT_E_NS1_11comp_targetILNS1_3genE3ELNS1_11target_archE908ELNS1_3gpuE7ELNS1_3repE0EEENS1_30default_config_static_selectorELNS0_4arch9wavefront6targetE0EEEvSP_,comdat
.Lfunc_end540:
	.size	_ZN7rocprim17ROCPRIM_400000_NS6detail17trampoline_kernelINS0_14default_configENS1_29binary_search_config_selectorIsiEEZNS1_14transform_implILb0ES3_S5_N6thrust23THRUST_200600_302600_NS6detail15normal_iteratorINS8_10device_ptrIsEEEENSA_INSB_IiEEEEZNS1_13binary_searchIS3_S5_SD_SD_SF_NS1_16binary_search_opENS9_16wrapped_functionINS0_4lessIvEEbEEEE10hipError_tPvRmT1_T2_T3_mmT4_T5_P12ihipStream_tbEUlRKsE_EESM_SQ_SR_mSS_SV_bEUlT_E_NS1_11comp_targetILNS1_3genE3ELNS1_11target_archE908ELNS1_3gpuE7ELNS1_3repE0EEENS1_30default_config_static_selectorELNS0_4arch9wavefront6targetE0EEEvSP_, .Lfunc_end540-_ZN7rocprim17ROCPRIM_400000_NS6detail17trampoline_kernelINS0_14default_configENS1_29binary_search_config_selectorIsiEEZNS1_14transform_implILb0ES3_S5_N6thrust23THRUST_200600_302600_NS6detail15normal_iteratorINS8_10device_ptrIsEEEENSA_INSB_IiEEEEZNS1_13binary_searchIS3_S5_SD_SD_SF_NS1_16binary_search_opENS9_16wrapped_functionINS0_4lessIvEEbEEEE10hipError_tPvRmT1_T2_T3_mmT4_T5_P12ihipStream_tbEUlRKsE_EESM_SQ_SR_mSS_SV_bEUlT_E_NS1_11comp_targetILNS1_3genE3ELNS1_11target_archE908ELNS1_3gpuE7ELNS1_3repE0EEENS1_30default_config_static_selectorELNS0_4arch9wavefront6targetE0EEEvSP_
                                        ; -- End function
	.section	.AMDGPU.csdata,"",@progbits
; Kernel info:
; codeLenInByte = 0
; NumSgprs: 0
; NumVgprs: 0
; ScratchSize: 0
; MemoryBound: 0
; FloatMode: 240
; IeeeMode: 1
; LDSByteSize: 0 bytes/workgroup (compile time only)
; SGPRBlocks: 0
; VGPRBlocks: 0
; NumSGPRsForWavesPerEU: 1
; NumVGPRsForWavesPerEU: 1
; Occupancy: 16
; WaveLimiterHint : 0
; COMPUTE_PGM_RSRC2:SCRATCH_EN: 0
; COMPUTE_PGM_RSRC2:USER_SGPR: 15
; COMPUTE_PGM_RSRC2:TRAP_HANDLER: 0
; COMPUTE_PGM_RSRC2:TGID_X_EN: 1
; COMPUTE_PGM_RSRC2:TGID_Y_EN: 0
; COMPUTE_PGM_RSRC2:TGID_Z_EN: 0
; COMPUTE_PGM_RSRC2:TIDIG_COMP_CNT: 0
	.section	.text._ZN7rocprim17ROCPRIM_400000_NS6detail17trampoline_kernelINS0_14default_configENS1_29binary_search_config_selectorIsiEEZNS1_14transform_implILb0ES3_S5_N6thrust23THRUST_200600_302600_NS6detail15normal_iteratorINS8_10device_ptrIsEEEENSA_INSB_IiEEEEZNS1_13binary_searchIS3_S5_SD_SD_SF_NS1_16binary_search_opENS9_16wrapped_functionINS0_4lessIvEEbEEEE10hipError_tPvRmT1_T2_T3_mmT4_T5_P12ihipStream_tbEUlRKsE_EESM_SQ_SR_mSS_SV_bEUlT_E_NS1_11comp_targetILNS1_3genE2ELNS1_11target_archE906ELNS1_3gpuE6ELNS1_3repE0EEENS1_30default_config_static_selectorELNS0_4arch9wavefront6targetE0EEEvSP_,"axG",@progbits,_ZN7rocprim17ROCPRIM_400000_NS6detail17trampoline_kernelINS0_14default_configENS1_29binary_search_config_selectorIsiEEZNS1_14transform_implILb0ES3_S5_N6thrust23THRUST_200600_302600_NS6detail15normal_iteratorINS8_10device_ptrIsEEEENSA_INSB_IiEEEEZNS1_13binary_searchIS3_S5_SD_SD_SF_NS1_16binary_search_opENS9_16wrapped_functionINS0_4lessIvEEbEEEE10hipError_tPvRmT1_T2_T3_mmT4_T5_P12ihipStream_tbEUlRKsE_EESM_SQ_SR_mSS_SV_bEUlT_E_NS1_11comp_targetILNS1_3genE2ELNS1_11target_archE906ELNS1_3gpuE6ELNS1_3repE0EEENS1_30default_config_static_selectorELNS0_4arch9wavefront6targetE0EEEvSP_,comdat
	.protected	_ZN7rocprim17ROCPRIM_400000_NS6detail17trampoline_kernelINS0_14default_configENS1_29binary_search_config_selectorIsiEEZNS1_14transform_implILb0ES3_S5_N6thrust23THRUST_200600_302600_NS6detail15normal_iteratorINS8_10device_ptrIsEEEENSA_INSB_IiEEEEZNS1_13binary_searchIS3_S5_SD_SD_SF_NS1_16binary_search_opENS9_16wrapped_functionINS0_4lessIvEEbEEEE10hipError_tPvRmT1_T2_T3_mmT4_T5_P12ihipStream_tbEUlRKsE_EESM_SQ_SR_mSS_SV_bEUlT_E_NS1_11comp_targetILNS1_3genE2ELNS1_11target_archE906ELNS1_3gpuE6ELNS1_3repE0EEENS1_30default_config_static_selectorELNS0_4arch9wavefront6targetE0EEEvSP_ ; -- Begin function _ZN7rocprim17ROCPRIM_400000_NS6detail17trampoline_kernelINS0_14default_configENS1_29binary_search_config_selectorIsiEEZNS1_14transform_implILb0ES3_S5_N6thrust23THRUST_200600_302600_NS6detail15normal_iteratorINS8_10device_ptrIsEEEENSA_INSB_IiEEEEZNS1_13binary_searchIS3_S5_SD_SD_SF_NS1_16binary_search_opENS9_16wrapped_functionINS0_4lessIvEEbEEEE10hipError_tPvRmT1_T2_T3_mmT4_T5_P12ihipStream_tbEUlRKsE_EESM_SQ_SR_mSS_SV_bEUlT_E_NS1_11comp_targetILNS1_3genE2ELNS1_11target_archE906ELNS1_3gpuE6ELNS1_3repE0EEENS1_30default_config_static_selectorELNS0_4arch9wavefront6targetE0EEEvSP_
	.globl	_ZN7rocprim17ROCPRIM_400000_NS6detail17trampoline_kernelINS0_14default_configENS1_29binary_search_config_selectorIsiEEZNS1_14transform_implILb0ES3_S5_N6thrust23THRUST_200600_302600_NS6detail15normal_iteratorINS8_10device_ptrIsEEEENSA_INSB_IiEEEEZNS1_13binary_searchIS3_S5_SD_SD_SF_NS1_16binary_search_opENS9_16wrapped_functionINS0_4lessIvEEbEEEE10hipError_tPvRmT1_T2_T3_mmT4_T5_P12ihipStream_tbEUlRKsE_EESM_SQ_SR_mSS_SV_bEUlT_E_NS1_11comp_targetILNS1_3genE2ELNS1_11target_archE906ELNS1_3gpuE6ELNS1_3repE0EEENS1_30default_config_static_selectorELNS0_4arch9wavefront6targetE0EEEvSP_
	.p2align	8
	.type	_ZN7rocprim17ROCPRIM_400000_NS6detail17trampoline_kernelINS0_14default_configENS1_29binary_search_config_selectorIsiEEZNS1_14transform_implILb0ES3_S5_N6thrust23THRUST_200600_302600_NS6detail15normal_iteratorINS8_10device_ptrIsEEEENSA_INSB_IiEEEEZNS1_13binary_searchIS3_S5_SD_SD_SF_NS1_16binary_search_opENS9_16wrapped_functionINS0_4lessIvEEbEEEE10hipError_tPvRmT1_T2_T3_mmT4_T5_P12ihipStream_tbEUlRKsE_EESM_SQ_SR_mSS_SV_bEUlT_E_NS1_11comp_targetILNS1_3genE2ELNS1_11target_archE906ELNS1_3gpuE6ELNS1_3repE0EEENS1_30default_config_static_selectorELNS0_4arch9wavefront6targetE0EEEvSP_,@function
_ZN7rocprim17ROCPRIM_400000_NS6detail17trampoline_kernelINS0_14default_configENS1_29binary_search_config_selectorIsiEEZNS1_14transform_implILb0ES3_S5_N6thrust23THRUST_200600_302600_NS6detail15normal_iteratorINS8_10device_ptrIsEEEENSA_INSB_IiEEEEZNS1_13binary_searchIS3_S5_SD_SD_SF_NS1_16binary_search_opENS9_16wrapped_functionINS0_4lessIvEEbEEEE10hipError_tPvRmT1_T2_T3_mmT4_T5_P12ihipStream_tbEUlRKsE_EESM_SQ_SR_mSS_SV_bEUlT_E_NS1_11comp_targetILNS1_3genE2ELNS1_11target_archE906ELNS1_3gpuE6ELNS1_3repE0EEENS1_30default_config_static_selectorELNS0_4arch9wavefront6targetE0EEEvSP_: ; @_ZN7rocprim17ROCPRIM_400000_NS6detail17trampoline_kernelINS0_14default_configENS1_29binary_search_config_selectorIsiEEZNS1_14transform_implILb0ES3_S5_N6thrust23THRUST_200600_302600_NS6detail15normal_iteratorINS8_10device_ptrIsEEEENSA_INSB_IiEEEEZNS1_13binary_searchIS3_S5_SD_SD_SF_NS1_16binary_search_opENS9_16wrapped_functionINS0_4lessIvEEbEEEE10hipError_tPvRmT1_T2_T3_mmT4_T5_P12ihipStream_tbEUlRKsE_EESM_SQ_SR_mSS_SV_bEUlT_E_NS1_11comp_targetILNS1_3genE2ELNS1_11target_archE906ELNS1_3gpuE6ELNS1_3repE0EEENS1_30default_config_static_selectorELNS0_4arch9wavefront6targetE0EEEvSP_
; %bb.0:
	.section	.rodata,"a",@progbits
	.p2align	6, 0x0
	.amdhsa_kernel _ZN7rocprim17ROCPRIM_400000_NS6detail17trampoline_kernelINS0_14default_configENS1_29binary_search_config_selectorIsiEEZNS1_14transform_implILb0ES3_S5_N6thrust23THRUST_200600_302600_NS6detail15normal_iteratorINS8_10device_ptrIsEEEENSA_INSB_IiEEEEZNS1_13binary_searchIS3_S5_SD_SD_SF_NS1_16binary_search_opENS9_16wrapped_functionINS0_4lessIvEEbEEEE10hipError_tPvRmT1_T2_T3_mmT4_T5_P12ihipStream_tbEUlRKsE_EESM_SQ_SR_mSS_SV_bEUlT_E_NS1_11comp_targetILNS1_3genE2ELNS1_11target_archE906ELNS1_3gpuE6ELNS1_3repE0EEENS1_30default_config_static_selectorELNS0_4arch9wavefront6targetE0EEEvSP_
		.amdhsa_group_segment_fixed_size 0
		.amdhsa_private_segment_fixed_size 0
		.amdhsa_kernarg_size 56
		.amdhsa_user_sgpr_count 15
		.amdhsa_user_sgpr_dispatch_ptr 0
		.amdhsa_user_sgpr_queue_ptr 0
		.amdhsa_user_sgpr_kernarg_segment_ptr 1
		.amdhsa_user_sgpr_dispatch_id 0
		.amdhsa_user_sgpr_private_segment_size 0
		.amdhsa_wavefront_size32 1
		.amdhsa_uses_dynamic_stack 0
		.amdhsa_enable_private_segment 0
		.amdhsa_system_sgpr_workgroup_id_x 1
		.amdhsa_system_sgpr_workgroup_id_y 0
		.amdhsa_system_sgpr_workgroup_id_z 0
		.amdhsa_system_sgpr_workgroup_info 0
		.amdhsa_system_vgpr_workitem_id 0
		.amdhsa_next_free_vgpr 1
		.amdhsa_next_free_sgpr 1
		.amdhsa_reserve_vcc 0
		.amdhsa_float_round_mode_32 0
		.amdhsa_float_round_mode_16_64 0
		.amdhsa_float_denorm_mode_32 3
		.amdhsa_float_denorm_mode_16_64 3
		.amdhsa_dx10_clamp 1
		.amdhsa_ieee_mode 1
		.amdhsa_fp16_overflow 0
		.amdhsa_workgroup_processor_mode 1
		.amdhsa_memory_ordered 1
		.amdhsa_forward_progress 0
		.amdhsa_shared_vgpr_count 0
		.amdhsa_exception_fp_ieee_invalid_op 0
		.amdhsa_exception_fp_denorm_src 0
		.amdhsa_exception_fp_ieee_div_zero 0
		.amdhsa_exception_fp_ieee_overflow 0
		.amdhsa_exception_fp_ieee_underflow 0
		.amdhsa_exception_fp_ieee_inexact 0
		.amdhsa_exception_int_div_zero 0
	.end_amdhsa_kernel
	.section	.text._ZN7rocprim17ROCPRIM_400000_NS6detail17trampoline_kernelINS0_14default_configENS1_29binary_search_config_selectorIsiEEZNS1_14transform_implILb0ES3_S5_N6thrust23THRUST_200600_302600_NS6detail15normal_iteratorINS8_10device_ptrIsEEEENSA_INSB_IiEEEEZNS1_13binary_searchIS3_S5_SD_SD_SF_NS1_16binary_search_opENS9_16wrapped_functionINS0_4lessIvEEbEEEE10hipError_tPvRmT1_T2_T3_mmT4_T5_P12ihipStream_tbEUlRKsE_EESM_SQ_SR_mSS_SV_bEUlT_E_NS1_11comp_targetILNS1_3genE2ELNS1_11target_archE906ELNS1_3gpuE6ELNS1_3repE0EEENS1_30default_config_static_selectorELNS0_4arch9wavefront6targetE0EEEvSP_,"axG",@progbits,_ZN7rocprim17ROCPRIM_400000_NS6detail17trampoline_kernelINS0_14default_configENS1_29binary_search_config_selectorIsiEEZNS1_14transform_implILb0ES3_S5_N6thrust23THRUST_200600_302600_NS6detail15normal_iteratorINS8_10device_ptrIsEEEENSA_INSB_IiEEEEZNS1_13binary_searchIS3_S5_SD_SD_SF_NS1_16binary_search_opENS9_16wrapped_functionINS0_4lessIvEEbEEEE10hipError_tPvRmT1_T2_T3_mmT4_T5_P12ihipStream_tbEUlRKsE_EESM_SQ_SR_mSS_SV_bEUlT_E_NS1_11comp_targetILNS1_3genE2ELNS1_11target_archE906ELNS1_3gpuE6ELNS1_3repE0EEENS1_30default_config_static_selectorELNS0_4arch9wavefront6targetE0EEEvSP_,comdat
.Lfunc_end541:
	.size	_ZN7rocprim17ROCPRIM_400000_NS6detail17trampoline_kernelINS0_14default_configENS1_29binary_search_config_selectorIsiEEZNS1_14transform_implILb0ES3_S5_N6thrust23THRUST_200600_302600_NS6detail15normal_iteratorINS8_10device_ptrIsEEEENSA_INSB_IiEEEEZNS1_13binary_searchIS3_S5_SD_SD_SF_NS1_16binary_search_opENS9_16wrapped_functionINS0_4lessIvEEbEEEE10hipError_tPvRmT1_T2_T3_mmT4_T5_P12ihipStream_tbEUlRKsE_EESM_SQ_SR_mSS_SV_bEUlT_E_NS1_11comp_targetILNS1_3genE2ELNS1_11target_archE906ELNS1_3gpuE6ELNS1_3repE0EEENS1_30default_config_static_selectorELNS0_4arch9wavefront6targetE0EEEvSP_, .Lfunc_end541-_ZN7rocprim17ROCPRIM_400000_NS6detail17trampoline_kernelINS0_14default_configENS1_29binary_search_config_selectorIsiEEZNS1_14transform_implILb0ES3_S5_N6thrust23THRUST_200600_302600_NS6detail15normal_iteratorINS8_10device_ptrIsEEEENSA_INSB_IiEEEEZNS1_13binary_searchIS3_S5_SD_SD_SF_NS1_16binary_search_opENS9_16wrapped_functionINS0_4lessIvEEbEEEE10hipError_tPvRmT1_T2_T3_mmT4_T5_P12ihipStream_tbEUlRKsE_EESM_SQ_SR_mSS_SV_bEUlT_E_NS1_11comp_targetILNS1_3genE2ELNS1_11target_archE906ELNS1_3gpuE6ELNS1_3repE0EEENS1_30default_config_static_selectorELNS0_4arch9wavefront6targetE0EEEvSP_
                                        ; -- End function
	.section	.AMDGPU.csdata,"",@progbits
; Kernel info:
; codeLenInByte = 0
; NumSgprs: 0
; NumVgprs: 0
; ScratchSize: 0
; MemoryBound: 0
; FloatMode: 240
; IeeeMode: 1
; LDSByteSize: 0 bytes/workgroup (compile time only)
; SGPRBlocks: 0
; VGPRBlocks: 0
; NumSGPRsForWavesPerEU: 1
; NumVGPRsForWavesPerEU: 1
; Occupancy: 16
; WaveLimiterHint : 0
; COMPUTE_PGM_RSRC2:SCRATCH_EN: 0
; COMPUTE_PGM_RSRC2:USER_SGPR: 15
; COMPUTE_PGM_RSRC2:TRAP_HANDLER: 0
; COMPUTE_PGM_RSRC2:TGID_X_EN: 1
; COMPUTE_PGM_RSRC2:TGID_Y_EN: 0
; COMPUTE_PGM_RSRC2:TGID_Z_EN: 0
; COMPUTE_PGM_RSRC2:TIDIG_COMP_CNT: 0
	.section	.text._ZN7rocprim17ROCPRIM_400000_NS6detail17trampoline_kernelINS0_14default_configENS1_29binary_search_config_selectorIsiEEZNS1_14transform_implILb0ES3_S5_N6thrust23THRUST_200600_302600_NS6detail15normal_iteratorINS8_10device_ptrIsEEEENSA_INSB_IiEEEEZNS1_13binary_searchIS3_S5_SD_SD_SF_NS1_16binary_search_opENS9_16wrapped_functionINS0_4lessIvEEbEEEE10hipError_tPvRmT1_T2_T3_mmT4_T5_P12ihipStream_tbEUlRKsE_EESM_SQ_SR_mSS_SV_bEUlT_E_NS1_11comp_targetILNS1_3genE10ELNS1_11target_archE1201ELNS1_3gpuE5ELNS1_3repE0EEENS1_30default_config_static_selectorELNS0_4arch9wavefront6targetE0EEEvSP_,"axG",@progbits,_ZN7rocprim17ROCPRIM_400000_NS6detail17trampoline_kernelINS0_14default_configENS1_29binary_search_config_selectorIsiEEZNS1_14transform_implILb0ES3_S5_N6thrust23THRUST_200600_302600_NS6detail15normal_iteratorINS8_10device_ptrIsEEEENSA_INSB_IiEEEEZNS1_13binary_searchIS3_S5_SD_SD_SF_NS1_16binary_search_opENS9_16wrapped_functionINS0_4lessIvEEbEEEE10hipError_tPvRmT1_T2_T3_mmT4_T5_P12ihipStream_tbEUlRKsE_EESM_SQ_SR_mSS_SV_bEUlT_E_NS1_11comp_targetILNS1_3genE10ELNS1_11target_archE1201ELNS1_3gpuE5ELNS1_3repE0EEENS1_30default_config_static_selectorELNS0_4arch9wavefront6targetE0EEEvSP_,comdat
	.protected	_ZN7rocprim17ROCPRIM_400000_NS6detail17trampoline_kernelINS0_14default_configENS1_29binary_search_config_selectorIsiEEZNS1_14transform_implILb0ES3_S5_N6thrust23THRUST_200600_302600_NS6detail15normal_iteratorINS8_10device_ptrIsEEEENSA_INSB_IiEEEEZNS1_13binary_searchIS3_S5_SD_SD_SF_NS1_16binary_search_opENS9_16wrapped_functionINS0_4lessIvEEbEEEE10hipError_tPvRmT1_T2_T3_mmT4_T5_P12ihipStream_tbEUlRKsE_EESM_SQ_SR_mSS_SV_bEUlT_E_NS1_11comp_targetILNS1_3genE10ELNS1_11target_archE1201ELNS1_3gpuE5ELNS1_3repE0EEENS1_30default_config_static_selectorELNS0_4arch9wavefront6targetE0EEEvSP_ ; -- Begin function _ZN7rocprim17ROCPRIM_400000_NS6detail17trampoline_kernelINS0_14default_configENS1_29binary_search_config_selectorIsiEEZNS1_14transform_implILb0ES3_S5_N6thrust23THRUST_200600_302600_NS6detail15normal_iteratorINS8_10device_ptrIsEEEENSA_INSB_IiEEEEZNS1_13binary_searchIS3_S5_SD_SD_SF_NS1_16binary_search_opENS9_16wrapped_functionINS0_4lessIvEEbEEEE10hipError_tPvRmT1_T2_T3_mmT4_T5_P12ihipStream_tbEUlRKsE_EESM_SQ_SR_mSS_SV_bEUlT_E_NS1_11comp_targetILNS1_3genE10ELNS1_11target_archE1201ELNS1_3gpuE5ELNS1_3repE0EEENS1_30default_config_static_selectorELNS0_4arch9wavefront6targetE0EEEvSP_
	.globl	_ZN7rocprim17ROCPRIM_400000_NS6detail17trampoline_kernelINS0_14default_configENS1_29binary_search_config_selectorIsiEEZNS1_14transform_implILb0ES3_S5_N6thrust23THRUST_200600_302600_NS6detail15normal_iteratorINS8_10device_ptrIsEEEENSA_INSB_IiEEEEZNS1_13binary_searchIS3_S5_SD_SD_SF_NS1_16binary_search_opENS9_16wrapped_functionINS0_4lessIvEEbEEEE10hipError_tPvRmT1_T2_T3_mmT4_T5_P12ihipStream_tbEUlRKsE_EESM_SQ_SR_mSS_SV_bEUlT_E_NS1_11comp_targetILNS1_3genE10ELNS1_11target_archE1201ELNS1_3gpuE5ELNS1_3repE0EEENS1_30default_config_static_selectorELNS0_4arch9wavefront6targetE0EEEvSP_
	.p2align	8
	.type	_ZN7rocprim17ROCPRIM_400000_NS6detail17trampoline_kernelINS0_14default_configENS1_29binary_search_config_selectorIsiEEZNS1_14transform_implILb0ES3_S5_N6thrust23THRUST_200600_302600_NS6detail15normal_iteratorINS8_10device_ptrIsEEEENSA_INSB_IiEEEEZNS1_13binary_searchIS3_S5_SD_SD_SF_NS1_16binary_search_opENS9_16wrapped_functionINS0_4lessIvEEbEEEE10hipError_tPvRmT1_T2_T3_mmT4_T5_P12ihipStream_tbEUlRKsE_EESM_SQ_SR_mSS_SV_bEUlT_E_NS1_11comp_targetILNS1_3genE10ELNS1_11target_archE1201ELNS1_3gpuE5ELNS1_3repE0EEENS1_30default_config_static_selectorELNS0_4arch9wavefront6targetE0EEEvSP_,@function
_ZN7rocprim17ROCPRIM_400000_NS6detail17trampoline_kernelINS0_14default_configENS1_29binary_search_config_selectorIsiEEZNS1_14transform_implILb0ES3_S5_N6thrust23THRUST_200600_302600_NS6detail15normal_iteratorINS8_10device_ptrIsEEEENSA_INSB_IiEEEEZNS1_13binary_searchIS3_S5_SD_SD_SF_NS1_16binary_search_opENS9_16wrapped_functionINS0_4lessIvEEbEEEE10hipError_tPvRmT1_T2_T3_mmT4_T5_P12ihipStream_tbEUlRKsE_EESM_SQ_SR_mSS_SV_bEUlT_E_NS1_11comp_targetILNS1_3genE10ELNS1_11target_archE1201ELNS1_3gpuE5ELNS1_3repE0EEENS1_30default_config_static_selectorELNS0_4arch9wavefront6targetE0EEEvSP_: ; @_ZN7rocprim17ROCPRIM_400000_NS6detail17trampoline_kernelINS0_14default_configENS1_29binary_search_config_selectorIsiEEZNS1_14transform_implILb0ES3_S5_N6thrust23THRUST_200600_302600_NS6detail15normal_iteratorINS8_10device_ptrIsEEEENSA_INSB_IiEEEEZNS1_13binary_searchIS3_S5_SD_SD_SF_NS1_16binary_search_opENS9_16wrapped_functionINS0_4lessIvEEbEEEE10hipError_tPvRmT1_T2_T3_mmT4_T5_P12ihipStream_tbEUlRKsE_EESM_SQ_SR_mSS_SV_bEUlT_E_NS1_11comp_targetILNS1_3genE10ELNS1_11target_archE1201ELNS1_3gpuE5ELNS1_3repE0EEENS1_30default_config_static_selectorELNS0_4arch9wavefront6targetE0EEEvSP_
; %bb.0:
	.section	.rodata,"a",@progbits
	.p2align	6, 0x0
	.amdhsa_kernel _ZN7rocprim17ROCPRIM_400000_NS6detail17trampoline_kernelINS0_14default_configENS1_29binary_search_config_selectorIsiEEZNS1_14transform_implILb0ES3_S5_N6thrust23THRUST_200600_302600_NS6detail15normal_iteratorINS8_10device_ptrIsEEEENSA_INSB_IiEEEEZNS1_13binary_searchIS3_S5_SD_SD_SF_NS1_16binary_search_opENS9_16wrapped_functionINS0_4lessIvEEbEEEE10hipError_tPvRmT1_T2_T3_mmT4_T5_P12ihipStream_tbEUlRKsE_EESM_SQ_SR_mSS_SV_bEUlT_E_NS1_11comp_targetILNS1_3genE10ELNS1_11target_archE1201ELNS1_3gpuE5ELNS1_3repE0EEENS1_30default_config_static_selectorELNS0_4arch9wavefront6targetE0EEEvSP_
		.amdhsa_group_segment_fixed_size 0
		.amdhsa_private_segment_fixed_size 0
		.amdhsa_kernarg_size 56
		.amdhsa_user_sgpr_count 15
		.amdhsa_user_sgpr_dispatch_ptr 0
		.amdhsa_user_sgpr_queue_ptr 0
		.amdhsa_user_sgpr_kernarg_segment_ptr 1
		.amdhsa_user_sgpr_dispatch_id 0
		.amdhsa_user_sgpr_private_segment_size 0
		.amdhsa_wavefront_size32 1
		.amdhsa_uses_dynamic_stack 0
		.amdhsa_enable_private_segment 0
		.amdhsa_system_sgpr_workgroup_id_x 1
		.amdhsa_system_sgpr_workgroup_id_y 0
		.amdhsa_system_sgpr_workgroup_id_z 0
		.amdhsa_system_sgpr_workgroup_info 0
		.amdhsa_system_vgpr_workitem_id 0
		.amdhsa_next_free_vgpr 1
		.amdhsa_next_free_sgpr 1
		.amdhsa_reserve_vcc 0
		.amdhsa_float_round_mode_32 0
		.amdhsa_float_round_mode_16_64 0
		.amdhsa_float_denorm_mode_32 3
		.amdhsa_float_denorm_mode_16_64 3
		.amdhsa_dx10_clamp 1
		.amdhsa_ieee_mode 1
		.amdhsa_fp16_overflow 0
		.amdhsa_workgroup_processor_mode 1
		.amdhsa_memory_ordered 1
		.amdhsa_forward_progress 0
		.amdhsa_shared_vgpr_count 0
		.amdhsa_exception_fp_ieee_invalid_op 0
		.amdhsa_exception_fp_denorm_src 0
		.amdhsa_exception_fp_ieee_div_zero 0
		.amdhsa_exception_fp_ieee_overflow 0
		.amdhsa_exception_fp_ieee_underflow 0
		.amdhsa_exception_fp_ieee_inexact 0
		.amdhsa_exception_int_div_zero 0
	.end_amdhsa_kernel
	.section	.text._ZN7rocprim17ROCPRIM_400000_NS6detail17trampoline_kernelINS0_14default_configENS1_29binary_search_config_selectorIsiEEZNS1_14transform_implILb0ES3_S5_N6thrust23THRUST_200600_302600_NS6detail15normal_iteratorINS8_10device_ptrIsEEEENSA_INSB_IiEEEEZNS1_13binary_searchIS3_S5_SD_SD_SF_NS1_16binary_search_opENS9_16wrapped_functionINS0_4lessIvEEbEEEE10hipError_tPvRmT1_T2_T3_mmT4_T5_P12ihipStream_tbEUlRKsE_EESM_SQ_SR_mSS_SV_bEUlT_E_NS1_11comp_targetILNS1_3genE10ELNS1_11target_archE1201ELNS1_3gpuE5ELNS1_3repE0EEENS1_30default_config_static_selectorELNS0_4arch9wavefront6targetE0EEEvSP_,"axG",@progbits,_ZN7rocprim17ROCPRIM_400000_NS6detail17trampoline_kernelINS0_14default_configENS1_29binary_search_config_selectorIsiEEZNS1_14transform_implILb0ES3_S5_N6thrust23THRUST_200600_302600_NS6detail15normal_iteratorINS8_10device_ptrIsEEEENSA_INSB_IiEEEEZNS1_13binary_searchIS3_S5_SD_SD_SF_NS1_16binary_search_opENS9_16wrapped_functionINS0_4lessIvEEbEEEE10hipError_tPvRmT1_T2_T3_mmT4_T5_P12ihipStream_tbEUlRKsE_EESM_SQ_SR_mSS_SV_bEUlT_E_NS1_11comp_targetILNS1_3genE10ELNS1_11target_archE1201ELNS1_3gpuE5ELNS1_3repE0EEENS1_30default_config_static_selectorELNS0_4arch9wavefront6targetE0EEEvSP_,comdat
.Lfunc_end542:
	.size	_ZN7rocprim17ROCPRIM_400000_NS6detail17trampoline_kernelINS0_14default_configENS1_29binary_search_config_selectorIsiEEZNS1_14transform_implILb0ES3_S5_N6thrust23THRUST_200600_302600_NS6detail15normal_iteratorINS8_10device_ptrIsEEEENSA_INSB_IiEEEEZNS1_13binary_searchIS3_S5_SD_SD_SF_NS1_16binary_search_opENS9_16wrapped_functionINS0_4lessIvEEbEEEE10hipError_tPvRmT1_T2_T3_mmT4_T5_P12ihipStream_tbEUlRKsE_EESM_SQ_SR_mSS_SV_bEUlT_E_NS1_11comp_targetILNS1_3genE10ELNS1_11target_archE1201ELNS1_3gpuE5ELNS1_3repE0EEENS1_30default_config_static_selectorELNS0_4arch9wavefront6targetE0EEEvSP_, .Lfunc_end542-_ZN7rocprim17ROCPRIM_400000_NS6detail17trampoline_kernelINS0_14default_configENS1_29binary_search_config_selectorIsiEEZNS1_14transform_implILb0ES3_S5_N6thrust23THRUST_200600_302600_NS6detail15normal_iteratorINS8_10device_ptrIsEEEENSA_INSB_IiEEEEZNS1_13binary_searchIS3_S5_SD_SD_SF_NS1_16binary_search_opENS9_16wrapped_functionINS0_4lessIvEEbEEEE10hipError_tPvRmT1_T2_T3_mmT4_T5_P12ihipStream_tbEUlRKsE_EESM_SQ_SR_mSS_SV_bEUlT_E_NS1_11comp_targetILNS1_3genE10ELNS1_11target_archE1201ELNS1_3gpuE5ELNS1_3repE0EEENS1_30default_config_static_selectorELNS0_4arch9wavefront6targetE0EEEvSP_
                                        ; -- End function
	.section	.AMDGPU.csdata,"",@progbits
; Kernel info:
; codeLenInByte = 0
; NumSgprs: 0
; NumVgprs: 0
; ScratchSize: 0
; MemoryBound: 0
; FloatMode: 240
; IeeeMode: 1
; LDSByteSize: 0 bytes/workgroup (compile time only)
; SGPRBlocks: 0
; VGPRBlocks: 0
; NumSGPRsForWavesPerEU: 1
; NumVGPRsForWavesPerEU: 1
; Occupancy: 16
; WaveLimiterHint : 0
; COMPUTE_PGM_RSRC2:SCRATCH_EN: 0
; COMPUTE_PGM_RSRC2:USER_SGPR: 15
; COMPUTE_PGM_RSRC2:TRAP_HANDLER: 0
; COMPUTE_PGM_RSRC2:TGID_X_EN: 1
; COMPUTE_PGM_RSRC2:TGID_Y_EN: 0
; COMPUTE_PGM_RSRC2:TGID_Z_EN: 0
; COMPUTE_PGM_RSRC2:TIDIG_COMP_CNT: 0
	.section	.text._ZN7rocprim17ROCPRIM_400000_NS6detail17trampoline_kernelINS0_14default_configENS1_29binary_search_config_selectorIsiEEZNS1_14transform_implILb0ES3_S5_N6thrust23THRUST_200600_302600_NS6detail15normal_iteratorINS8_10device_ptrIsEEEENSA_INSB_IiEEEEZNS1_13binary_searchIS3_S5_SD_SD_SF_NS1_16binary_search_opENS9_16wrapped_functionINS0_4lessIvEEbEEEE10hipError_tPvRmT1_T2_T3_mmT4_T5_P12ihipStream_tbEUlRKsE_EESM_SQ_SR_mSS_SV_bEUlT_E_NS1_11comp_targetILNS1_3genE10ELNS1_11target_archE1200ELNS1_3gpuE4ELNS1_3repE0EEENS1_30default_config_static_selectorELNS0_4arch9wavefront6targetE0EEEvSP_,"axG",@progbits,_ZN7rocprim17ROCPRIM_400000_NS6detail17trampoline_kernelINS0_14default_configENS1_29binary_search_config_selectorIsiEEZNS1_14transform_implILb0ES3_S5_N6thrust23THRUST_200600_302600_NS6detail15normal_iteratorINS8_10device_ptrIsEEEENSA_INSB_IiEEEEZNS1_13binary_searchIS3_S5_SD_SD_SF_NS1_16binary_search_opENS9_16wrapped_functionINS0_4lessIvEEbEEEE10hipError_tPvRmT1_T2_T3_mmT4_T5_P12ihipStream_tbEUlRKsE_EESM_SQ_SR_mSS_SV_bEUlT_E_NS1_11comp_targetILNS1_3genE10ELNS1_11target_archE1200ELNS1_3gpuE4ELNS1_3repE0EEENS1_30default_config_static_selectorELNS0_4arch9wavefront6targetE0EEEvSP_,comdat
	.protected	_ZN7rocprim17ROCPRIM_400000_NS6detail17trampoline_kernelINS0_14default_configENS1_29binary_search_config_selectorIsiEEZNS1_14transform_implILb0ES3_S5_N6thrust23THRUST_200600_302600_NS6detail15normal_iteratorINS8_10device_ptrIsEEEENSA_INSB_IiEEEEZNS1_13binary_searchIS3_S5_SD_SD_SF_NS1_16binary_search_opENS9_16wrapped_functionINS0_4lessIvEEbEEEE10hipError_tPvRmT1_T2_T3_mmT4_T5_P12ihipStream_tbEUlRKsE_EESM_SQ_SR_mSS_SV_bEUlT_E_NS1_11comp_targetILNS1_3genE10ELNS1_11target_archE1200ELNS1_3gpuE4ELNS1_3repE0EEENS1_30default_config_static_selectorELNS0_4arch9wavefront6targetE0EEEvSP_ ; -- Begin function _ZN7rocprim17ROCPRIM_400000_NS6detail17trampoline_kernelINS0_14default_configENS1_29binary_search_config_selectorIsiEEZNS1_14transform_implILb0ES3_S5_N6thrust23THRUST_200600_302600_NS6detail15normal_iteratorINS8_10device_ptrIsEEEENSA_INSB_IiEEEEZNS1_13binary_searchIS3_S5_SD_SD_SF_NS1_16binary_search_opENS9_16wrapped_functionINS0_4lessIvEEbEEEE10hipError_tPvRmT1_T2_T3_mmT4_T5_P12ihipStream_tbEUlRKsE_EESM_SQ_SR_mSS_SV_bEUlT_E_NS1_11comp_targetILNS1_3genE10ELNS1_11target_archE1200ELNS1_3gpuE4ELNS1_3repE0EEENS1_30default_config_static_selectorELNS0_4arch9wavefront6targetE0EEEvSP_
	.globl	_ZN7rocprim17ROCPRIM_400000_NS6detail17trampoline_kernelINS0_14default_configENS1_29binary_search_config_selectorIsiEEZNS1_14transform_implILb0ES3_S5_N6thrust23THRUST_200600_302600_NS6detail15normal_iteratorINS8_10device_ptrIsEEEENSA_INSB_IiEEEEZNS1_13binary_searchIS3_S5_SD_SD_SF_NS1_16binary_search_opENS9_16wrapped_functionINS0_4lessIvEEbEEEE10hipError_tPvRmT1_T2_T3_mmT4_T5_P12ihipStream_tbEUlRKsE_EESM_SQ_SR_mSS_SV_bEUlT_E_NS1_11comp_targetILNS1_3genE10ELNS1_11target_archE1200ELNS1_3gpuE4ELNS1_3repE0EEENS1_30default_config_static_selectorELNS0_4arch9wavefront6targetE0EEEvSP_
	.p2align	8
	.type	_ZN7rocprim17ROCPRIM_400000_NS6detail17trampoline_kernelINS0_14default_configENS1_29binary_search_config_selectorIsiEEZNS1_14transform_implILb0ES3_S5_N6thrust23THRUST_200600_302600_NS6detail15normal_iteratorINS8_10device_ptrIsEEEENSA_INSB_IiEEEEZNS1_13binary_searchIS3_S5_SD_SD_SF_NS1_16binary_search_opENS9_16wrapped_functionINS0_4lessIvEEbEEEE10hipError_tPvRmT1_T2_T3_mmT4_T5_P12ihipStream_tbEUlRKsE_EESM_SQ_SR_mSS_SV_bEUlT_E_NS1_11comp_targetILNS1_3genE10ELNS1_11target_archE1200ELNS1_3gpuE4ELNS1_3repE0EEENS1_30default_config_static_selectorELNS0_4arch9wavefront6targetE0EEEvSP_,@function
_ZN7rocprim17ROCPRIM_400000_NS6detail17trampoline_kernelINS0_14default_configENS1_29binary_search_config_selectorIsiEEZNS1_14transform_implILb0ES3_S5_N6thrust23THRUST_200600_302600_NS6detail15normal_iteratorINS8_10device_ptrIsEEEENSA_INSB_IiEEEEZNS1_13binary_searchIS3_S5_SD_SD_SF_NS1_16binary_search_opENS9_16wrapped_functionINS0_4lessIvEEbEEEE10hipError_tPvRmT1_T2_T3_mmT4_T5_P12ihipStream_tbEUlRKsE_EESM_SQ_SR_mSS_SV_bEUlT_E_NS1_11comp_targetILNS1_3genE10ELNS1_11target_archE1200ELNS1_3gpuE4ELNS1_3repE0EEENS1_30default_config_static_selectorELNS0_4arch9wavefront6targetE0EEEvSP_: ; @_ZN7rocprim17ROCPRIM_400000_NS6detail17trampoline_kernelINS0_14default_configENS1_29binary_search_config_selectorIsiEEZNS1_14transform_implILb0ES3_S5_N6thrust23THRUST_200600_302600_NS6detail15normal_iteratorINS8_10device_ptrIsEEEENSA_INSB_IiEEEEZNS1_13binary_searchIS3_S5_SD_SD_SF_NS1_16binary_search_opENS9_16wrapped_functionINS0_4lessIvEEbEEEE10hipError_tPvRmT1_T2_T3_mmT4_T5_P12ihipStream_tbEUlRKsE_EESM_SQ_SR_mSS_SV_bEUlT_E_NS1_11comp_targetILNS1_3genE10ELNS1_11target_archE1200ELNS1_3gpuE4ELNS1_3repE0EEENS1_30default_config_static_selectorELNS0_4arch9wavefront6targetE0EEEvSP_
; %bb.0:
	.section	.rodata,"a",@progbits
	.p2align	6, 0x0
	.amdhsa_kernel _ZN7rocprim17ROCPRIM_400000_NS6detail17trampoline_kernelINS0_14default_configENS1_29binary_search_config_selectorIsiEEZNS1_14transform_implILb0ES3_S5_N6thrust23THRUST_200600_302600_NS6detail15normal_iteratorINS8_10device_ptrIsEEEENSA_INSB_IiEEEEZNS1_13binary_searchIS3_S5_SD_SD_SF_NS1_16binary_search_opENS9_16wrapped_functionINS0_4lessIvEEbEEEE10hipError_tPvRmT1_T2_T3_mmT4_T5_P12ihipStream_tbEUlRKsE_EESM_SQ_SR_mSS_SV_bEUlT_E_NS1_11comp_targetILNS1_3genE10ELNS1_11target_archE1200ELNS1_3gpuE4ELNS1_3repE0EEENS1_30default_config_static_selectorELNS0_4arch9wavefront6targetE0EEEvSP_
		.amdhsa_group_segment_fixed_size 0
		.amdhsa_private_segment_fixed_size 0
		.amdhsa_kernarg_size 56
		.amdhsa_user_sgpr_count 15
		.amdhsa_user_sgpr_dispatch_ptr 0
		.amdhsa_user_sgpr_queue_ptr 0
		.amdhsa_user_sgpr_kernarg_segment_ptr 1
		.amdhsa_user_sgpr_dispatch_id 0
		.amdhsa_user_sgpr_private_segment_size 0
		.amdhsa_wavefront_size32 1
		.amdhsa_uses_dynamic_stack 0
		.amdhsa_enable_private_segment 0
		.amdhsa_system_sgpr_workgroup_id_x 1
		.amdhsa_system_sgpr_workgroup_id_y 0
		.amdhsa_system_sgpr_workgroup_id_z 0
		.amdhsa_system_sgpr_workgroup_info 0
		.amdhsa_system_vgpr_workitem_id 0
		.amdhsa_next_free_vgpr 1
		.amdhsa_next_free_sgpr 1
		.amdhsa_reserve_vcc 0
		.amdhsa_float_round_mode_32 0
		.amdhsa_float_round_mode_16_64 0
		.amdhsa_float_denorm_mode_32 3
		.amdhsa_float_denorm_mode_16_64 3
		.amdhsa_dx10_clamp 1
		.amdhsa_ieee_mode 1
		.amdhsa_fp16_overflow 0
		.amdhsa_workgroup_processor_mode 1
		.amdhsa_memory_ordered 1
		.amdhsa_forward_progress 0
		.amdhsa_shared_vgpr_count 0
		.amdhsa_exception_fp_ieee_invalid_op 0
		.amdhsa_exception_fp_denorm_src 0
		.amdhsa_exception_fp_ieee_div_zero 0
		.amdhsa_exception_fp_ieee_overflow 0
		.amdhsa_exception_fp_ieee_underflow 0
		.amdhsa_exception_fp_ieee_inexact 0
		.amdhsa_exception_int_div_zero 0
	.end_amdhsa_kernel
	.section	.text._ZN7rocprim17ROCPRIM_400000_NS6detail17trampoline_kernelINS0_14default_configENS1_29binary_search_config_selectorIsiEEZNS1_14transform_implILb0ES3_S5_N6thrust23THRUST_200600_302600_NS6detail15normal_iteratorINS8_10device_ptrIsEEEENSA_INSB_IiEEEEZNS1_13binary_searchIS3_S5_SD_SD_SF_NS1_16binary_search_opENS9_16wrapped_functionINS0_4lessIvEEbEEEE10hipError_tPvRmT1_T2_T3_mmT4_T5_P12ihipStream_tbEUlRKsE_EESM_SQ_SR_mSS_SV_bEUlT_E_NS1_11comp_targetILNS1_3genE10ELNS1_11target_archE1200ELNS1_3gpuE4ELNS1_3repE0EEENS1_30default_config_static_selectorELNS0_4arch9wavefront6targetE0EEEvSP_,"axG",@progbits,_ZN7rocprim17ROCPRIM_400000_NS6detail17trampoline_kernelINS0_14default_configENS1_29binary_search_config_selectorIsiEEZNS1_14transform_implILb0ES3_S5_N6thrust23THRUST_200600_302600_NS6detail15normal_iteratorINS8_10device_ptrIsEEEENSA_INSB_IiEEEEZNS1_13binary_searchIS3_S5_SD_SD_SF_NS1_16binary_search_opENS9_16wrapped_functionINS0_4lessIvEEbEEEE10hipError_tPvRmT1_T2_T3_mmT4_T5_P12ihipStream_tbEUlRKsE_EESM_SQ_SR_mSS_SV_bEUlT_E_NS1_11comp_targetILNS1_3genE10ELNS1_11target_archE1200ELNS1_3gpuE4ELNS1_3repE0EEENS1_30default_config_static_selectorELNS0_4arch9wavefront6targetE0EEEvSP_,comdat
.Lfunc_end543:
	.size	_ZN7rocprim17ROCPRIM_400000_NS6detail17trampoline_kernelINS0_14default_configENS1_29binary_search_config_selectorIsiEEZNS1_14transform_implILb0ES3_S5_N6thrust23THRUST_200600_302600_NS6detail15normal_iteratorINS8_10device_ptrIsEEEENSA_INSB_IiEEEEZNS1_13binary_searchIS3_S5_SD_SD_SF_NS1_16binary_search_opENS9_16wrapped_functionINS0_4lessIvEEbEEEE10hipError_tPvRmT1_T2_T3_mmT4_T5_P12ihipStream_tbEUlRKsE_EESM_SQ_SR_mSS_SV_bEUlT_E_NS1_11comp_targetILNS1_3genE10ELNS1_11target_archE1200ELNS1_3gpuE4ELNS1_3repE0EEENS1_30default_config_static_selectorELNS0_4arch9wavefront6targetE0EEEvSP_, .Lfunc_end543-_ZN7rocprim17ROCPRIM_400000_NS6detail17trampoline_kernelINS0_14default_configENS1_29binary_search_config_selectorIsiEEZNS1_14transform_implILb0ES3_S5_N6thrust23THRUST_200600_302600_NS6detail15normal_iteratorINS8_10device_ptrIsEEEENSA_INSB_IiEEEEZNS1_13binary_searchIS3_S5_SD_SD_SF_NS1_16binary_search_opENS9_16wrapped_functionINS0_4lessIvEEbEEEE10hipError_tPvRmT1_T2_T3_mmT4_T5_P12ihipStream_tbEUlRKsE_EESM_SQ_SR_mSS_SV_bEUlT_E_NS1_11comp_targetILNS1_3genE10ELNS1_11target_archE1200ELNS1_3gpuE4ELNS1_3repE0EEENS1_30default_config_static_selectorELNS0_4arch9wavefront6targetE0EEEvSP_
                                        ; -- End function
	.section	.AMDGPU.csdata,"",@progbits
; Kernel info:
; codeLenInByte = 0
; NumSgprs: 0
; NumVgprs: 0
; ScratchSize: 0
; MemoryBound: 0
; FloatMode: 240
; IeeeMode: 1
; LDSByteSize: 0 bytes/workgroup (compile time only)
; SGPRBlocks: 0
; VGPRBlocks: 0
; NumSGPRsForWavesPerEU: 1
; NumVGPRsForWavesPerEU: 1
; Occupancy: 16
; WaveLimiterHint : 0
; COMPUTE_PGM_RSRC2:SCRATCH_EN: 0
; COMPUTE_PGM_RSRC2:USER_SGPR: 15
; COMPUTE_PGM_RSRC2:TRAP_HANDLER: 0
; COMPUTE_PGM_RSRC2:TGID_X_EN: 1
; COMPUTE_PGM_RSRC2:TGID_Y_EN: 0
; COMPUTE_PGM_RSRC2:TGID_Z_EN: 0
; COMPUTE_PGM_RSRC2:TIDIG_COMP_CNT: 0
	.section	.text._ZN7rocprim17ROCPRIM_400000_NS6detail17trampoline_kernelINS0_14default_configENS1_29binary_search_config_selectorIsiEEZNS1_14transform_implILb0ES3_S5_N6thrust23THRUST_200600_302600_NS6detail15normal_iteratorINS8_10device_ptrIsEEEENSA_INSB_IiEEEEZNS1_13binary_searchIS3_S5_SD_SD_SF_NS1_16binary_search_opENS9_16wrapped_functionINS0_4lessIvEEbEEEE10hipError_tPvRmT1_T2_T3_mmT4_T5_P12ihipStream_tbEUlRKsE_EESM_SQ_SR_mSS_SV_bEUlT_E_NS1_11comp_targetILNS1_3genE9ELNS1_11target_archE1100ELNS1_3gpuE3ELNS1_3repE0EEENS1_30default_config_static_selectorELNS0_4arch9wavefront6targetE0EEEvSP_,"axG",@progbits,_ZN7rocprim17ROCPRIM_400000_NS6detail17trampoline_kernelINS0_14default_configENS1_29binary_search_config_selectorIsiEEZNS1_14transform_implILb0ES3_S5_N6thrust23THRUST_200600_302600_NS6detail15normal_iteratorINS8_10device_ptrIsEEEENSA_INSB_IiEEEEZNS1_13binary_searchIS3_S5_SD_SD_SF_NS1_16binary_search_opENS9_16wrapped_functionINS0_4lessIvEEbEEEE10hipError_tPvRmT1_T2_T3_mmT4_T5_P12ihipStream_tbEUlRKsE_EESM_SQ_SR_mSS_SV_bEUlT_E_NS1_11comp_targetILNS1_3genE9ELNS1_11target_archE1100ELNS1_3gpuE3ELNS1_3repE0EEENS1_30default_config_static_selectorELNS0_4arch9wavefront6targetE0EEEvSP_,comdat
	.protected	_ZN7rocprim17ROCPRIM_400000_NS6detail17trampoline_kernelINS0_14default_configENS1_29binary_search_config_selectorIsiEEZNS1_14transform_implILb0ES3_S5_N6thrust23THRUST_200600_302600_NS6detail15normal_iteratorINS8_10device_ptrIsEEEENSA_INSB_IiEEEEZNS1_13binary_searchIS3_S5_SD_SD_SF_NS1_16binary_search_opENS9_16wrapped_functionINS0_4lessIvEEbEEEE10hipError_tPvRmT1_T2_T3_mmT4_T5_P12ihipStream_tbEUlRKsE_EESM_SQ_SR_mSS_SV_bEUlT_E_NS1_11comp_targetILNS1_3genE9ELNS1_11target_archE1100ELNS1_3gpuE3ELNS1_3repE0EEENS1_30default_config_static_selectorELNS0_4arch9wavefront6targetE0EEEvSP_ ; -- Begin function _ZN7rocprim17ROCPRIM_400000_NS6detail17trampoline_kernelINS0_14default_configENS1_29binary_search_config_selectorIsiEEZNS1_14transform_implILb0ES3_S5_N6thrust23THRUST_200600_302600_NS6detail15normal_iteratorINS8_10device_ptrIsEEEENSA_INSB_IiEEEEZNS1_13binary_searchIS3_S5_SD_SD_SF_NS1_16binary_search_opENS9_16wrapped_functionINS0_4lessIvEEbEEEE10hipError_tPvRmT1_T2_T3_mmT4_T5_P12ihipStream_tbEUlRKsE_EESM_SQ_SR_mSS_SV_bEUlT_E_NS1_11comp_targetILNS1_3genE9ELNS1_11target_archE1100ELNS1_3gpuE3ELNS1_3repE0EEENS1_30default_config_static_selectorELNS0_4arch9wavefront6targetE0EEEvSP_
	.globl	_ZN7rocprim17ROCPRIM_400000_NS6detail17trampoline_kernelINS0_14default_configENS1_29binary_search_config_selectorIsiEEZNS1_14transform_implILb0ES3_S5_N6thrust23THRUST_200600_302600_NS6detail15normal_iteratorINS8_10device_ptrIsEEEENSA_INSB_IiEEEEZNS1_13binary_searchIS3_S5_SD_SD_SF_NS1_16binary_search_opENS9_16wrapped_functionINS0_4lessIvEEbEEEE10hipError_tPvRmT1_T2_T3_mmT4_T5_P12ihipStream_tbEUlRKsE_EESM_SQ_SR_mSS_SV_bEUlT_E_NS1_11comp_targetILNS1_3genE9ELNS1_11target_archE1100ELNS1_3gpuE3ELNS1_3repE0EEENS1_30default_config_static_selectorELNS0_4arch9wavefront6targetE0EEEvSP_
	.p2align	8
	.type	_ZN7rocprim17ROCPRIM_400000_NS6detail17trampoline_kernelINS0_14default_configENS1_29binary_search_config_selectorIsiEEZNS1_14transform_implILb0ES3_S5_N6thrust23THRUST_200600_302600_NS6detail15normal_iteratorINS8_10device_ptrIsEEEENSA_INSB_IiEEEEZNS1_13binary_searchIS3_S5_SD_SD_SF_NS1_16binary_search_opENS9_16wrapped_functionINS0_4lessIvEEbEEEE10hipError_tPvRmT1_T2_T3_mmT4_T5_P12ihipStream_tbEUlRKsE_EESM_SQ_SR_mSS_SV_bEUlT_E_NS1_11comp_targetILNS1_3genE9ELNS1_11target_archE1100ELNS1_3gpuE3ELNS1_3repE0EEENS1_30default_config_static_selectorELNS0_4arch9wavefront6targetE0EEEvSP_,@function
_ZN7rocprim17ROCPRIM_400000_NS6detail17trampoline_kernelINS0_14default_configENS1_29binary_search_config_selectorIsiEEZNS1_14transform_implILb0ES3_S5_N6thrust23THRUST_200600_302600_NS6detail15normal_iteratorINS8_10device_ptrIsEEEENSA_INSB_IiEEEEZNS1_13binary_searchIS3_S5_SD_SD_SF_NS1_16binary_search_opENS9_16wrapped_functionINS0_4lessIvEEbEEEE10hipError_tPvRmT1_T2_T3_mmT4_T5_P12ihipStream_tbEUlRKsE_EESM_SQ_SR_mSS_SV_bEUlT_E_NS1_11comp_targetILNS1_3genE9ELNS1_11target_archE1100ELNS1_3gpuE3ELNS1_3repE0EEENS1_30default_config_static_selectorELNS0_4arch9wavefront6targetE0EEEvSP_: ; @_ZN7rocprim17ROCPRIM_400000_NS6detail17trampoline_kernelINS0_14default_configENS1_29binary_search_config_selectorIsiEEZNS1_14transform_implILb0ES3_S5_N6thrust23THRUST_200600_302600_NS6detail15normal_iteratorINS8_10device_ptrIsEEEENSA_INSB_IiEEEEZNS1_13binary_searchIS3_S5_SD_SD_SF_NS1_16binary_search_opENS9_16wrapped_functionINS0_4lessIvEEbEEEE10hipError_tPvRmT1_T2_T3_mmT4_T5_P12ihipStream_tbEUlRKsE_EESM_SQ_SR_mSS_SV_bEUlT_E_NS1_11comp_targetILNS1_3genE9ELNS1_11target_archE1100ELNS1_3gpuE3ELNS1_3repE0EEENS1_30default_config_static_selectorELNS0_4arch9wavefront6targetE0EEEvSP_
; %bb.0:
	s_clause 0x2
	s_load_b256 s[4:11], s[0:1], 0x0
	s_load_b32 s2, s[0:1], 0x38
	s_load_b128 s[16:19], s[0:1], 0x20
	s_waitcnt lgkmcnt(0)
	s_lshl_b64 s[0:1], s[6:7], 1
	s_delay_alu instid0(SALU_CYCLE_1) | instskip(SKIP_2) | instid1(SALU_CYCLE_1)
	s_add_u32 s3, s4, s0
	s_addc_u32 s4, s5, s1
	s_lshl_b64 s[0:1], s[6:7], 2
	s_add_u32 s7, s10, s0
	s_addc_u32 s9, s11, s1
	s_lshl_b32 s10, s15, 9
	s_mov_b32 s11, 0
	s_add_i32 s2, s2, -1
	s_lshl_b64 s[0:1], s[10:11], 1
	s_delay_alu instid0(SALU_CYCLE_1)
	s_add_u32 s13, s3, s0
	s_addc_u32 s14, s4, s1
	s_cmp_lg_u32 s15, s2
	s_mov_b32 s0, -1
	s_cbranch_scc0 .LBB544_50
; %bb.1:
	v_lshlrev_b32_e32 v1, 1, v0
	s_cmp_lg_u64 s[18:19], 0
	s_mov_b32 s1, 0
	s_delay_alu instid0(VALU_DEP_1) | instskip(NEXT) | instid1(VALU_DEP_1)
	v_add_co_u32 v1, s0, s13, v1
	v_add_co_ci_u32_e64 v2, null, s14, 0, s0
	s_cselect_b32 s0, -1, 0
	s_cmp_eq_u64 s[18:19], 0
	s_clause 0x7
	flat_load_u16 v8, v[1:2]
	flat_load_u16 v11, v[1:2] offset:128
	flat_load_u16 v13, v[1:2] offset:256
	;; [unrolled: 1-line block ×7, first 2 shown]
	v_mov_b32_e32 v1, 0
	v_mov_b32_e32 v2, 0
	s_cbranch_scc1 .LBB544_5
; %bb.2:
	v_mov_b32_e32 v1, 0
	v_dual_mov_b32 v2, 0 :: v_dual_mov_b32 v3, s18
	v_mov_b32_e32 v4, s19
	.p2align	6
.LBB544_3:                              ; =>This Inner Loop Header: Depth=1
	s_delay_alu instid0(VALU_DEP_2) | instskip(NEXT) | instid1(VALU_DEP_2)
	v_sub_co_u32 v15, vcc_lo, v3, v1
	v_sub_co_ci_u32_e32 v16, vcc_lo, v4, v2, vcc_lo
	s_delay_alu instid0(VALU_DEP_1) | instskip(SKIP_1) | instid1(VALU_DEP_2)
	v_lshrrev_b64 v[17:18], 1, v[15:16]
	v_lshrrev_b64 v[15:16], 6, v[15:16]
	v_add_co_u32 v6, vcc_lo, v17, v1
	s_delay_alu instid0(VALU_DEP_3) | instskip(NEXT) | instid1(VALU_DEP_2)
	v_add_co_ci_u32_e32 v9, vcc_lo, v18, v2, vcc_lo
	v_add_co_u32 v15, vcc_lo, v6, v15
	s_delay_alu instid0(VALU_DEP_2) | instskip(NEXT) | instid1(VALU_DEP_1)
	v_add_co_ci_u32_e32 v16, vcc_lo, v9, v16, vcc_lo
	v_lshlrev_b64 v[17:18], 1, v[15:16]
	s_delay_alu instid0(VALU_DEP_1) | instskip(NEXT) | instid1(VALU_DEP_2)
	v_add_co_u32 v17, vcc_lo, s16, v17
	v_add_co_ci_u32_e32 v18, vcc_lo, s17, v18, vcc_lo
	v_add_co_u32 v9, vcc_lo, v15, 1
	global_load_u16 v6, v[17:18], off
	v_add_co_ci_u32_e32 v17, vcc_lo, 0, v16, vcc_lo
	s_waitcnt vmcnt(0) lgkmcnt(7)
	v_cmp_lt_i16_e32 vcc_lo, v6, v8
	v_dual_cndmask_b32 v4, v16, v4 :: v_dual_cndmask_b32 v3, v15, v3
	s_delay_alu instid0(VALU_DEP_3) | instskip(SKIP_1) | instid1(VALU_DEP_1)
	v_cndmask_b32_e32 v2, v2, v17, vcc_lo
	v_cndmask_b32_e32 v1, v1, v9, vcc_lo
	v_cmp_ge_u64_e32 vcc_lo, v[1:2], v[3:4]
	s_or_b32 s1, vcc_lo, s1
	s_delay_alu instid0(SALU_CYCLE_1)
	s_and_not1_b32 exec_lo, exec_lo, s1
	s_cbranch_execnz .LBB544_3
; %bb.4:
	s_or_b32 exec_lo, exec_lo, s1
.LBB544_5:
	v_mov_b32_e32 v6, 0
	s_mov_b32 s1, exec_lo
	s_delay_alu instid0(VALU_DEP_2)
	v_cmpx_ne_u64_e64 s[18:19], v[1:2]
	s_cbranch_execz .LBB544_7
; %bb.6:
	v_lshlrev_b64 v[1:2], 1, v[1:2]
	s_delay_alu instid0(VALU_DEP_1) | instskip(NEXT) | instid1(VALU_DEP_2)
	v_add_co_u32 v1, vcc_lo, s16, v1
	v_add_co_ci_u32_e32 v2, vcc_lo, s17, v2, vcc_lo
	global_load_u16 v1, v[1:2], off
	s_waitcnt vmcnt(0) lgkmcnt(7)
	v_cmp_le_i16_e32 vcc_lo, v1, v8
	v_cndmask_b32_e64 v6, 0, 1, vcc_lo
.LBB544_7:
	s_or_b32 exec_lo, exec_lo, s1
	v_mov_b32_e32 v1, 0
	v_cndmask_b32_e64 v9, 0, 1, s0
	v_mov_b32_e32 v2, 0
	s_and_not1_b32 vcc_lo, exec_lo, s0
	s_cbranch_vccnz .LBB544_11
; %bb.8:
	v_dual_mov_b32 v3, s18 :: v_dual_mov_b32 v4, s19
	s_mov_b32 s0, 0
	.p2align	6
.LBB544_9:                              ; =>This Inner Loop Header: Depth=1
	s_delay_alu instid0(VALU_DEP_1) | instskip(NEXT) | instid1(VALU_DEP_2)
	v_sub_co_u32 v15, vcc_lo, v3, v1
	v_sub_co_ci_u32_e32 v16, vcc_lo, v4, v2, vcc_lo
	s_delay_alu instid0(VALU_DEP_1) | instskip(SKIP_2) | instid1(VALU_DEP_2)
	v_lshrrev_b64 v[17:18], 1, v[15:16]
	v_lshrrev_b64 v[15:16], 6, v[15:16]
	s_waitcnt vmcnt(7) lgkmcnt(7)
	v_add_co_u32 v8, vcc_lo, v17, v1
	s_delay_alu instid0(VALU_DEP_3) | instskip(NEXT) | instid1(VALU_DEP_2)
	v_add_co_ci_u32_e32 v17, vcc_lo, v18, v2, vcc_lo
	v_add_co_u32 v15, vcc_lo, v8, v15
	s_delay_alu instid0(VALU_DEP_2) | instskip(NEXT) | instid1(VALU_DEP_1)
	v_add_co_ci_u32_e32 v16, vcc_lo, v17, v16, vcc_lo
	v_lshlrev_b64 v[17:18], 1, v[15:16]
	s_delay_alu instid0(VALU_DEP_1) | instskip(NEXT) | instid1(VALU_DEP_2)
	v_add_co_u32 v17, vcc_lo, s16, v17
	v_add_co_ci_u32_e32 v18, vcc_lo, s17, v18, vcc_lo
	global_load_u16 v8, v[17:18], off
	v_add_co_u32 v17, vcc_lo, v15, 1
	v_add_co_ci_u32_e32 v18, vcc_lo, 0, v16, vcc_lo
	s_waitcnt vmcnt(0) lgkmcnt(6)
	v_cmp_lt_i16_e32 vcc_lo, v8, v11
	v_dual_cndmask_b32 v4, v16, v4 :: v_dual_cndmask_b32 v3, v15, v3
	s_delay_alu instid0(VALU_DEP_3) | instskip(NEXT) | instid1(VALU_DEP_1)
	v_dual_cndmask_b32 v2, v2, v18 :: v_dual_cndmask_b32 v1, v1, v17
	v_cmp_ge_u64_e32 vcc_lo, v[1:2], v[3:4]
	s_or_b32 s0, vcc_lo, s0
	s_delay_alu instid0(SALU_CYCLE_1)
	s_and_not1_b32 exec_lo, exec_lo, s0
	s_cbranch_execnz .LBB544_9
; %bb.10:
	s_or_b32 exec_lo, exec_lo, s0
.LBB544_11:
	s_waitcnt vmcnt(7) lgkmcnt(7)
	v_mov_b32_e32 v8, 0
	s_mov_b32 s0, exec_lo
	v_cmpx_ne_u64_e64 s[18:19], v[1:2]
	s_cbranch_execz .LBB544_13
; %bb.12:
	v_lshlrev_b64 v[1:2], 1, v[1:2]
	s_delay_alu instid0(VALU_DEP_1) | instskip(NEXT) | instid1(VALU_DEP_2)
	v_add_co_u32 v1, vcc_lo, s16, v1
	v_add_co_ci_u32_e32 v2, vcc_lo, s17, v2, vcc_lo
	global_load_u16 v1, v[1:2], off
	s_waitcnt vmcnt(0) lgkmcnt(6)
	v_cmp_le_i16_e32 vcc_lo, v1, v11
	v_cndmask_b32_e64 v8, 0, 1, vcc_lo
.LBB544_13:
	s_or_b32 exec_lo, exec_lo, s0
	v_cmp_ne_u32_e32 vcc_lo, 1, v9
	v_mov_b32_e32 v1, 0
	v_mov_b32_e32 v2, 0
	s_cbranch_vccnz .LBB544_17
; %bb.14:
	v_dual_mov_b32 v3, s18 :: v_dual_mov_b32 v4, s19
	s_mov_b32 s0, 0
	.p2align	6
.LBB544_15:                             ; =>This Inner Loop Header: Depth=1
	s_delay_alu instid0(VALU_DEP_1) | instskip(NEXT) | instid1(VALU_DEP_2)
	v_sub_co_u32 v15, vcc_lo, v3, v1
	v_sub_co_ci_u32_e32 v16, vcc_lo, v4, v2, vcc_lo
	s_delay_alu instid0(VALU_DEP_1) | instskip(SKIP_2) | instid1(VALU_DEP_2)
	v_lshrrev_b64 v[17:18], 1, v[15:16]
	v_lshrrev_b64 v[15:16], 6, v[15:16]
	s_waitcnt vmcnt(6) lgkmcnt(6)
	v_add_co_u32 v11, vcc_lo, v17, v1
	s_delay_alu instid0(VALU_DEP_3) | instskip(NEXT) | instid1(VALU_DEP_2)
	v_add_co_ci_u32_e32 v17, vcc_lo, v18, v2, vcc_lo
	v_add_co_u32 v15, vcc_lo, v11, v15
	s_delay_alu instid0(VALU_DEP_2) | instskip(NEXT) | instid1(VALU_DEP_1)
	v_add_co_ci_u32_e32 v16, vcc_lo, v17, v16, vcc_lo
	v_lshlrev_b64 v[17:18], 1, v[15:16]
	s_delay_alu instid0(VALU_DEP_1) | instskip(NEXT) | instid1(VALU_DEP_2)
	v_add_co_u32 v17, vcc_lo, s16, v17
	v_add_co_ci_u32_e32 v18, vcc_lo, s17, v18, vcc_lo
	global_load_u16 v11, v[17:18], off
	v_add_co_u32 v17, vcc_lo, v15, 1
	v_add_co_ci_u32_e32 v18, vcc_lo, 0, v16, vcc_lo
	s_waitcnt vmcnt(0) lgkmcnt(5)
	v_cmp_lt_i16_e32 vcc_lo, v11, v13
	v_dual_cndmask_b32 v4, v16, v4 :: v_dual_cndmask_b32 v3, v15, v3
	s_delay_alu instid0(VALU_DEP_3) | instskip(NEXT) | instid1(VALU_DEP_1)
	v_dual_cndmask_b32 v2, v2, v18 :: v_dual_cndmask_b32 v1, v1, v17
	v_cmp_ge_u64_e32 vcc_lo, v[1:2], v[3:4]
	s_or_b32 s0, vcc_lo, s0
	s_delay_alu instid0(SALU_CYCLE_1)
	s_and_not1_b32 exec_lo, exec_lo, s0
	s_cbranch_execnz .LBB544_15
; %bb.16:
	s_or_b32 exec_lo, exec_lo, s0
.LBB544_17:
	s_waitcnt vmcnt(6) lgkmcnt(6)
	v_mov_b32_e32 v11, 0
	s_mov_b32 s0, exec_lo
	v_cmpx_ne_u64_e64 s[18:19], v[1:2]
	s_cbranch_execz .LBB544_19
; %bb.18:
	v_lshlrev_b64 v[1:2], 1, v[1:2]
	s_delay_alu instid0(VALU_DEP_1) | instskip(NEXT) | instid1(VALU_DEP_2)
	v_add_co_u32 v1, vcc_lo, s16, v1
	v_add_co_ci_u32_e32 v2, vcc_lo, s17, v2, vcc_lo
	global_load_u16 v1, v[1:2], off
	s_waitcnt vmcnt(0) lgkmcnt(5)
	v_cmp_le_i16_e32 vcc_lo, v1, v13
	v_cndmask_b32_e64 v11, 0, 1, vcc_lo
.LBB544_19:
	s_or_b32 exec_lo, exec_lo, s0
	v_cmp_ne_u32_e32 vcc_lo, 1, v9
	v_mov_b32_e32 v1, 0
	v_mov_b32_e32 v2, 0
	s_cbranch_vccnz .LBB544_23
; %bb.20:
	v_dual_mov_b32 v3, s18 :: v_dual_mov_b32 v4, s19
	s_mov_b32 s0, 0
	.p2align	6
.LBB544_21:                             ; =>This Inner Loop Header: Depth=1
	s_delay_alu instid0(VALU_DEP_1) | instskip(NEXT) | instid1(VALU_DEP_2)
	v_sub_co_u32 v15, vcc_lo, v3, v1
	v_sub_co_ci_u32_e32 v16, vcc_lo, v4, v2, vcc_lo
	s_delay_alu instid0(VALU_DEP_1) | instskip(SKIP_2) | instid1(VALU_DEP_2)
	v_lshrrev_b64 v[17:18], 1, v[15:16]
	v_lshrrev_b64 v[15:16], 6, v[15:16]
	s_waitcnt vmcnt(5) lgkmcnt(5)
	v_add_co_u32 v13, vcc_lo, v17, v1
	s_delay_alu instid0(VALU_DEP_3) | instskip(NEXT) | instid1(VALU_DEP_2)
	v_add_co_ci_u32_e32 v17, vcc_lo, v18, v2, vcc_lo
	v_add_co_u32 v15, vcc_lo, v13, v15
	s_delay_alu instid0(VALU_DEP_2) | instskip(NEXT) | instid1(VALU_DEP_1)
	v_add_co_ci_u32_e32 v16, vcc_lo, v17, v16, vcc_lo
	v_lshlrev_b64 v[17:18], 1, v[15:16]
	s_delay_alu instid0(VALU_DEP_1) | instskip(NEXT) | instid1(VALU_DEP_2)
	v_add_co_u32 v17, vcc_lo, s16, v17
	v_add_co_ci_u32_e32 v18, vcc_lo, s17, v18, vcc_lo
	global_load_u16 v13, v[17:18], off
	v_add_co_u32 v17, vcc_lo, v15, 1
	v_add_co_ci_u32_e32 v18, vcc_lo, 0, v16, vcc_lo
	s_waitcnt vmcnt(0) lgkmcnt(4)
	v_cmp_lt_i16_e32 vcc_lo, v13, v14
	v_dual_cndmask_b32 v4, v16, v4 :: v_dual_cndmask_b32 v3, v15, v3
	s_delay_alu instid0(VALU_DEP_3) | instskip(NEXT) | instid1(VALU_DEP_1)
	v_dual_cndmask_b32 v2, v2, v18 :: v_dual_cndmask_b32 v1, v1, v17
	v_cmp_ge_u64_e32 vcc_lo, v[1:2], v[3:4]
	s_or_b32 s0, vcc_lo, s0
	s_delay_alu instid0(SALU_CYCLE_1)
	s_and_not1_b32 exec_lo, exec_lo, s0
	s_cbranch_execnz .LBB544_21
; %bb.22:
	s_or_b32 exec_lo, exec_lo, s0
.LBB544_23:
	s_waitcnt vmcnt(5) lgkmcnt(5)
	v_mov_b32_e32 v13, 0
	s_mov_b32 s0, exec_lo
	v_cmpx_ne_u64_e64 s[18:19], v[1:2]
	s_cbranch_execz .LBB544_25
; %bb.24:
	v_lshlrev_b64 v[1:2], 1, v[1:2]
	s_delay_alu instid0(VALU_DEP_1) | instskip(NEXT) | instid1(VALU_DEP_2)
	v_add_co_u32 v1, vcc_lo, s16, v1
	v_add_co_ci_u32_e32 v2, vcc_lo, s17, v2, vcc_lo
	global_load_u16 v1, v[1:2], off
	s_waitcnt vmcnt(0) lgkmcnt(4)
	v_cmp_le_i16_e32 vcc_lo, v1, v14
	v_cndmask_b32_e64 v13, 0, 1, vcc_lo
.LBB544_25:
	s_or_b32 exec_lo, exec_lo, s0
	v_cmp_ne_u32_e32 vcc_lo, 1, v9
	v_mov_b32_e32 v1, 0
	v_mov_b32_e32 v2, 0
	s_cbranch_vccnz .LBB544_29
; %bb.26:
	v_dual_mov_b32 v3, s18 :: v_dual_mov_b32 v4, s19
	s_mov_b32 s0, 0
	.p2align	6
.LBB544_27:                             ; =>This Inner Loop Header: Depth=1
	s_waitcnt vmcnt(4) lgkmcnt(4)
	s_delay_alu instid0(VALU_DEP_1) | instskip(NEXT) | instid1(VALU_DEP_2)
	v_sub_co_u32 v14, vcc_lo, v3, v1
	v_sub_co_ci_u32_e32 v15, vcc_lo, v4, v2, vcc_lo
	s_delay_alu instid0(VALU_DEP_1) | instskip(SKIP_1) | instid1(VALU_DEP_2)
	v_lshrrev_b64 v[16:17], 1, v[14:15]
	v_lshrrev_b64 v[14:15], 6, v[14:15]
	v_add_co_u32 v16, vcc_lo, v16, v1
	s_delay_alu instid0(VALU_DEP_3) | instskip(NEXT) | instid1(VALU_DEP_2)
	v_add_co_ci_u32_e32 v17, vcc_lo, v17, v2, vcc_lo
	v_add_co_u32 v14, vcc_lo, v16, v14
	s_delay_alu instid0(VALU_DEP_2) | instskip(NEXT) | instid1(VALU_DEP_1)
	v_add_co_ci_u32_e32 v15, vcc_lo, v17, v15, vcc_lo
	v_lshlrev_b64 v[16:17], 1, v[14:15]
	s_delay_alu instid0(VALU_DEP_1) | instskip(NEXT) | instid1(VALU_DEP_2)
	v_add_co_u32 v16, vcc_lo, s16, v16
	v_add_co_ci_u32_e32 v17, vcc_lo, s17, v17, vcc_lo
	global_load_u16 v16, v[16:17], off
	v_add_co_u32 v17, vcc_lo, v14, 1
	v_add_co_ci_u32_e32 v18, vcc_lo, 0, v15, vcc_lo
	s_waitcnt vmcnt(0) lgkmcnt(3)
	v_cmp_lt_i16_e32 vcc_lo, v16, v12
	v_dual_cndmask_b32 v4, v15, v4 :: v_dual_cndmask_b32 v3, v14, v3
	s_delay_alu instid0(VALU_DEP_3) | instskip(NEXT) | instid1(VALU_DEP_1)
	v_dual_cndmask_b32 v2, v2, v18 :: v_dual_cndmask_b32 v1, v1, v17
	v_cmp_ge_u64_e32 vcc_lo, v[1:2], v[3:4]
	s_or_b32 s0, vcc_lo, s0
	s_delay_alu instid0(SALU_CYCLE_1)
	s_and_not1_b32 exec_lo, exec_lo, s0
	s_cbranch_execnz .LBB544_27
; %bb.28:
	s_or_b32 exec_lo, exec_lo, s0
.LBB544_29:
	s_waitcnt vmcnt(4) lgkmcnt(4)
	v_mov_b32_e32 v14, 0
	s_mov_b32 s0, exec_lo
	v_cmpx_ne_u64_e64 s[18:19], v[1:2]
	s_cbranch_execz .LBB544_31
; %bb.30:
	v_lshlrev_b64 v[1:2], 1, v[1:2]
	s_delay_alu instid0(VALU_DEP_1) | instskip(NEXT) | instid1(VALU_DEP_2)
	v_add_co_u32 v1, vcc_lo, s16, v1
	v_add_co_ci_u32_e32 v2, vcc_lo, s17, v2, vcc_lo
	global_load_u16 v1, v[1:2], off
	s_waitcnt vmcnt(0) lgkmcnt(3)
	v_cmp_le_i16_e32 vcc_lo, v1, v12
	v_cndmask_b32_e64 v14, 0, 1, vcc_lo
.LBB544_31:
	s_or_b32 exec_lo, exec_lo, s0
	v_cmp_ne_u32_e32 vcc_lo, 1, v9
	v_mov_b32_e32 v1, 0
	v_mov_b32_e32 v2, 0
	s_cbranch_vccnz .LBB544_35
; %bb.32:
	v_dual_mov_b32 v3, s18 :: v_dual_mov_b32 v4, s19
	s_mov_b32 s0, 0
	.p2align	6
.LBB544_33:                             ; =>This Inner Loop Header: Depth=1
	s_delay_alu instid0(VALU_DEP_1) | instskip(NEXT) | instid1(VALU_DEP_2)
	v_sub_co_u32 v15, vcc_lo, v3, v1
	v_sub_co_ci_u32_e32 v16, vcc_lo, v4, v2, vcc_lo
	s_delay_alu instid0(VALU_DEP_1) | instskip(SKIP_2) | instid1(VALU_DEP_2)
	v_lshrrev_b64 v[17:18], 1, v[15:16]
	v_lshrrev_b64 v[15:16], 6, v[15:16]
	s_waitcnt vmcnt(3) lgkmcnt(3)
	v_add_co_u32 v12, vcc_lo, v17, v1
	s_delay_alu instid0(VALU_DEP_3) | instskip(NEXT) | instid1(VALU_DEP_2)
	v_add_co_ci_u32_e32 v17, vcc_lo, v18, v2, vcc_lo
	v_add_co_u32 v15, vcc_lo, v12, v15
	s_delay_alu instid0(VALU_DEP_2) | instskip(NEXT) | instid1(VALU_DEP_1)
	v_add_co_ci_u32_e32 v16, vcc_lo, v17, v16, vcc_lo
	v_lshlrev_b64 v[17:18], 1, v[15:16]
	s_delay_alu instid0(VALU_DEP_1) | instskip(NEXT) | instid1(VALU_DEP_2)
	v_add_co_u32 v17, vcc_lo, s16, v17
	v_add_co_ci_u32_e32 v18, vcc_lo, s17, v18, vcc_lo
	global_load_u16 v12, v[17:18], off
	v_add_co_u32 v17, vcc_lo, v15, 1
	v_add_co_ci_u32_e32 v18, vcc_lo, 0, v16, vcc_lo
	s_waitcnt vmcnt(0) lgkmcnt(2)
	v_cmp_lt_i16_e32 vcc_lo, v12, v10
	v_dual_cndmask_b32 v4, v16, v4 :: v_dual_cndmask_b32 v3, v15, v3
	s_delay_alu instid0(VALU_DEP_3) | instskip(NEXT) | instid1(VALU_DEP_1)
	v_dual_cndmask_b32 v2, v2, v18 :: v_dual_cndmask_b32 v1, v1, v17
	v_cmp_ge_u64_e32 vcc_lo, v[1:2], v[3:4]
	s_or_b32 s0, vcc_lo, s0
	s_delay_alu instid0(SALU_CYCLE_1)
	s_and_not1_b32 exec_lo, exec_lo, s0
	s_cbranch_execnz .LBB544_33
; %bb.34:
	s_or_b32 exec_lo, exec_lo, s0
.LBB544_35:
	s_waitcnt vmcnt(3) lgkmcnt(3)
	v_mov_b32_e32 v12, 0
	s_mov_b32 s0, exec_lo
	v_cmpx_ne_u64_e64 s[18:19], v[1:2]
	s_cbranch_execz .LBB544_37
; %bb.36:
	v_lshlrev_b64 v[1:2], 1, v[1:2]
	s_delay_alu instid0(VALU_DEP_1) | instskip(NEXT) | instid1(VALU_DEP_2)
	v_add_co_u32 v1, vcc_lo, s16, v1
	v_add_co_ci_u32_e32 v2, vcc_lo, s17, v2, vcc_lo
	global_load_u16 v1, v[1:2], off
	s_waitcnt vmcnt(0) lgkmcnt(2)
	v_cmp_le_i16_e32 vcc_lo, v1, v10
	v_cndmask_b32_e64 v12, 0, 1, vcc_lo
.LBB544_37:
	s_or_b32 exec_lo, exec_lo, s0
	v_cmp_ne_u32_e32 vcc_lo, 1, v9
	v_mov_b32_e32 v1, 0
	v_mov_b32_e32 v2, 0
	s_cbranch_vccnz .LBB544_41
; %bb.38:
	v_dual_mov_b32 v3, s18 :: v_dual_mov_b32 v4, s19
	s_mov_b32 s0, 0
	.p2align	6
.LBB544_39:                             ; =>This Inner Loop Header: Depth=1
	s_delay_alu instid0(VALU_DEP_1) | instskip(NEXT) | instid1(VALU_DEP_2)
	v_sub_co_u32 v15, vcc_lo, v3, v1
	v_sub_co_ci_u32_e32 v16, vcc_lo, v4, v2, vcc_lo
	s_delay_alu instid0(VALU_DEP_1) | instskip(SKIP_2) | instid1(VALU_DEP_2)
	v_lshrrev_b64 v[17:18], 1, v[15:16]
	v_lshrrev_b64 v[15:16], 6, v[15:16]
	s_waitcnt vmcnt(2) lgkmcnt(2)
	v_add_co_u32 v10, vcc_lo, v17, v1
	s_delay_alu instid0(VALU_DEP_3) | instskip(NEXT) | instid1(VALU_DEP_2)
	v_add_co_ci_u32_e32 v17, vcc_lo, v18, v2, vcc_lo
	v_add_co_u32 v15, vcc_lo, v10, v15
	s_delay_alu instid0(VALU_DEP_2) | instskip(NEXT) | instid1(VALU_DEP_1)
	v_add_co_ci_u32_e32 v16, vcc_lo, v17, v16, vcc_lo
	v_lshlrev_b64 v[17:18], 1, v[15:16]
	s_delay_alu instid0(VALU_DEP_1) | instskip(NEXT) | instid1(VALU_DEP_2)
	v_add_co_u32 v17, vcc_lo, s16, v17
	v_add_co_ci_u32_e32 v18, vcc_lo, s17, v18, vcc_lo
	global_load_u16 v10, v[17:18], off
	v_add_co_u32 v17, vcc_lo, v15, 1
	v_add_co_ci_u32_e32 v18, vcc_lo, 0, v16, vcc_lo
	s_waitcnt vmcnt(0) lgkmcnt(1)
	v_cmp_lt_i16_e32 vcc_lo, v10, v7
	v_dual_cndmask_b32 v4, v16, v4 :: v_dual_cndmask_b32 v3, v15, v3
	s_delay_alu instid0(VALU_DEP_3) | instskip(NEXT) | instid1(VALU_DEP_1)
	v_dual_cndmask_b32 v2, v2, v18 :: v_dual_cndmask_b32 v1, v1, v17
	v_cmp_ge_u64_e32 vcc_lo, v[1:2], v[3:4]
	s_or_b32 s0, vcc_lo, s0
	s_delay_alu instid0(SALU_CYCLE_1)
	s_and_not1_b32 exec_lo, exec_lo, s0
	s_cbranch_execnz .LBB544_39
; %bb.40:
	s_or_b32 exec_lo, exec_lo, s0
.LBB544_41:
	s_waitcnt vmcnt(2) lgkmcnt(2)
	v_mov_b32_e32 v10, 0
	s_mov_b32 s0, exec_lo
	v_cmpx_ne_u64_e64 s[18:19], v[1:2]
	s_cbranch_execz .LBB544_43
; %bb.42:
	v_lshlrev_b64 v[1:2], 1, v[1:2]
	s_delay_alu instid0(VALU_DEP_1) | instskip(NEXT) | instid1(VALU_DEP_2)
	v_add_co_u32 v1, vcc_lo, s16, v1
	v_add_co_ci_u32_e32 v2, vcc_lo, s17, v2, vcc_lo
	global_load_u16 v1, v[1:2], off
	s_waitcnt vmcnt(0) lgkmcnt(1)
	v_cmp_le_i16_e32 vcc_lo, v1, v7
	v_cndmask_b32_e64 v10, 0, 1, vcc_lo
.LBB544_43:
	s_or_b32 exec_lo, exec_lo, s0
	v_cmp_ne_u32_e32 vcc_lo, 1, v9
	v_mov_b32_e32 v1, 0
	v_mov_b32_e32 v2, 0
	s_cbranch_vccnz .LBB544_47
; %bb.44:
	v_dual_mov_b32 v3, s18 :: v_dual_mov_b32 v4, s19
	s_mov_b32 s0, 0
	.p2align	6
.LBB544_45:                             ; =>This Inner Loop Header: Depth=1
	s_delay_alu instid0(VALU_DEP_1) | instskip(NEXT) | instid1(VALU_DEP_2)
	v_sub_co_u32 v15, vcc_lo, v3, v1
	v_sub_co_ci_u32_e32 v16, vcc_lo, v4, v2, vcc_lo
	s_delay_alu instid0(VALU_DEP_1) | instskip(SKIP_2) | instid1(VALU_DEP_2)
	v_lshrrev_b64 v[17:18], 1, v[15:16]
	v_lshrrev_b64 v[15:16], 6, v[15:16]
	s_waitcnt vmcnt(1) lgkmcnt(1)
	v_add_co_u32 v7, vcc_lo, v17, v1
	s_delay_alu instid0(VALU_DEP_3) | instskip(NEXT) | instid1(VALU_DEP_2)
	v_add_co_ci_u32_e32 v9, vcc_lo, v18, v2, vcc_lo
	v_add_co_u32 v15, vcc_lo, v7, v15
	s_delay_alu instid0(VALU_DEP_2) | instskip(NEXT) | instid1(VALU_DEP_1)
	v_add_co_ci_u32_e32 v16, vcc_lo, v9, v16, vcc_lo
	v_lshlrev_b64 v[17:18], 1, v[15:16]
	s_delay_alu instid0(VALU_DEP_1) | instskip(NEXT) | instid1(VALU_DEP_2)
	v_add_co_u32 v17, vcc_lo, s16, v17
	v_add_co_ci_u32_e32 v18, vcc_lo, s17, v18, vcc_lo
	v_add_co_u32 v9, vcc_lo, v15, 1
	global_load_u16 v7, v[17:18], off
	v_add_co_ci_u32_e32 v17, vcc_lo, 0, v16, vcc_lo
	s_waitcnt vmcnt(0) lgkmcnt(0)
	v_cmp_lt_i16_e32 vcc_lo, v7, v5
	v_dual_cndmask_b32 v4, v16, v4 :: v_dual_cndmask_b32 v3, v15, v3
	s_delay_alu instid0(VALU_DEP_3) | instskip(SKIP_1) | instid1(VALU_DEP_1)
	v_cndmask_b32_e32 v2, v2, v17, vcc_lo
	v_cndmask_b32_e32 v1, v1, v9, vcc_lo
	v_cmp_ge_u64_e32 vcc_lo, v[1:2], v[3:4]
	s_or_b32 s0, vcc_lo, s0
	s_delay_alu instid0(SALU_CYCLE_1)
	s_and_not1_b32 exec_lo, exec_lo, s0
	s_cbranch_execnz .LBB544_45
; %bb.46:
	s_or_b32 exec_lo, exec_lo, s0
.LBB544_47:
	v_mov_b32_e32 v3, 0
	s_mov_b32 s0, exec_lo
	s_delay_alu instid0(VALU_DEP_2)
	v_cmpx_ne_u64_e64 s[18:19], v[1:2]
	s_cbranch_execz .LBB544_49
; %bb.48:
	v_lshlrev_b64 v[1:2], 1, v[1:2]
	s_delay_alu instid0(VALU_DEP_1) | instskip(NEXT) | instid1(VALU_DEP_2)
	v_add_co_u32 v1, vcc_lo, s16, v1
	v_add_co_ci_u32_e32 v2, vcc_lo, s17, v2, vcc_lo
	global_load_u16 v1, v[1:2], off
	s_waitcnt vmcnt(0) lgkmcnt(0)
	v_cmp_le_i16_e32 vcc_lo, v1, v5
	v_cndmask_b32_e64 v3, 0, 1, vcc_lo
.LBB544_49:
	s_or_b32 exec_lo, exec_lo, s0
	v_lshlrev_b32_e32 v1, 2, v0
	s_lshl_b64 s[0:1], s[10:11], 2
	s_mov_b32 s12, -1
	s_add_u32 s0, s7, s0
	s_addc_u32 s1, s9, s1
	v_add_co_u32 v1, s0, s0, v1
	s_delay_alu instid0(VALU_DEP_1)
	v_add_co_ci_u32_e64 v2, null, s1, 0, s0
	s_clause 0x6
	flat_store_b32 v[1:2], v6
	flat_store_b32 v[1:2], v8 offset:256
	flat_store_b32 v[1:2], v11 offset:512
	;; [unrolled: 1-line block ×6, first 2 shown]
	s_branch .LBB544_140
.LBB544_50:
	s_mov_b32 s12, s11
                                        ; implicit-def: $vgpr3
                                        ; implicit-def: $vgpr1_vgpr2
	s_and_b32 vcc_lo, exec_lo, s0
	s_cbranch_vccz .LBB544_140
; %bb.51:
	s_sub_i32 s8, s8, s10
                                        ; implicit-def: $vgpr1_vgpr2_vgpr3_vgpr4
	s_delay_alu instid0(SALU_CYCLE_1) | instskip(NEXT) | instid1(VALU_DEP_1)
	v_cmp_gt_u32_e64 s0, s8, v0
	s_and_saveexec_b32 s1, s0
	s_cbranch_execz .LBB544_53
; %bb.52:
	v_lshlrev_b32_e32 v1, 1, v0
	s_delay_alu instid0(VALU_DEP_1) | instskip(NEXT) | instid1(VALU_DEP_1)
	v_add_co_u32 v1, s2, s13, v1
	v_add_co_ci_u32_e64 v2, null, s14, 0, s2
	flat_load_d16_b16 v1, v[1:2]
.LBB544_53:
	s_or_b32 exec_lo, exec_lo, s1
	s_waitcnt vmcnt(0) lgkmcnt(7)
	v_or_b32_e32 v5, 64, v0
	s_delay_alu instid0(VALU_DEP_1) | instskip(NEXT) | instid1(VALU_DEP_1)
	v_cmp_gt_u32_e64 s1, s8, v5
	s_and_saveexec_b32 s2, s1
	s_cbranch_execz .LBB544_55
; %bb.54:
	v_lshlrev_b32_e32 v5, 1, v0
	s_delay_alu instid0(VALU_DEP_1) | instskip(NEXT) | instid1(VALU_DEP_1)
	v_add_co_u32 v5, s3, s13, v5
	v_add_co_ci_u32_e64 v6, null, s14, 0, s3
	s_waitcnt lgkmcnt(0)
	flat_load_d16_hi_b16 v1, v[5:6] offset:128
.LBB544_55:
	s_or_b32 exec_lo, exec_lo, s2
	v_or_b32_e32 v5, 0x80, v0
	s_delay_alu instid0(VALU_DEP_1) | instskip(NEXT) | instid1(VALU_DEP_1)
	v_cmp_gt_u32_e64 s2, s8, v5
	s_and_saveexec_b32 s3, s2
	s_cbranch_execz .LBB544_57
; %bb.56:
	v_lshlrev_b32_e32 v5, 1, v0
	s_delay_alu instid0(VALU_DEP_1) | instskip(NEXT) | instid1(VALU_DEP_1)
	v_add_co_u32 v5, s4, s13, v5
	v_add_co_ci_u32_e64 v6, null, s14, 0, s4
	flat_load_d16_b16 v2, v[5:6] offset:256
.LBB544_57:
	s_or_b32 exec_lo, exec_lo, s3
	v_or_b32_e32 v5, 0xc0, v0
	s_delay_alu instid0(VALU_DEP_1) | instskip(NEXT) | instid1(VALU_DEP_1)
	v_cmp_gt_u32_e64 s3, s8, v5
	s_and_saveexec_b32 s4, s3
	s_cbranch_execz .LBB544_59
; %bb.58:
	v_lshlrev_b32_e32 v5, 1, v0
	s_delay_alu instid0(VALU_DEP_1) | instskip(NEXT) | instid1(VALU_DEP_1)
	v_add_co_u32 v5, s5, s13, v5
	v_add_co_ci_u32_e64 v6, null, s14, 0, s5
	s_waitcnt vmcnt(0) lgkmcnt(0)
	flat_load_d16_hi_b16 v2, v[5:6] offset:384
.LBB544_59:
	s_or_b32 exec_lo, exec_lo, s4
	v_or_b32_e32 v5, 0x100, v0
	s_delay_alu instid0(VALU_DEP_1) | instskip(NEXT) | instid1(VALU_DEP_1)
	v_cmp_gt_u32_e64 s4, s8, v5
	s_and_saveexec_b32 s5, s4
	s_cbranch_execz .LBB544_61
; %bb.60:
	v_lshlrev_b32_e32 v5, 1, v0
	s_delay_alu instid0(VALU_DEP_1) | instskip(NEXT) | instid1(VALU_DEP_1)
	v_add_co_u32 v5, s6, s13, v5
	v_add_co_ci_u32_e64 v6, null, s14, 0, s6
	flat_load_d16_b16 v3, v[5:6] offset:512
.LBB544_61:
	s_or_b32 exec_lo, exec_lo, s5
	v_or_b32_e32 v5, 0x140, v0
	s_delay_alu instid0(VALU_DEP_1) | instskip(NEXT) | instid1(VALU_DEP_1)
	v_cmp_gt_u32_e64 s5, s8, v5
	s_and_saveexec_b32 s6, s5
	s_cbranch_execz .LBB544_63
; %bb.62:
	v_lshlrev_b32_e32 v5, 1, v0
	s_delay_alu instid0(VALU_DEP_1) | instskip(NEXT) | instid1(VALU_DEP_1)
	v_add_co_u32 v5, s12, s13, v5
	v_add_co_ci_u32_e64 v6, null, s14, 0, s12
	s_waitcnt vmcnt(0) lgkmcnt(0)
	flat_load_d16_hi_b16 v3, v[5:6] offset:640
.LBB544_63:
	;; [unrolled: 27-line block ×3, first 2 shown]
	s_or_b32 exec_lo, exec_lo, s8
	s_cmp_lg_u64 s[18:19], 0
                                        ; implicit-def: $vgpr9
	s_cselect_b32 s8, -1, 0
	s_and_saveexec_b32 s13, s0
	s_cbranch_execnz .LBB544_75
; %bb.68:
	s_or_b32 exec_lo, exec_lo, s13
                                        ; implicit-def: $vgpr10
	s_and_saveexec_b32 s13, s1
	s_cbranch_execnz .LBB544_82
.LBB544_69:
	s_or_b32 exec_lo, exec_lo, s13
                                        ; implicit-def: $vgpr7
	s_and_saveexec_b32 s13, s2
	s_cbranch_execnz .LBB544_89
.LBB544_70:
	s_or_b32 exec_lo, exec_lo, s13
                                        ; implicit-def: $vgpr8
	s_and_saveexec_b32 s13, s3
	s_cbranch_execnz .LBB544_96
.LBB544_71:
	s_or_b32 exec_lo, exec_lo, s13
                                        ; implicit-def: $vgpr11
	s_and_saveexec_b32 s13, s4
	s_cbranch_execnz .LBB544_103
.LBB544_72:
	s_or_b32 exec_lo, exec_lo, s13
                                        ; implicit-def: $vgpr12
	s_and_saveexec_b32 s13, s5
	s_cbranch_execnz .LBB544_110
.LBB544_73:
	s_or_b32 exec_lo, exec_lo, s13
                                        ; implicit-def: $vgpr5
	s_and_saveexec_b32 s13, s6
	s_cbranch_execnz .LBB544_117
.LBB544_74:
	s_or_b32 exec_lo, exec_lo, s13
                                        ; implicit-def: $vgpr3
	s_and_saveexec_b32 s13, s12
	s_cbranch_execnz .LBB544_124
	s_branch .LBB544_131
.LBB544_75:
	v_mov_b32_e32 v5, 0
	v_mov_b32_e32 v6, 0
	s_and_not1_b32 vcc_lo, exec_lo, s8
	s_cbranch_vccnz .LBB544_79
; %bb.76:
	v_dual_mov_b32 v7, s18 :: v_dual_mov_b32 v8, s19
	s_mov_b32 s14, 0
	.p2align	6
.LBB544_77:                             ; =>This Inner Loop Header: Depth=1
	s_delay_alu instid0(VALU_DEP_1) | instskip(NEXT) | instid1(VALU_DEP_2)
	v_sub_co_u32 v9, vcc_lo, v7, v5
	v_sub_co_ci_u32_e32 v10, vcc_lo, v8, v6, vcc_lo
	s_delay_alu instid0(VALU_DEP_1) | instskip(SKIP_1) | instid1(VALU_DEP_2)
	v_lshrrev_b64 v[11:12], 1, v[9:10]
	v_lshrrev_b64 v[9:10], 6, v[9:10]
	v_add_co_u32 v11, vcc_lo, v11, v5
	s_delay_alu instid0(VALU_DEP_3) | instskip(NEXT) | instid1(VALU_DEP_2)
	v_add_co_ci_u32_e32 v12, vcc_lo, v12, v6, vcc_lo
	v_add_co_u32 v9, vcc_lo, v11, v9
	s_delay_alu instid0(VALU_DEP_2) | instskip(NEXT) | instid1(VALU_DEP_1)
	v_add_co_ci_u32_e32 v10, vcc_lo, v12, v10, vcc_lo
	v_lshlrev_b64 v[11:12], 1, v[9:10]
	s_delay_alu instid0(VALU_DEP_1) | instskip(NEXT) | instid1(VALU_DEP_2)
	v_add_co_u32 v11, vcc_lo, s16, v11
	v_add_co_ci_u32_e32 v12, vcc_lo, s17, v12, vcc_lo
	global_load_u16 v11, v[11:12], off
	v_add_co_u32 v12, vcc_lo, v9, 1
	v_add_co_ci_u32_e32 v13, vcc_lo, 0, v10, vcc_lo
	s_waitcnt vmcnt(0) lgkmcnt(0)
	v_cmp_lt_i16_e32 vcc_lo, v11, v1
	v_dual_cndmask_b32 v8, v10, v8 :: v_dual_cndmask_b32 v7, v9, v7
	s_delay_alu instid0(VALU_DEP_3) | instskip(NEXT) | instid1(VALU_DEP_1)
	v_dual_cndmask_b32 v6, v6, v13 :: v_dual_cndmask_b32 v5, v5, v12
	v_cmp_ge_u64_e32 vcc_lo, v[5:6], v[7:8]
	s_or_b32 s14, vcc_lo, s14
	s_delay_alu instid0(SALU_CYCLE_1)
	s_and_not1_b32 exec_lo, exec_lo, s14
	s_cbranch_execnz .LBB544_77
; %bb.78:
	s_or_b32 exec_lo, exec_lo, s14
.LBB544_79:
	s_mov_b32 s15, 0
	s_mov_b32 s14, exec_lo
	v_cmpx_ne_u64_e64 s[18:19], v[5:6]
	s_cbranch_execz .LBB544_81
; %bb.80:
	v_lshlrev_b64 v[5:6], 1, v[5:6]
	s_delay_alu instid0(VALU_DEP_1) | instskip(NEXT) | instid1(VALU_DEP_2)
	v_add_co_u32 v5, vcc_lo, s16, v5
	v_add_co_ci_u32_e32 v6, vcc_lo, s17, v6, vcc_lo
	global_load_u16 v5, v[5:6], off
	s_waitcnt vmcnt(0) lgkmcnt(0)
	v_cmp_le_i16_e32 vcc_lo, v5, v1
	s_and_b32 s15, vcc_lo, exec_lo
.LBB544_81:
	s_or_b32 exec_lo, exec_lo, s14
	v_cndmask_b32_e64 v9, 0, 1, s15
	s_or_b32 exec_lo, exec_lo, s13
                                        ; implicit-def: $vgpr10
	s_and_saveexec_b32 s13, s1
	s_cbranch_execz .LBB544_69
.LBB544_82:
	v_mov_b32_e32 v5, 0
	s_waitcnt vmcnt(0) lgkmcnt(0)
	v_lshrrev_b32_e32 v1, 16, v1
	v_mov_b32_e32 v6, 0
	s_and_not1_b32 vcc_lo, exec_lo, s8
	s_cbranch_vccnz .LBB544_86
; %bb.83:
	v_dual_mov_b32 v7, s18 :: v_dual_mov_b32 v8, s19
	s_mov_b32 s14, 0
	.p2align	6
.LBB544_84:                             ; =>This Inner Loop Header: Depth=1
	s_delay_alu instid0(VALU_DEP_1) | instskip(NEXT) | instid1(VALU_DEP_2)
	v_sub_co_u32 v10, vcc_lo, v7, v5
	v_sub_co_ci_u32_e32 v11, vcc_lo, v8, v6, vcc_lo
	s_delay_alu instid0(VALU_DEP_1) | instskip(SKIP_1) | instid1(VALU_DEP_2)
	v_lshrrev_b64 v[12:13], 1, v[10:11]
	v_lshrrev_b64 v[10:11], 6, v[10:11]
	v_add_co_u32 v12, vcc_lo, v12, v5
	s_delay_alu instid0(VALU_DEP_3) | instskip(NEXT) | instid1(VALU_DEP_2)
	v_add_co_ci_u32_e32 v13, vcc_lo, v13, v6, vcc_lo
	v_add_co_u32 v10, vcc_lo, v12, v10
	s_delay_alu instid0(VALU_DEP_2) | instskip(NEXT) | instid1(VALU_DEP_1)
	v_add_co_ci_u32_e32 v11, vcc_lo, v13, v11, vcc_lo
	v_lshlrev_b64 v[12:13], 1, v[10:11]
	s_delay_alu instid0(VALU_DEP_1) | instskip(NEXT) | instid1(VALU_DEP_2)
	v_add_co_u32 v12, vcc_lo, s16, v12
	v_add_co_ci_u32_e32 v13, vcc_lo, s17, v13, vcc_lo
	global_load_u16 v12, v[12:13], off
	v_add_co_u32 v13, vcc_lo, v10, 1
	v_add_co_ci_u32_e32 v14, vcc_lo, 0, v11, vcc_lo
	s_waitcnt vmcnt(0)
	v_cmp_lt_i16_e32 vcc_lo, v12, v1
	v_dual_cndmask_b32 v8, v11, v8 :: v_dual_cndmask_b32 v7, v10, v7
	s_delay_alu instid0(VALU_DEP_3) | instskip(NEXT) | instid1(VALU_DEP_1)
	v_dual_cndmask_b32 v6, v6, v14 :: v_dual_cndmask_b32 v5, v5, v13
	v_cmp_ge_u64_e32 vcc_lo, v[5:6], v[7:8]
	s_or_b32 s14, vcc_lo, s14
	s_delay_alu instid0(SALU_CYCLE_1)
	s_and_not1_b32 exec_lo, exec_lo, s14
	s_cbranch_execnz .LBB544_84
; %bb.85:
	s_or_b32 exec_lo, exec_lo, s14
.LBB544_86:
	s_mov_b32 s15, 0
	s_mov_b32 s14, exec_lo
	v_cmpx_ne_u64_e64 s[18:19], v[5:6]
	s_cbranch_execz .LBB544_88
; %bb.87:
	v_lshlrev_b64 v[5:6], 1, v[5:6]
	s_delay_alu instid0(VALU_DEP_1) | instskip(NEXT) | instid1(VALU_DEP_2)
	v_add_co_u32 v5, vcc_lo, s16, v5
	v_add_co_ci_u32_e32 v6, vcc_lo, s17, v6, vcc_lo
	global_load_u16 v5, v[5:6], off
	s_waitcnt vmcnt(0)
	v_cmp_le_i16_e32 vcc_lo, v5, v1
	s_and_b32 s15, vcc_lo, exec_lo
.LBB544_88:
	s_or_b32 exec_lo, exec_lo, s14
	v_cndmask_b32_e64 v10, 0, 1, s15
	s_or_b32 exec_lo, exec_lo, s13
                                        ; implicit-def: $vgpr7
	s_and_saveexec_b32 s13, s2
	s_cbranch_execz .LBB544_70
.LBB544_89:
	v_mov_b32_e32 v5, 0
	v_mov_b32_e32 v6, 0
	s_and_not1_b32 vcc_lo, exec_lo, s8
	s_cbranch_vccnz .LBB544_93
; %bb.90:
	v_dual_mov_b32 v7, s18 :: v_dual_mov_b32 v8, s19
	s_mov_b32 s14, 0
	.p2align	6
.LBB544_91:                             ; =>This Inner Loop Header: Depth=1
	s_delay_alu instid0(VALU_DEP_1) | instskip(NEXT) | instid1(VALU_DEP_2)
	v_sub_co_u32 v11, vcc_lo, v7, v5
	v_sub_co_ci_u32_e32 v12, vcc_lo, v8, v6, vcc_lo
	s_delay_alu instid0(VALU_DEP_1) | instskip(SKIP_2) | instid1(VALU_DEP_2)
	v_lshrrev_b64 v[13:14], 1, v[11:12]
	v_lshrrev_b64 v[11:12], 6, v[11:12]
	s_waitcnt vmcnt(0) lgkmcnt(0)
	v_add_co_u32 v1, vcc_lo, v13, v5
	s_delay_alu instid0(VALU_DEP_3) | instskip(NEXT) | instid1(VALU_DEP_2)
	v_add_co_ci_u32_e32 v13, vcc_lo, v14, v6, vcc_lo
	v_add_co_u32 v11, vcc_lo, v1, v11
	s_delay_alu instid0(VALU_DEP_2) | instskip(NEXT) | instid1(VALU_DEP_1)
	v_add_co_ci_u32_e32 v12, vcc_lo, v13, v12, vcc_lo
	v_lshlrev_b64 v[13:14], 1, v[11:12]
	s_delay_alu instid0(VALU_DEP_1) | instskip(NEXT) | instid1(VALU_DEP_2)
	v_add_co_u32 v13, vcc_lo, s16, v13
	v_add_co_ci_u32_e32 v14, vcc_lo, s17, v14, vcc_lo
	global_load_u16 v1, v[13:14], off
	v_add_co_u32 v13, vcc_lo, v11, 1
	v_add_co_ci_u32_e32 v14, vcc_lo, 0, v12, vcc_lo
	s_waitcnt vmcnt(0)
	v_cmp_lt_i16_e32 vcc_lo, v1, v2
	v_dual_cndmask_b32 v8, v12, v8 :: v_dual_cndmask_b32 v7, v11, v7
	s_delay_alu instid0(VALU_DEP_3) | instskip(NEXT) | instid1(VALU_DEP_1)
	v_dual_cndmask_b32 v6, v6, v14 :: v_dual_cndmask_b32 v5, v5, v13
	v_cmp_ge_u64_e32 vcc_lo, v[5:6], v[7:8]
	s_or_b32 s14, vcc_lo, s14
	s_delay_alu instid0(SALU_CYCLE_1)
	s_and_not1_b32 exec_lo, exec_lo, s14
	s_cbranch_execnz .LBB544_91
; %bb.92:
	s_or_b32 exec_lo, exec_lo, s14
.LBB544_93:
	s_mov_b32 s15, 0
	s_mov_b32 s14, exec_lo
	v_cmpx_ne_u64_e64 s[18:19], v[5:6]
	s_cbranch_execz .LBB544_95
; %bb.94:
	v_lshlrev_b64 v[5:6], 1, v[5:6]
	s_delay_alu instid0(VALU_DEP_1) | instskip(NEXT) | instid1(VALU_DEP_2)
	v_add_co_u32 v5, vcc_lo, s16, v5
	v_add_co_ci_u32_e32 v6, vcc_lo, s17, v6, vcc_lo
	s_waitcnt lgkmcnt(0)
	global_load_u16 v1, v[5:6], off
	s_waitcnt vmcnt(0)
	v_cmp_le_i16_e32 vcc_lo, v1, v2
	s_and_b32 s15, vcc_lo, exec_lo
.LBB544_95:
	s_or_b32 exec_lo, exec_lo, s14
	v_cndmask_b32_e64 v7, 0, 1, s15
	s_or_b32 exec_lo, exec_lo, s13
                                        ; implicit-def: $vgpr8
	s_and_saveexec_b32 s13, s3
	s_cbranch_execz .LBB544_71
.LBB544_96:
	s_waitcnt vmcnt(0) lgkmcnt(0)
	v_lshrrev_b32_e32 v8, 16, v2
	v_mov_b32_e32 v1, 0
	v_mov_b32_e32 v2, 0
	s_and_not1_b32 vcc_lo, exec_lo, s8
	s_cbranch_vccnz .LBB544_100
; %bb.97:
	v_dual_mov_b32 v5, s18 :: v_dual_mov_b32 v6, s19
	s_mov_b32 s14, 0
	.p2align	6
.LBB544_98:                             ; =>This Inner Loop Header: Depth=1
	s_delay_alu instid0(VALU_DEP_1) | instskip(NEXT) | instid1(VALU_DEP_2)
	v_sub_co_u32 v11, vcc_lo, v5, v1
	v_sub_co_ci_u32_e32 v12, vcc_lo, v6, v2, vcc_lo
	s_delay_alu instid0(VALU_DEP_1) | instskip(SKIP_1) | instid1(VALU_DEP_2)
	v_lshrrev_b64 v[13:14], 1, v[11:12]
	v_lshrrev_b64 v[11:12], 6, v[11:12]
	v_add_co_u32 v13, vcc_lo, v13, v1
	s_delay_alu instid0(VALU_DEP_3) | instskip(NEXT) | instid1(VALU_DEP_2)
	v_add_co_ci_u32_e32 v14, vcc_lo, v14, v2, vcc_lo
	v_add_co_u32 v11, vcc_lo, v13, v11
	s_delay_alu instid0(VALU_DEP_2) | instskip(NEXT) | instid1(VALU_DEP_1)
	v_add_co_ci_u32_e32 v12, vcc_lo, v14, v12, vcc_lo
	v_lshlrev_b64 v[13:14], 1, v[11:12]
	s_delay_alu instid0(VALU_DEP_1) | instskip(NEXT) | instid1(VALU_DEP_2)
	v_add_co_u32 v13, vcc_lo, s16, v13
	v_add_co_ci_u32_e32 v14, vcc_lo, s17, v14, vcc_lo
	global_load_u16 v13, v[13:14], off
	v_add_co_u32 v14, vcc_lo, v11, 1
	v_add_co_ci_u32_e32 v15, vcc_lo, 0, v12, vcc_lo
	s_waitcnt vmcnt(0)
	v_cmp_lt_i16_e32 vcc_lo, v13, v8
	v_dual_cndmask_b32 v6, v12, v6 :: v_dual_cndmask_b32 v5, v11, v5
	s_delay_alu instid0(VALU_DEP_3) | instskip(NEXT) | instid1(VALU_DEP_1)
	v_dual_cndmask_b32 v2, v2, v15 :: v_dual_cndmask_b32 v1, v1, v14
	v_cmp_ge_u64_e32 vcc_lo, v[1:2], v[5:6]
	s_or_b32 s14, vcc_lo, s14
	s_delay_alu instid0(SALU_CYCLE_1)
	s_and_not1_b32 exec_lo, exec_lo, s14
	s_cbranch_execnz .LBB544_98
; %bb.99:
	s_or_b32 exec_lo, exec_lo, s14
.LBB544_100:
	s_mov_b32 s15, 0
	s_mov_b32 s14, exec_lo
	v_cmpx_ne_u64_e64 s[18:19], v[1:2]
	s_cbranch_execz .LBB544_102
; %bb.101:
	v_lshlrev_b64 v[1:2], 1, v[1:2]
	s_delay_alu instid0(VALU_DEP_1) | instskip(NEXT) | instid1(VALU_DEP_2)
	v_add_co_u32 v1, vcc_lo, s16, v1
	v_add_co_ci_u32_e32 v2, vcc_lo, s17, v2, vcc_lo
	global_load_u16 v1, v[1:2], off
	s_waitcnt vmcnt(0)
	v_cmp_le_i16_e32 vcc_lo, v1, v8
	s_and_b32 s15, vcc_lo, exec_lo
.LBB544_102:
	s_or_b32 exec_lo, exec_lo, s14
	v_cndmask_b32_e64 v8, 0, 1, s15
	s_or_b32 exec_lo, exec_lo, s13
                                        ; implicit-def: $vgpr11
	s_and_saveexec_b32 s13, s4
	s_cbranch_execz .LBB544_72
.LBB544_103:
	s_waitcnt vmcnt(0) lgkmcnt(0)
	v_mov_b32_e32 v1, 0
	v_mov_b32_e32 v2, 0
	s_and_not1_b32 vcc_lo, exec_lo, s8
	s_cbranch_vccnz .LBB544_107
; %bb.104:
	v_dual_mov_b32 v5, s18 :: v_dual_mov_b32 v6, s19
	s_mov_b32 s14, 0
	.p2align	6
.LBB544_105:                            ; =>This Inner Loop Header: Depth=1
	s_delay_alu instid0(VALU_DEP_1) | instskip(NEXT) | instid1(VALU_DEP_2)
	v_sub_co_u32 v11, vcc_lo, v5, v1
	v_sub_co_ci_u32_e32 v12, vcc_lo, v6, v2, vcc_lo
	s_delay_alu instid0(VALU_DEP_1) | instskip(SKIP_1) | instid1(VALU_DEP_2)
	v_lshrrev_b64 v[13:14], 1, v[11:12]
	v_lshrrev_b64 v[11:12], 6, v[11:12]
	v_add_co_u32 v13, vcc_lo, v13, v1
	s_delay_alu instid0(VALU_DEP_3) | instskip(NEXT) | instid1(VALU_DEP_2)
	v_add_co_ci_u32_e32 v14, vcc_lo, v14, v2, vcc_lo
	v_add_co_u32 v11, vcc_lo, v13, v11
	s_delay_alu instid0(VALU_DEP_2) | instskip(NEXT) | instid1(VALU_DEP_1)
	v_add_co_ci_u32_e32 v12, vcc_lo, v14, v12, vcc_lo
	v_lshlrev_b64 v[13:14], 1, v[11:12]
	s_delay_alu instid0(VALU_DEP_1) | instskip(NEXT) | instid1(VALU_DEP_2)
	v_add_co_u32 v13, vcc_lo, s16, v13
	v_add_co_ci_u32_e32 v14, vcc_lo, s17, v14, vcc_lo
	global_load_u16 v13, v[13:14], off
	v_add_co_u32 v14, vcc_lo, v11, 1
	v_add_co_ci_u32_e32 v15, vcc_lo, 0, v12, vcc_lo
	s_waitcnt vmcnt(0)
	v_cmp_lt_i16_e32 vcc_lo, v13, v3
	v_dual_cndmask_b32 v6, v12, v6 :: v_dual_cndmask_b32 v5, v11, v5
	s_delay_alu instid0(VALU_DEP_3) | instskip(NEXT) | instid1(VALU_DEP_1)
	v_dual_cndmask_b32 v2, v2, v15 :: v_dual_cndmask_b32 v1, v1, v14
	v_cmp_ge_u64_e32 vcc_lo, v[1:2], v[5:6]
	s_or_b32 s14, vcc_lo, s14
	s_delay_alu instid0(SALU_CYCLE_1)
	s_and_not1_b32 exec_lo, exec_lo, s14
	s_cbranch_execnz .LBB544_105
; %bb.106:
	s_or_b32 exec_lo, exec_lo, s14
.LBB544_107:
	s_mov_b32 s15, 0
	s_mov_b32 s14, exec_lo
	v_cmpx_ne_u64_e64 s[18:19], v[1:2]
	s_cbranch_execz .LBB544_109
; %bb.108:
	v_lshlrev_b64 v[1:2], 1, v[1:2]
	s_delay_alu instid0(VALU_DEP_1) | instskip(NEXT) | instid1(VALU_DEP_2)
	v_add_co_u32 v1, vcc_lo, s16, v1
	v_add_co_ci_u32_e32 v2, vcc_lo, s17, v2, vcc_lo
	global_load_u16 v1, v[1:2], off
	s_waitcnt vmcnt(0)
	v_cmp_le_i16_e32 vcc_lo, v1, v3
	s_and_b32 s15, vcc_lo, exec_lo
.LBB544_109:
	s_or_b32 exec_lo, exec_lo, s14
	v_cndmask_b32_e64 v11, 0, 1, s15
	s_or_b32 exec_lo, exec_lo, s13
                                        ; implicit-def: $vgpr12
	s_and_saveexec_b32 s13, s5
	s_cbranch_execz .LBB544_73
.LBB544_110:
	s_waitcnt vmcnt(0) lgkmcnt(0)
	v_mov_b32_e32 v1, 0
	v_lshrrev_b32_e32 v3, 16, v3
	v_mov_b32_e32 v2, 0
	s_and_not1_b32 vcc_lo, exec_lo, s8
	s_cbranch_vccnz .LBB544_114
; %bb.111:
	v_dual_mov_b32 v5, s18 :: v_dual_mov_b32 v6, s19
	s_mov_b32 s14, 0
	.p2align	6
.LBB544_112:                            ; =>This Inner Loop Header: Depth=1
	s_delay_alu instid0(VALU_DEP_1) | instskip(NEXT) | instid1(VALU_DEP_2)
	v_sub_co_u32 v12, vcc_lo, v5, v1
	v_sub_co_ci_u32_e32 v13, vcc_lo, v6, v2, vcc_lo
	s_delay_alu instid0(VALU_DEP_1) | instskip(SKIP_1) | instid1(VALU_DEP_2)
	v_lshrrev_b64 v[14:15], 1, v[12:13]
	v_lshrrev_b64 v[12:13], 6, v[12:13]
	v_add_co_u32 v14, vcc_lo, v14, v1
	s_delay_alu instid0(VALU_DEP_3) | instskip(NEXT) | instid1(VALU_DEP_2)
	v_add_co_ci_u32_e32 v15, vcc_lo, v15, v2, vcc_lo
	v_add_co_u32 v12, vcc_lo, v14, v12
	s_delay_alu instid0(VALU_DEP_2) | instskip(NEXT) | instid1(VALU_DEP_1)
	v_add_co_ci_u32_e32 v13, vcc_lo, v15, v13, vcc_lo
	v_lshlrev_b64 v[14:15], 1, v[12:13]
	s_delay_alu instid0(VALU_DEP_1) | instskip(NEXT) | instid1(VALU_DEP_2)
	v_add_co_u32 v14, vcc_lo, s16, v14
	v_add_co_ci_u32_e32 v15, vcc_lo, s17, v15, vcc_lo
	global_load_u16 v14, v[14:15], off
	v_add_co_u32 v15, vcc_lo, v12, 1
	v_add_co_ci_u32_e32 v16, vcc_lo, 0, v13, vcc_lo
	s_waitcnt vmcnt(0)
	v_cmp_lt_i16_e32 vcc_lo, v14, v3
	v_dual_cndmask_b32 v6, v13, v6 :: v_dual_cndmask_b32 v5, v12, v5
	s_delay_alu instid0(VALU_DEP_3) | instskip(NEXT) | instid1(VALU_DEP_1)
	v_dual_cndmask_b32 v2, v2, v16 :: v_dual_cndmask_b32 v1, v1, v15
	v_cmp_ge_u64_e32 vcc_lo, v[1:2], v[5:6]
	s_or_b32 s14, vcc_lo, s14
	s_delay_alu instid0(SALU_CYCLE_1)
	s_and_not1_b32 exec_lo, exec_lo, s14
	s_cbranch_execnz .LBB544_112
; %bb.113:
	s_or_b32 exec_lo, exec_lo, s14
.LBB544_114:
	v_mov_b32_e32 v12, 0
	s_mov_b32 s14, exec_lo
	v_cmpx_ne_u64_e64 s[18:19], v[1:2]
	s_cbranch_execz .LBB544_116
; %bb.115:
	v_lshlrev_b64 v[1:2], 1, v[1:2]
	s_delay_alu instid0(VALU_DEP_1) | instskip(NEXT) | instid1(VALU_DEP_2)
	v_add_co_u32 v1, vcc_lo, s16, v1
	v_add_co_ci_u32_e32 v2, vcc_lo, s17, v2, vcc_lo
	global_load_u16 v1, v[1:2], off
	s_waitcnt vmcnt(0)
	v_cmp_le_i16_e32 vcc_lo, v1, v3
	v_cndmask_b32_e64 v12, 0, 1, vcc_lo
.LBB544_116:
	s_or_b32 exec_lo, exec_lo, s14
	s_delay_alu instid0(SALU_CYCLE_1)
	s_or_b32 exec_lo, exec_lo, s13
                                        ; implicit-def: $vgpr5
	s_and_saveexec_b32 s13, s6
	s_cbranch_execz .LBB544_74
.LBB544_117:
	s_waitcnt vmcnt(0) lgkmcnt(0)
	v_mov_b32_e32 v1, 0
	v_mov_b32_e32 v2, 0
	s_and_not1_b32 vcc_lo, exec_lo, s8
	s_cbranch_vccnz .LBB544_121
; %bb.118:
	v_dual_mov_b32 v5, s18 :: v_dual_mov_b32 v6, s19
	s_mov_b32 s14, 0
	.p2align	6
.LBB544_119:                            ; =>This Inner Loop Header: Depth=1
	s_delay_alu instid0(VALU_DEP_1) | instskip(NEXT) | instid1(VALU_DEP_2)
	v_sub_co_u32 v13, vcc_lo, v5, v1
	v_sub_co_ci_u32_e32 v14, vcc_lo, v6, v2, vcc_lo
	s_delay_alu instid0(VALU_DEP_1) | instskip(SKIP_1) | instid1(VALU_DEP_2)
	v_lshrrev_b64 v[15:16], 1, v[13:14]
	v_lshrrev_b64 v[13:14], 6, v[13:14]
	v_add_co_u32 v3, vcc_lo, v15, v1
	s_delay_alu instid0(VALU_DEP_3) | instskip(NEXT) | instid1(VALU_DEP_2)
	v_add_co_ci_u32_e32 v15, vcc_lo, v16, v2, vcc_lo
	v_add_co_u32 v13, vcc_lo, v3, v13
	s_delay_alu instid0(VALU_DEP_2) | instskip(NEXT) | instid1(VALU_DEP_1)
	v_add_co_ci_u32_e32 v14, vcc_lo, v15, v14, vcc_lo
	v_lshlrev_b64 v[15:16], 1, v[13:14]
	s_delay_alu instid0(VALU_DEP_1) | instskip(NEXT) | instid1(VALU_DEP_2)
	v_add_co_u32 v15, vcc_lo, s16, v15
	v_add_co_ci_u32_e32 v16, vcc_lo, s17, v16, vcc_lo
	global_load_u16 v3, v[15:16], off
	v_add_co_u32 v15, vcc_lo, v13, 1
	v_add_co_ci_u32_e32 v16, vcc_lo, 0, v14, vcc_lo
	s_waitcnt vmcnt(0)
	v_cmp_lt_i16_e32 vcc_lo, v3, v4
	v_dual_cndmask_b32 v6, v14, v6 :: v_dual_cndmask_b32 v5, v13, v5
	s_delay_alu instid0(VALU_DEP_3) | instskip(NEXT) | instid1(VALU_DEP_1)
	v_dual_cndmask_b32 v2, v2, v16 :: v_dual_cndmask_b32 v1, v1, v15
	v_cmp_ge_u64_e32 vcc_lo, v[1:2], v[5:6]
	s_or_b32 s14, vcc_lo, s14
	s_delay_alu instid0(SALU_CYCLE_1)
	s_and_not1_b32 exec_lo, exec_lo, s14
	s_cbranch_execnz .LBB544_119
; %bb.120:
	s_or_b32 exec_lo, exec_lo, s14
.LBB544_121:
	v_mov_b32_e32 v5, 0
	s_mov_b32 s14, exec_lo
	v_cmpx_ne_u64_e64 s[18:19], v[1:2]
	s_cbranch_execz .LBB544_123
; %bb.122:
	v_lshlrev_b64 v[1:2], 1, v[1:2]
	s_delay_alu instid0(VALU_DEP_1) | instskip(NEXT) | instid1(VALU_DEP_2)
	v_add_co_u32 v1, vcc_lo, s16, v1
	v_add_co_ci_u32_e32 v2, vcc_lo, s17, v2, vcc_lo
	global_load_u16 v1, v[1:2], off
	s_waitcnt vmcnt(0)
	v_cmp_le_i16_e32 vcc_lo, v1, v4
	v_cndmask_b32_e64 v5, 0, 1, vcc_lo
.LBB544_123:
	s_or_b32 exec_lo, exec_lo, s14
	s_delay_alu instid0(SALU_CYCLE_1)
	s_or_b32 exec_lo, exec_lo, s13
                                        ; implicit-def: $vgpr3
	s_and_saveexec_b32 s13, s12
	s_cbranch_execz .LBB544_131
.LBB544_124:
	s_waitcnt vmcnt(0) lgkmcnt(0)
	v_mov_b32_e32 v1, 0
	v_lshrrev_b32_e32 v6, 16, v4
	v_mov_b32_e32 v2, 0
	s_and_not1_b32 vcc_lo, exec_lo, s8
	s_cbranch_vccnz .LBB544_128
; %bb.125:
	v_dual_mov_b32 v3, s18 :: v_dual_mov_b32 v4, s19
	s_mov_b32 s8, 0
	.p2align	6
.LBB544_126:                            ; =>This Inner Loop Header: Depth=1
	s_delay_alu instid0(VALU_DEP_1) | instskip(NEXT) | instid1(VALU_DEP_2)
	v_sub_co_u32 v13, vcc_lo, v3, v1
	v_sub_co_ci_u32_e32 v14, vcc_lo, v4, v2, vcc_lo
	s_delay_alu instid0(VALU_DEP_1) | instskip(SKIP_1) | instid1(VALU_DEP_2)
	v_lshrrev_b64 v[15:16], 1, v[13:14]
	v_lshrrev_b64 v[13:14], 6, v[13:14]
	v_add_co_u32 v15, vcc_lo, v15, v1
	s_delay_alu instid0(VALU_DEP_3) | instskip(NEXT) | instid1(VALU_DEP_2)
	v_add_co_ci_u32_e32 v16, vcc_lo, v16, v2, vcc_lo
	v_add_co_u32 v13, vcc_lo, v15, v13
	s_delay_alu instid0(VALU_DEP_2) | instskip(NEXT) | instid1(VALU_DEP_1)
	v_add_co_ci_u32_e32 v14, vcc_lo, v16, v14, vcc_lo
	v_lshlrev_b64 v[15:16], 1, v[13:14]
	s_delay_alu instid0(VALU_DEP_1) | instskip(NEXT) | instid1(VALU_DEP_2)
	v_add_co_u32 v15, vcc_lo, s16, v15
	v_add_co_ci_u32_e32 v16, vcc_lo, s17, v16, vcc_lo
	global_load_u16 v15, v[15:16], off
	v_add_co_u32 v16, vcc_lo, v13, 1
	v_add_co_ci_u32_e32 v17, vcc_lo, 0, v14, vcc_lo
	s_waitcnt vmcnt(0)
	v_cmp_lt_i16_e32 vcc_lo, v15, v6
	v_dual_cndmask_b32 v4, v14, v4 :: v_dual_cndmask_b32 v3, v13, v3
	s_delay_alu instid0(VALU_DEP_3) | instskip(NEXT) | instid1(VALU_DEP_1)
	v_dual_cndmask_b32 v2, v2, v17 :: v_dual_cndmask_b32 v1, v1, v16
	v_cmp_ge_u64_e32 vcc_lo, v[1:2], v[3:4]
	s_or_b32 s8, vcc_lo, s8
	s_delay_alu instid0(SALU_CYCLE_1)
	s_and_not1_b32 exec_lo, exec_lo, s8
	s_cbranch_execnz .LBB544_126
; %bb.127:
	s_or_b32 exec_lo, exec_lo, s8
.LBB544_128:
	v_mov_b32_e32 v3, 0
	s_mov_b32 s8, exec_lo
	v_cmpx_ne_u64_e64 s[18:19], v[1:2]
	s_cbranch_execz .LBB544_130
; %bb.129:
	v_lshlrev_b64 v[1:2], 1, v[1:2]
	s_delay_alu instid0(VALU_DEP_1) | instskip(NEXT) | instid1(VALU_DEP_2)
	v_add_co_u32 v1, vcc_lo, s16, v1
	v_add_co_ci_u32_e32 v2, vcc_lo, s17, v2, vcc_lo
	global_load_u16 v1, v[1:2], off
	s_waitcnt vmcnt(0)
	v_cmp_le_i16_e32 vcc_lo, v1, v6
	v_cndmask_b32_e64 v3, 0, 1, vcc_lo
.LBB544_130:
	s_or_b32 exec_lo, exec_lo, s8
.LBB544_131:
	s_delay_alu instid0(SALU_CYCLE_1) | instskip(SKIP_2) | instid1(SALU_CYCLE_1)
	s_or_b32 exec_lo, exec_lo, s13
	v_lshlrev_b32_e32 v0, 2, v0
	s_lshl_b64 s[10:11], s[10:11], 2
	s_add_u32 s7, s7, s10
	s_addc_u32 s8, s9, s11
	s_waitcnt vmcnt(0) lgkmcnt(0)
	v_add_co_u32 v1, s7, s7, v0
	s_delay_alu instid0(VALU_DEP_1) | instskip(SKIP_1) | instid1(SALU_CYCLE_1)
	v_add_co_ci_u32_e64 v2, null, s8, 0, s7
	s_and_saveexec_b32 s7, s0
	s_xor_b32 s0, exec_lo, s7
	s_cbranch_execnz .LBB544_143
; %bb.132:
	s_or_b32 exec_lo, exec_lo, s0
	s_and_saveexec_b32 s0, s1
	s_cbranch_execnz .LBB544_144
.LBB544_133:
	s_or_b32 exec_lo, exec_lo, s0
	s_and_saveexec_b32 s0, s2
	s_cbranch_execnz .LBB544_145
.LBB544_134:
	s_or_b32 exec_lo, exec_lo, s0
	s_and_saveexec_b32 s0, s3
	s_cbranch_execnz .LBB544_146
.LBB544_135:
	s_or_b32 exec_lo, exec_lo, s0
	s_and_saveexec_b32 s0, s4
	s_cbranch_execnz .LBB544_147
.LBB544_136:
	s_or_b32 exec_lo, exec_lo, s0
	s_and_saveexec_b32 s0, s5
	s_cbranch_execnz .LBB544_148
.LBB544_137:
	s_or_b32 exec_lo, exec_lo, s0
	s_and_saveexec_b32 s0, s6
	s_cbranch_execz .LBB544_139
.LBB544_138:
	flat_store_b32 v[1:2], v5 offset:1536
.LBB544_139:
	s_or_b32 exec_lo, exec_lo, s0
.LBB544_140:
	s_and_saveexec_b32 s0, s12
	s_cbranch_execnz .LBB544_142
; %bb.141:
	s_endpgm
.LBB544_142:
	flat_store_b32 v[1:2], v3 offset:1792
	s_endpgm
.LBB544_143:
	flat_store_b32 v[1:2], v9
	s_or_b32 exec_lo, exec_lo, s0
	s_and_saveexec_b32 s0, s1
	s_cbranch_execz .LBB544_133
.LBB544_144:
	flat_store_b32 v[1:2], v10 offset:256
	s_or_b32 exec_lo, exec_lo, s0
	s_and_saveexec_b32 s0, s2
	s_cbranch_execz .LBB544_134
.LBB544_145:
	flat_store_b32 v[1:2], v7 offset:512
	s_or_b32 exec_lo, exec_lo, s0
	s_and_saveexec_b32 s0, s3
	s_cbranch_execz .LBB544_135
.LBB544_146:
	flat_store_b32 v[1:2], v8 offset:768
	s_or_b32 exec_lo, exec_lo, s0
	s_and_saveexec_b32 s0, s4
	s_cbranch_execz .LBB544_136
.LBB544_147:
	flat_store_b32 v[1:2], v11 offset:1024
	s_or_b32 exec_lo, exec_lo, s0
	s_and_saveexec_b32 s0, s5
	s_cbranch_execz .LBB544_137
.LBB544_148:
	flat_store_b32 v[1:2], v12 offset:1280
	s_or_b32 exec_lo, exec_lo, s0
	s_and_saveexec_b32 s0, s6
	s_cbranch_execnz .LBB544_138
	s_branch .LBB544_139
	.section	.rodata,"a",@progbits
	.p2align	6, 0x0
	.amdhsa_kernel _ZN7rocprim17ROCPRIM_400000_NS6detail17trampoline_kernelINS0_14default_configENS1_29binary_search_config_selectorIsiEEZNS1_14transform_implILb0ES3_S5_N6thrust23THRUST_200600_302600_NS6detail15normal_iteratorINS8_10device_ptrIsEEEENSA_INSB_IiEEEEZNS1_13binary_searchIS3_S5_SD_SD_SF_NS1_16binary_search_opENS9_16wrapped_functionINS0_4lessIvEEbEEEE10hipError_tPvRmT1_T2_T3_mmT4_T5_P12ihipStream_tbEUlRKsE_EESM_SQ_SR_mSS_SV_bEUlT_E_NS1_11comp_targetILNS1_3genE9ELNS1_11target_archE1100ELNS1_3gpuE3ELNS1_3repE0EEENS1_30default_config_static_selectorELNS0_4arch9wavefront6targetE0EEEvSP_
		.amdhsa_group_segment_fixed_size 0
		.amdhsa_private_segment_fixed_size 0
		.amdhsa_kernarg_size 312
		.amdhsa_user_sgpr_count 15
		.amdhsa_user_sgpr_dispatch_ptr 0
		.amdhsa_user_sgpr_queue_ptr 0
		.amdhsa_user_sgpr_kernarg_segment_ptr 1
		.amdhsa_user_sgpr_dispatch_id 0
		.amdhsa_user_sgpr_private_segment_size 0
		.amdhsa_wavefront_size32 1
		.amdhsa_uses_dynamic_stack 0
		.amdhsa_enable_private_segment 0
		.amdhsa_system_sgpr_workgroup_id_x 1
		.amdhsa_system_sgpr_workgroup_id_y 0
		.amdhsa_system_sgpr_workgroup_id_z 0
		.amdhsa_system_sgpr_workgroup_info 0
		.amdhsa_system_vgpr_workitem_id 0
		.amdhsa_next_free_vgpr 19
		.amdhsa_next_free_sgpr 20
		.amdhsa_reserve_vcc 1
		.amdhsa_float_round_mode_32 0
		.amdhsa_float_round_mode_16_64 0
		.amdhsa_float_denorm_mode_32 3
		.amdhsa_float_denorm_mode_16_64 3
		.amdhsa_dx10_clamp 1
		.amdhsa_ieee_mode 1
		.amdhsa_fp16_overflow 0
		.amdhsa_workgroup_processor_mode 1
		.amdhsa_memory_ordered 1
		.amdhsa_forward_progress 0
		.amdhsa_shared_vgpr_count 0
		.amdhsa_exception_fp_ieee_invalid_op 0
		.amdhsa_exception_fp_denorm_src 0
		.amdhsa_exception_fp_ieee_div_zero 0
		.amdhsa_exception_fp_ieee_overflow 0
		.amdhsa_exception_fp_ieee_underflow 0
		.amdhsa_exception_fp_ieee_inexact 0
		.amdhsa_exception_int_div_zero 0
	.end_amdhsa_kernel
	.section	.text._ZN7rocprim17ROCPRIM_400000_NS6detail17trampoline_kernelINS0_14default_configENS1_29binary_search_config_selectorIsiEEZNS1_14transform_implILb0ES3_S5_N6thrust23THRUST_200600_302600_NS6detail15normal_iteratorINS8_10device_ptrIsEEEENSA_INSB_IiEEEEZNS1_13binary_searchIS3_S5_SD_SD_SF_NS1_16binary_search_opENS9_16wrapped_functionINS0_4lessIvEEbEEEE10hipError_tPvRmT1_T2_T3_mmT4_T5_P12ihipStream_tbEUlRKsE_EESM_SQ_SR_mSS_SV_bEUlT_E_NS1_11comp_targetILNS1_3genE9ELNS1_11target_archE1100ELNS1_3gpuE3ELNS1_3repE0EEENS1_30default_config_static_selectorELNS0_4arch9wavefront6targetE0EEEvSP_,"axG",@progbits,_ZN7rocprim17ROCPRIM_400000_NS6detail17trampoline_kernelINS0_14default_configENS1_29binary_search_config_selectorIsiEEZNS1_14transform_implILb0ES3_S5_N6thrust23THRUST_200600_302600_NS6detail15normal_iteratorINS8_10device_ptrIsEEEENSA_INSB_IiEEEEZNS1_13binary_searchIS3_S5_SD_SD_SF_NS1_16binary_search_opENS9_16wrapped_functionINS0_4lessIvEEbEEEE10hipError_tPvRmT1_T2_T3_mmT4_T5_P12ihipStream_tbEUlRKsE_EESM_SQ_SR_mSS_SV_bEUlT_E_NS1_11comp_targetILNS1_3genE9ELNS1_11target_archE1100ELNS1_3gpuE3ELNS1_3repE0EEENS1_30default_config_static_selectorELNS0_4arch9wavefront6targetE0EEEvSP_,comdat
.Lfunc_end544:
	.size	_ZN7rocprim17ROCPRIM_400000_NS6detail17trampoline_kernelINS0_14default_configENS1_29binary_search_config_selectorIsiEEZNS1_14transform_implILb0ES3_S5_N6thrust23THRUST_200600_302600_NS6detail15normal_iteratorINS8_10device_ptrIsEEEENSA_INSB_IiEEEEZNS1_13binary_searchIS3_S5_SD_SD_SF_NS1_16binary_search_opENS9_16wrapped_functionINS0_4lessIvEEbEEEE10hipError_tPvRmT1_T2_T3_mmT4_T5_P12ihipStream_tbEUlRKsE_EESM_SQ_SR_mSS_SV_bEUlT_E_NS1_11comp_targetILNS1_3genE9ELNS1_11target_archE1100ELNS1_3gpuE3ELNS1_3repE0EEENS1_30default_config_static_selectorELNS0_4arch9wavefront6targetE0EEEvSP_, .Lfunc_end544-_ZN7rocprim17ROCPRIM_400000_NS6detail17trampoline_kernelINS0_14default_configENS1_29binary_search_config_selectorIsiEEZNS1_14transform_implILb0ES3_S5_N6thrust23THRUST_200600_302600_NS6detail15normal_iteratorINS8_10device_ptrIsEEEENSA_INSB_IiEEEEZNS1_13binary_searchIS3_S5_SD_SD_SF_NS1_16binary_search_opENS9_16wrapped_functionINS0_4lessIvEEbEEEE10hipError_tPvRmT1_T2_T3_mmT4_T5_P12ihipStream_tbEUlRKsE_EESM_SQ_SR_mSS_SV_bEUlT_E_NS1_11comp_targetILNS1_3genE9ELNS1_11target_archE1100ELNS1_3gpuE3ELNS1_3repE0EEENS1_30default_config_static_selectorELNS0_4arch9wavefront6targetE0EEEvSP_
                                        ; -- End function
	.section	.AMDGPU.csdata,"",@progbits
; Kernel info:
; codeLenInByte = 5696
; NumSgprs: 22
; NumVgprs: 19
; ScratchSize: 0
; MemoryBound: 0
; FloatMode: 240
; IeeeMode: 1
; LDSByteSize: 0 bytes/workgroup (compile time only)
; SGPRBlocks: 2
; VGPRBlocks: 2
; NumSGPRsForWavesPerEU: 22
; NumVGPRsForWavesPerEU: 19
; Occupancy: 16
; WaveLimiterHint : 1
; COMPUTE_PGM_RSRC2:SCRATCH_EN: 0
; COMPUTE_PGM_RSRC2:USER_SGPR: 15
; COMPUTE_PGM_RSRC2:TRAP_HANDLER: 0
; COMPUTE_PGM_RSRC2:TGID_X_EN: 1
; COMPUTE_PGM_RSRC2:TGID_Y_EN: 0
; COMPUTE_PGM_RSRC2:TGID_Z_EN: 0
; COMPUTE_PGM_RSRC2:TIDIG_COMP_CNT: 0
	.section	.text._ZN7rocprim17ROCPRIM_400000_NS6detail17trampoline_kernelINS0_14default_configENS1_29binary_search_config_selectorIsiEEZNS1_14transform_implILb0ES3_S5_N6thrust23THRUST_200600_302600_NS6detail15normal_iteratorINS8_10device_ptrIsEEEENSA_INSB_IiEEEEZNS1_13binary_searchIS3_S5_SD_SD_SF_NS1_16binary_search_opENS9_16wrapped_functionINS0_4lessIvEEbEEEE10hipError_tPvRmT1_T2_T3_mmT4_T5_P12ihipStream_tbEUlRKsE_EESM_SQ_SR_mSS_SV_bEUlT_E_NS1_11comp_targetILNS1_3genE8ELNS1_11target_archE1030ELNS1_3gpuE2ELNS1_3repE0EEENS1_30default_config_static_selectorELNS0_4arch9wavefront6targetE0EEEvSP_,"axG",@progbits,_ZN7rocprim17ROCPRIM_400000_NS6detail17trampoline_kernelINS0_14default_configENS1_29binary_search_config_selectorIsiEEZNS1_14transform_implILb0ES3_S5_N6thrust23THRUST_200600_302600_NS6detail15normal_iteratorINS8_10device_ptrIsEEEENSA_INSB_IiEEEEZNS1_13binary_searchIS3_S5_SD_SD_SF_NS1_16binary_search_opENS9_16wrapped_functionINS0_4lessIvEEbEEEE10hipError_tPvRmT1_T2_T3_mmT4_T5_P12ihipStream_tbEUlRKsE_EESM_SQ_SR_mSS_SV_bEUlT_E_NS1_11comp_targetILNS1_3genE8ELNS1_11target_archE1030ELNS1_3gpuE2ELNS1_3repE0EEENS1_30default_config_static_selectorELNS0_4arch9wavefront6targetE0EEEvSP_,comdat
	.protected	_ZN7rocprim17ROCPRIM_400000_NS6detail17trampoline_kernelINS0_14default_configENS1_29binary_search_config_selectorIsiEEZNS1_14transform_implILb0ES3_S5_N6thrust23THRUST_200600_302600_NS6detail15normal_iteratorINS8_10device_ptrIsEEEENSA_INSB_IiEEEEZNS1_13binary_searchIS3_S5_SD_SD_SF_NS1_16binary_search_opENS9_16wrapped_functionINS0_4lessIvEEbEEEE10hipError_tPvRmT1_T2_T3_mmT4_T5_P12ihipStream_tbEUlRKsE_EESM_SQ_SR_mSS_SV_bEUlT_E_NS1_11comp_targetILNS1_3genE8ELNS1_11target_archE1030ELNS1_3gpuE2ELNS1_3repE0EEENS1_30default_config_static_selectorELNS0_4arch9wavefront6targetE0EEEvSP_ ; -- Begin function _ZN7rocprim17ROCPRIM_400000_NS6detail17trampoline_kernelINS0_14default_configENS1_29binary_search_config_selectorIsiEEZNS1_14transform_implILb0ES3_S5_N6thrust23THRUST_200600_302600_NS6detail15normal_iteratorINS8_10device_ptrIsEEEENSA_INSB_IiEEEEZNS1_13binary_searchIS3_S5_SD_SD_SF_NS1_16binary_search_opENS9_16wrapped_functionINS0_4lessIvEEbEEEE10hipError_tPvRmT1_T2_T3_mmT4_T5_P12ihipStream_tbEUlRKsE_EESM_SQ_SR_mSS_SV_bEUlT_E_NS1_11comp_targetILNS1_3genE8ELNS1_11target_archE1030ELNS1_3gpuE2ELNS1_3repE0EEENS1_30default_config_static_selectorELNS0_4arch9wavefront6targetE0EEEvSP_
	.globl	_ZN7rocprim17ROCPRIM_400000_NS6detail17trampoline_kernelINS0_14default_configENS1_29binary_search_config_selectorIsiEEZNS1_14transform_implILb0ES3_S5_N6thrust23THRUST_200600_302600_NS6detail15normal_iteratorINS8_10device_ptrIsEEEENSA_INSB_IiEEEEZNS1_13binary_searchIS3_S5_SD_SD_SF_NS1_16binary_search_opENS9_16wrapped_functionINS0_4lessIvEEbEEEE10hipError_tPvRmT1_T2_T3_mmT4_T5_P12ihipStream_tbEUlRKsE_EESM_SQ_SR_mSS_SV_bEUlT_E_NS1_11comp_targetILNS1_3genE8ELNS1_11target_archE1030ELNS1_3gpuE2ELNS1_3repE0EEENS1_30default_config_static_selectorELNS0_4arch9wavefront6targetE0EEEvSP_
	.p2align	8
	.type	_ZN7rocprim17ROCPRIM_400000_NS6detail17trampoline_kernelINS0_14default_configENS1_29binary_search_config_selectorIsiEEZNS1_14transform_implILb0ES3_S5_N6thrust23THRUST_200600_302600_NS6detail15normal_iteratorINS8_10device_ptrIsEEEENSA_INSB_IiEEEEZNS1_13binary_searchIS3_S5_SD_SD_SF_NS1_16binary_search_opENS9_16wrapped_functionINS0_4lessIvEEbEEEE10hipError_tPvRmT1_T2_T3_mmT4_T5_P12ihipStream_tbEUlRKsE_EESM_SQ_SR_mSS_SV_bEUlT_E_NS1_11comp_targetILNS1_3genE8ELNS1_11target_archE1030ELNS1_3gpuE2ELNS1_3repE0EEENS1_30default_config_static_selectorELNS0_4arch9wavefront6targetE0EEEvSP_,@function
_ZN7rocprim17ROCPRIM_400000_NS6detail17trampoline_kernelINS0_14default_configENS1_29binary_search_config_selectorIsiEEZNS1_14transform_implILb0ES3_S5_N6thrust23THRUST_200600_302600_NS6detail15normal_iteratorINS8_10device_ptrIsEEEENSA_INSB_IiEEEEZNS1_13binary_searchIS3_S5_SD_SD_SF_NS1_16binary_search_opENS9_16wrapped_functionINS0_4lessIvEEbEEEE10hipError_tPvRmT1_T2_T3_mmT4_T5_P12ihipStream_tbEUlRKsE_EESM_SQ_SR_mSS_SV_bEUlT_E_NS1_11comp_targetILNS1_3genE8ELNS1_11target_archE1030ELNS1_3gpuE2ELNS1_3repE0EEENS1_30default_config_static_selectorELNS0_4arch9wavefront6targetE0EEEvSP_: ; @_ZN7rocprim17ROCPRIM_400000_NS6detail17trampoline_kernelINS0_14default_configENS1_29binary_search_config_selectorIsiEEZNS1_14transform_implILb0ES3_S5_N6thrust23THRUST_200600_302600_NS6detail15normal_iteratorINS8_10device_ptrIsEEEENSA_INSB_IiEEEEZNS1_13binary_searchIS3_S5_SD_SD_SF_NS1_16binary_search_opENS9_16wrapped_functionINS0_4lessIvEEbEEEE10hipError_tPvRmT1_T2_T3_mmT4_T5_P12ihipStream_tbEUlRKsE_EESM_SQ_SR_mSS_SV_bEUlT_E_NS1_11comp_targetILNS1_3genE8ELNS1_11target_archE1030ELNS1_3gpuE2ELNS1_3repE0EEENS1_30default_config_static_selectorELNS0_4arch9wavefront6targetE0EEEvSP_
; %bb.0:
	.section	.rodata,"a",@progbits
	.p2align	6, 0x0
	.amdhsa_kernel _ZN7rocprim17ROCPRIM_400000_NS6detail17trampoline_kernelINS0_14default_configENS1_29binary_search_config_selectorIsiEEZNS1_14transform_implILb0ES3_S5_N6thrust23THRUST_200600_302600_NS6detail15normal_iteratorINS8_10device_ptrIsEEEENSA_INSB_IiEEEEZNS1_13binary_searchIS3_S5_SD_SD_SF_NS1_16binary_search_opENS9_16wrapped_functionINS0_4lessIvEEbEEEE10hipError_tPvRmT1_T2_T3_mmT4_T5_P12ihipStream_tbEUlRKsE_EESM_SQ_SR_mSS_SV_bEUlT_E_NS1_11comp_targetILNS1_3genE8ELNS1_11target_archE1030ELNS1_3gpuE2ELNS1_3repE0EEENS1_30default_config_static_selectorELNS0_4arch9wavefront6targetE0EEEvSP_
		.amdhsa_group_segment_fixed_size 0
		.amdhsa_private_segment_fixed_size 0
		.amdhsa_kernarg_size 56
		.amdhsa_user_sgpr_count 15
		.amdhsa_user_sgpr_dispatch_ptr 0
		.amdhsa_user_sgpr_queue_ptr 0
		.amdhsa_user_sgpr_kernarg_segment_ptr 1
		.amdhsa_user_sgpr_dispatch_id 0
		.amdhsa_user_sgpr_private_segment_size 0
		.amdhsa_wavefront_size32 1
		.amdhsa_uses_dynamic_stack 0
		.amdhsa_enable_private_segment 0
		.amdhsa_system_sgpr_workgroup_id_x 1
		.amdhsa_system_sgpr_workgroup_id_y 0
		.amdhsa_system_sgpr_workgroup_id_z 0
		.amdhsa_system_sgpr_workgroup_info 0
		.amdhsa_system_vgpr_workitem_id 0
		.amdhsa_next_free_vgpr 1
		.amdhsa_next_free_sgpr 1
		.amdhsa_reserve_vcc 0
		.amdhsa_float_round_mode_32 0
		.amdhsa_float_round_mode_16_64 0
		.amdhsa_float_denorm_mode_32 3
		.amdhsa_float_denorm_mode_16_64 3
		.amdhsa_dx10_clamp 1
		.amdhsa_ieee_mode 1
		.amdhsa_fp16_overflow 0
		.amdhsa_workgroup_processor_mode 1
		.amdhsa_memory_ordered 1
		.amdhsa_forward_progress 0
		.amdhsa_shared_vgpr_count 0
		.amdhsa_exception_fp_ieee_invalid_op 0
		.amdhsa_exception_fp_denorm_src 0
		.amdhsa_exception_fp_ieee_div_zero 0
		.amdhsa_exception_fp_ieee_overflow 0
		.amdhsa_exception_fp_ieee_underflow 0
		.amdhsa_exception_fp_ieee_inexact 0
		.amdhsa_exception_int_div_zero 0
	.end_amdhsa_kernel
	.section	.text._ZN7rocprim17ROCPRIM_400000_NS6detail17trampoline_kernelINS0_14default_configENS1_29binary_search_config_selectorIsiEEZNS1_14transform_implILb0ES3_S5_N6thrust23THRUST_200600_302600_NS6detail15normal_iteratorINS8_10device_ptrIsEEEENSA_INSB_IiEEEEZNS1_13binary_searchIS3_S5_SD_SD_SF_NS1_16binary_search_opENS9_16wrapped_functionINS0_4lessIvEEbEEEE10hipError_tPvRmT1_T2_T3_mmT4_T5_P12ihipStream_tbEUlRKsE_EESM_SQ_SR_mSS_SV_bEUlT_E_NS1_11comp_targetILNS1_3genE8ELNS1_11target_archE1030ELNS1_3gpuE2ELNS1_3repE0EEENS1_30default_config_static_selectorELNS0_4arch9wavefront6targetE0EEEvSP_,"axG",@progbits,_ZN7rocprim17ROCPRIM_400000_NS6detail17trampoline_kernelINS0_14default_configENS1_29binary_search_config_selectorIsiEEZNS1_14transform_implILb0ES3_S5_N6thrust23THRUST_200600_302600_NS6detail15normal_iteratorINS8_10device_ptrIsEEEENSA_INSB_IiEEEEZNS1_13binary_searchIS3_S5_SD_SD_SF_NS1_16binary_search_opENS9_16wrapped_functionINS0_4lessIvEEbEEEE10hipError_tPvRmT1_T2_T3_mmT4_T5_P12ihipStream_tbEUlRKsE_EESM_SQ_SR_mSS_SV_bEUlT_E_NS1_11comp_targetILNS1_3genE8ELNS1_11target_archE1030ELNS1_3gpuE2ELNS1_3repE0EEENS1_30default_config_static_selectorELNS0_4arch9wavefront6targetE0EEEvSP_,comdat
.Lfunc_end545:
	.size	_ZN7rocprim17ROCPRIM_400000_NS6detail17trampoline_kernelINS0_14default_configENS1_29binary_search_config_selectorIsiEEZNS1_14transform_implILb0ES3_S5_N6thrust23THRUST_200600_302600_NS6detail15normal_iteratorINS8_10device_ptrIsEEEENSA_INSB_IiEEEEZNS1_13binary_searchIS3_S5_SD_SD_SF_NS1_16binary_search_opENS9_16wrapped_functionINS0_4lessIvEEbEEEE10hipError_tPvRmT1_T2_T3_mmT4_T5_P12ihipStream_tbEUlRKsE_EESM_SQ_SR_mSS_SV_bEUlT_E_NS1_11comp_targetILNS1_3genE8ELNS1_11target_archE1030ELNS1_3gpuE2ELNS1_3repE0EEENS1_30default_config_static_selectorELNS0_4arch9wavefront6targetE0EEEvSP_, .Lfunc_end545-_ZN7rocprim17ROCPRIM_400000_NS6detail17trampoline_kernelINS0_14default_configENS1_29binary_search_config_selectorIsiEEZNS1_14transform_implILb0ES3_S5_N6thrust23THRUST_200600_302600_NS6detail15normal_iteratorINS8_10device_ptrIsEEEENSA_INSB_IiEEEEZNS1_13binary_searchIS3_S5_SD_SD_SF_NS1_16binary_search_opENS9_16wrapped_functionINS0_4lessIvEEbEEEE10hipError_tPvRmT1_T2_T3_mmT4_T5_P12ihipStream_tbEUlRKsE_EESM_SQ_SR_mSS_SV_bEUlT_E_NS1_11comp_targetILNS1_3genE8ELNS1_11target_archE1030ELNS1_3gpuE2ELNS1_3repE0EEENS1_30default_config_static_selectorELNS0_4arch9wavefront6targetE0EEEvSP_
                                        ; -- End function
	.section	.AMDGPU.csdata,"",@progbits
; Kernel info:
; codeLenInByte = 0
; NumSgprs: 0
; NumVgprs: 0
; ScratchSize: 0
; MemoryBound: 0
; FloatMode: 240
; IeeeMode: 1
; LDSByteSize: 0 bytes/workgroup (compile time only)
; SGPRBlocks: 0
; VGPRBlocks: 0
; NumSGPRsForWavesPerEU: 1
; NumVGPRsForWavesPerEU: 1
; Occupancy: 16
; WaveLimiterHint : 0
; COMPUTE_PGM_RSRC2:SCRATCH_EN: 0
; COMPUTE_PGM_RSRC2:USER_SGPR: 15
; COMPUTE_PGM_RSRC2:TRAP_HANDLER: 0
; COMPUTE_PGM_RSRC2:TGID_X_EN: 1
; COMPUTE_PGM_RSRC2:TGID_Y_EN: 0
; COMPUTE_PGM_RSRC2:TGID_Z_EN: 0
; COMPUTE_PGM_RSRC2:TIDIG_COMP_CNT: 0
	.section	.text._ZN7rocprim17ROCPRIM_400000_NS6detail17trampoline_kernelINS0_14default_configENS1_27lower_bound_config_selectorIxN6thrust23THRUST_200600_302600_NS6detail10any_assignEEEZNS1_14transform_implILb0ES3_S9_NS7_15normal_iteratorINS6_10device_ptrIxEEEENS6_16discard_iteratorINS6_11use_defaultEEEZNS1_13binary_searchIS3_S9_SE_SE_SH_NS1_21lower_bound_search_opENS7_16wrapped_functionINS0_4lessIvEEbEEEE10hipError_tPvRmT1_T2_T3_mmT4_T5_P12ihipStream_tbEUlRKxE_EESO_SS_ST_mSU_SX_bEUlT_E_NS1_11comp_targetILNS1_3genE0ELNS1_11target_archE4294967295ELNS1_3gpuE0ELNS1_3repE0EEENS1_30default_config_static_selectorELNS0_4arch9wavefront6targetE0EEEvSR_,"axG",@progbits,_ZN7rocprim17ROCPRIM_400000_NS6detail17trampoline_kernelINS0_14default_configENS1_27lower_bound_config_selectorIxN6thrust23THRUST_200600_302600_NS6detail10any_assignEEEZNS1_14transform_implILb0ES3_S9_NS7_15normal_iteratorINS6_10device_ptrIxEEEENS6_16discard_iteratorINS6_11use_defaultEEEZNS1_13binary_searchIS3_S9_SE_SE_SH_NS1_21lower_bound_search_opENS7_16wrapped_functionINS0_4lessIvEEbEEEE10hipError_tPvRmT1_T2_T3_mmT4_T5_P12ihipStream_tbEUlRKxE_EESO_SS_ST_mSU_SX_bEUlT_E_NS1_11comp_targetILNS1_3genE0ELNS1_11target_archE4294967295ELNS1_3gpuE0ELNS1_3repE0EEENS1_30default_config_static_selectorELNS0_4arch9wavefront6targetE0EEEvSR_,comdat
	.protected	_ZN7rocprim17ROCPRIM_400000_NS6detail17trampoline_kernelINS0_14default_configENS1_27lower_bound_config_selectorIxN6thrust23THRUST_200600_302600_NS6detail10any_assignEEEZNS1_14transform_implILb0ES3_S9_NS7_15normal_iteratorINS6_10device_ptrIxEEEENS6_16discard_iteratorINS6_11use_defaultEEEZNS1_13binary_searchIS3_S9_SE_SE_SH_NS1_21lower_bound_search_opENS7_16wrapped_functionINS0_4lessIvEEbEEEE10hipError_tPvRmT1_T2_T3_mmT4_T5_P12ihipStream_tbEUlRKxE_EESO_SS_ST_mSU_SX_bEUlT_E_NS1_11comp_targetILNS1_3genE0ELNS1_11target_archE4294967295ELNS1_3gpuE0ELNS1_3repE0EEENS1_30default_config_static_selectorELNS0_4arch9wavefront6targetE0EEEvSR_ ; -- Begin function _ZN7rocprim17ROCPRIM_400000_NS6detail17trampoline_kernelINS0_14default_configENS1_27lower_bound_config_selectorIxN6thrust23THRUST_200600_302600_NS6detail10any_assignEEEZNS1_14transform_implILb0ES3_S9_NS7_15normal_iteratorINS6_10device_ptrIxEEEENS6_16discard_iteratorINS6_11use_defaultEEEZNS1_13binary_searchIS3_S9_SE_SE_SH_NS1_21lower_bound_search_opENS7_16wrapped_functionINS0_4lessIvEEbEEEE10hipError_tPvRmT1_T2_T3_mmT4_T5_P12ihipStream_tbEUlRKxE_EESO_SS_ST_mSU_SX_bEUlT_E_NS1_11comp_targetILNS1_3genE0ELNS1_11target_archE4294967295ELNS1_3gpuE0ELNS1_3repE0EEENS1_30default_config_static_selectorELNS0_4arch9wavefront6targetE0EEEvSR_
	.globl	_ZN7rocprim17ROCPRIM_400000_NS6detail17trampoline_kernelINS0_14default_configENS1_27lower_bound_config_selectorIxN6thrust23THRUST_200600_302600_NS6detail10any_assignEEEZNS1_14transform_implILb0ES3_S9_NS7_15normal_iteratorINS6_10device_ptrIxEEEENS6_16discard_iteratorINS6_11use_defaultEEEZNS1_13binary_searchIS3_S9_SE_SE_SH_NS1_21lower_bound_search_opENS7_16wrapped_functionINS0_4lessIvEEbEEEE10hipError_tPvRmT1_T2_T3_mmT4_T5_P12ihipStream_tbEUlRKxE_EESO_SS_ST_mSU_SX_bEUlT_E_NS1_11comp_targetILNS1_3genE0ELNS1_11target_archE4294967295ELNS1_3gpuE0ELNS1_3repE0EEENS1_30default_config_static_selectorELNS0_4arch9wavefront6targetE0EEEvSR_
	.p2align	8
	.type	_ZN7rocprim17ROCPRIM_400000_NS6detail17trampoline_kernelINS0_14default_configENS1_27lower_bound_config_selectorIxN6thrust23THRUST_200600_302600_NS6detail10any_assignEEEZNS1_14transform_implILb0ES3_S9_NS7_15normal_iteratorINS6_10device_ptrIxEEEENS6_16discard_iteratorINS6_11use_defaultEEEZNS1_13binary_searchIS3_S9_SE_SE_SH_NS1_21lower_bound_search_opENS7_16wrapped_functionINS0_4lessIvEEbEEEE10hipError_tPvRmT1_T2_T3_mmT4_T5_P12ihipStream_tbEUlRKxE_EESO_SS_ST_mSU_SX_bEUlT_E_NS1_11comp_targetILNS1_3genE0ELNS1_11target_archE4294967295ELNS1_3gpuE0ELNS1_3repE0EEENS1_30default_config_static_selectorELNS0_4arch9wavefront6targetE0EEEvSR_,@function
_ZN7rocprim17ROCPRIM_400000_NS6detail17trampoline_kernelINS0_14default_configENS1_27lower_bound_config_selectorIxN6thrust23THRUST_200600_302600_NS6detail10any_assignEEEZNS1_14transform_implILb0ES3_S9_NS7_15normal_iteratorINS6_10device_ptrIxEEEENS6_16discard_iteratorINS6_11use_defaultEEEZNS1_13binary_searchIS3_S9_SE_SE_SH_NS1_21lower_bound_search_opENS7_16wrapped_functionINS0_4lessIvEEbEEEE10hipError_tPvRmT1_T2_T3_mmT4_T5_P12ihipStream_tbEUlRKxE_EESO_SS_ST_mSU_SX_bEUlT_E_NS1_11comp_targetILNS1_3genE0ELNS1_11target_archE4294967295ELNS1_3gpuE0ELNS1_3repE0EEENS1_30default_config_static_selectorELNS0_4arch9wavefront6targetE0EEEvSR_: ; @_ZN7rocprim17ROCPRIM_400000_NS6detail17trampoline_kernelINS0_14default_configENS1_27lower_bound_config_selectorIxN6thrust23THRUST_200600_302600_NS6detail10any_assignEEEZNS1_14transform_implILb0ES3_S9_NS7_15normal_iteratorINS6_10device_ptrIxEEEENS6_16discard_iteratorINS6_11use_defaultEEEZNS1_13binary_searchIS3_S9_SE_SE_SH_NS1_21lower_bound_search_opENS7_16wrapped_functionINS0_4lessIvEEbEEEE10hipError_tPvRmT1_T2_T3_mmT4_T5_P12ihipStream_tbEUlRKxE_EESO_SS_ST_mSU_SX_bEUlT_E_NS1_11comp_targetILNS1_3genE0ELNS1_11target_archE4294967295ELNS1_3gpuE0ELNS1_3repE0EEENS1_30default_config_static_selectorELNS0_4arch9wavefront6targetE0EEEvSR_
; %bb.0:
	.section	.rodata,"a",@progbits
	.p2align	6, 0x0
	.amdhsa_kernel _ZN7rocprim17ROCPRIM_400000_NS6detail17trampoline_kernelINS0_14default_configENS1_27lower_bound_config_selectorIxN6thrust23THRUST_200600_302600_NS6detail10any_assignEEEZNS1_14transform_implILb0ES3_S9_NS7_15normal_iteratorINS6_10device_ptrIxEEEENS6_16discard_iteratorINS6_11use_defaultEEEZNS1_13binary_searchIS3_S9_SE_SE_SH_NS1_21lower_bound_search_opENS7_16wrapped_functionINS0_4lessIvEEbEEEE10hipError_tPvRmT1_T2_T3_mmT4_T5_P12ihipStream_tbEUlRKxE_EESO_SS_ST_mSU_SX_bEUlT_E_NS1_11comp_targetILNS1_3genE0ELNS1_11target_archE4294967295ELNS1_3gpuE0ELNS1_3repE0EEENS1_30default_config_static_selectorELNS0_4arch9wavefront6targetE0EEEvSR_
		.amdhsa_group_segment_fixed_size 0
		.amdhsa_private_segment_fixed_size 0
		.amdhsa_kernarg_size 64
		.amdhsa_user_sgpr_count 15
		.amdhsa_user_sgpr_dispatch_ptr 0
		.amdhsa_user_sgpr_queue_ptr 0
		.amdhsa_user_sgpr_kernarg_segment_ptr 1
		.amdhsa_user_sgpr_dispatch_id 0
		.amdhsa_user_sgpr_private_segment_size 0
		.amdhsa_wavefront_size32 1
		.amdhsa_uses_dynamic_stack 0
		.amdhsa_enable_private_segment 0
		.amdhsa_system_sgpr_workgroup_id_x 1
		.amdhsa_system_sgpr_workgroup_id_y 0
		.amdhsa_system_sgpr_workgroup_id_z 0
		.amdhsa_system_sgpr_workgroup_info 0
		.amdhsa_system_vgpr_workitem_id 0
		.amdhsa_next_free_vgpr 1
		.amdhsa_next_free_sgpr 1
		.amdhsa_reserve_vcc 0
		.amdhsa_float_round_mode_32 0
		.amdhsa_float_round_mode_16_64 0
		.amdhsa_float_denorm_mode_32 3
		.amdhsa_float_denorm_mode_16_64 3
		.amdhsa_dx10_clamp 1
		.amdhsa_ieee_mode 1
		.amdhsa_fp16_overflow 0
		.amdhsa_workgroup_processor_mode 1
		.amdhsa_memory_ordered 1
		.amdhsa_forward_progress 0
		.amdhsa_shared_vgpr_count 0
		.amdhsa_exception_fp_ieee_invalid_op 0
		.amdhsa_exception_fp_denorm_src 0
		.amdhsa_exception_fp_ieee_div_zero 0
		.amdhsa_exception_fp_ieee_overflow 0
		.amdhsa_exception_fp_ieee_underflow 0
		.amdhsa_exception_fp_ieee_inexact 0
		.amdhsa_exception_int_div_zero 0
	.end_amdhsa_kernel
	.section	.text._ZN7rocprim17ROCPRIM_400000_NS6detail17trampoline_kernelINS0_14default_configENS1_27lower_bound_config_selectorIxN6thrust23THRUST_200600_302600_NS6detail10any_assignEEEZNS1_14transform_implILb0ES3_S9_NS7_15normal_iteratorINS6_10device_ptrIxEEEENS6_16discard_iteratorINS6_11use_defaultEEEZNS1_13binary_searchIS3_S9_SE_SE_SH_NS1_21lower_bound_search_opENS7_16wrapped_functionINS0_4lessIvEEbEEEE10hipError_tPvRmT1_T2_T3_mmT4_T5_P12ihipStream_tbEUlRKxE_EESO_SS_ST_mSU_SX_bEUlT_E_NS1_11comp_targetILNS1_3genE0ELNS1_11target_archE4294967295ELNS1_3gpuE0ELNS1_3repE0EEENS1_30default_config_static_selectorELNS0_4arch9wavefront6targetE0EEEvSR_,"axG",@progbits,_ZN7rocprim17ROCPRIM_400000_NS6detail17trampoline_kernelINS0_14default_configENS1_27lower_bound_config_selectorIxN6thrust23THRUST_200600_302600_NS6detail10any_assignEEEZNS1_14transform_implILb0ES3_S9_NS7_15normal_iteratorINS6_10device_ptrIxEEEENS6_16discard_iteratorINS6_11use_defaultEEEZNS1_13binary_searchIS3_S9_SE_SE_SH_NS1_21lower_bound_search_opENS7_16wrapped_functionINS0_4lessIvEEbEEEE10hipError_tPvRmT1_T2_T3_mmT4_T5_P12ihipStream_tbEUlRKxE_EESO_SS_ST_mSU_SX_bEUlT_E_NS1_11comp_targetILNS1_3genE0ELNS1_11target_archE4294967295ELNS1_3gpuE0ELNS1_3repE0EEENS1_30default_config_static_selectorELNS0_4arch9wavefront6targetE0EEEvSR_,comdat
.Lfunc_end546:
	.size	_ZN7rocprim17ROCPRIM_400000_NS6detail17trampoline_kernelINS0_14default_configENS1_27lower_bound_config_selectorIxN6thrust23THRUST_200600_302600_NS6detail10any_assignEEEZNS1_14transform_implILb0ES3_S9_NS7_15normal_iteratorINS6_10device_ptrIxEEEENS6_16discard_iteratorINS6_11use_defaultEEEZNS1_13binary_searchIS3_S9_SE_SE_SH_NS1_21lower_bound_search_opENS7_16wrapped_functionINS0_4lessIvEEbEEEE10hipError_tPvRmT1_T2_T3_mmT4_T5_P12ihipStream_tbEUlRKxE_EESO_SS_ST_mSU_SX_bEUlT_E_NS1_11comp_targetILNS1_3genE0ELNS1_11target_archE4294967295ELNS1_3gpuE0ELNS1_3repE0EEENS1_30default_config_static_selectorELNS0_4arch9wavefront6targetE0EEEvSR_, .Lfunc_end546-_ZN7rocprim17ROCPRIM_400000_NS6detail17trampoline_kernelINS0_14default_configENS1_27lower_bound_config_selectorIxN6thrust23THRUST_200600_302600_NS6detail10any_assignEEEZNS1_14transform_implILb0ES3_S9_NS7_15normal_iteratorINS6_10device_ptrIxEEEENS6_16discard_iteratorINS6_11use_defaultEEEZNS1_13binary_searchIS3_S9_SE_SE_SH_NS1_21lower_bound_search_opENS7_16wrapped_functionINS0_4lessIvEEbEEEE10hipError_tPvRmT1_T2_T3_mmT4_T5_P12ihipStream_tbEUlRKxE_EESO_SS_ST_mSU_SX_bEUlT_E_NS1_11comp_targetILNS1_3genE0ELNS1_11target_archE4294967295ELNS1_3gpuE0ELNS1_3repE0EEENS1_30default_config_static_selectorELNS0_4arch9wavefront6targetE0EEEvSR_
                                        ; -- End function
	.section	.AMDGPU.csdata,"",@progbits
; Kernel info:
; codeLenInByte = 0
; NumSgprs: 0
; NumVgprs: 0
; ScratchSize: 0
; MemoryBound: 0
; FloatMode: 240
; IeeeMode: 1
; LDSByteSize: 0 bytes/workgroup (compile time only)
; SGPRBlocks: 0
; VGPRBlocks: 0
; NumSGPRsForWavesPerEU: 1
; NumVGPRsForWavesPerEU: 1
; Occupancy: 16
; WaveLimiterHint : 0
; COMPUTE_PGM_RSRC2:SCRATCH_EN: 0
; COMPUTE_PGM_RSRC2:USER_SGPR: 15
; COMPUTE_PGM_RSRC2:TRAP_HANDLER: 0
; COMPUTE_PGM_RSRC2:TGID_X_EN: 1
; COMPUTE_PGM_RSRC2:TGID_Y_EN: 0
; COMPUTE_PGM_RSRC2:TGID_Z_EN: 0
; COMPUTE_PGM_RSRC2:TIDIG_COMP_CNT: 0
	.section	.text._ZN7rocprim17ROCPRIM_400000_NS6detail17trampoline_kernelINS0_14default_configENS1_27lower_bound_config_selectorIxN6thrust23THRUST_200600_302600_NS6detail10any_assignEEEZNS1_14transform_implILb0ES3_S9_NS7_15normal_iteratorINS6_10device_ptrIxEEEENS6_16discard_iteratorINS6_11use_defaultEEEZNS1_13binary_searchIS3_S9_SE_SE_SH_NS1_21lower_bound_search_opENS7_16wrapped_functionINS0_4lessIvEEbEEEE10hipError_tPvRmT1_T2_T3_mmT4_T5_P12ihipStream_tbEUlRKxE_EESO_SS_ST_mSU_SX_bEUlT_E_NS1_11comp_targetILNS1_3genE5ELNS1_11target_archE942ELNS1_3gpuE9ELNS1_3repE0EEENS1_30default_config_static_selectorELNS0_4arch9wavefront6targetE0EEEvSR_,"axG",@progbits,_ZN7rocprim17ROCPRIM_400000_NS6detail17trampoline_kernelINS0_14default_configENS1_27lower_bound_config_selectorIxN6thrust23THRUST_200600_302600_NS6detail10any_assignEEEZNS1_14transform_implILb0ES3_S9_NS7_15normal_iteratorINS6_10device_ptrIxEEEENS6_16discard_iteratorINS6_11use_defaultEEEZNS1_13binary_searchIS3_S9_SE_SE_SH_NS1_21lower_bound_search_opENS7_16wrapped_functionINS0_4lessIvEEbEEEE10hipError_tPvRmT1_T2_T3_mmT4_T5_P12ihipStream_tbEUlRKxE_EESO_SS_ST_mSU_SX_bEUlT_E_NS1_11comp_targetILNS1_3genE5ELNS1_11target_archE942ELNS1_3gpuE9ELNS1_3repE0EEENS1_30default_config_static_selectorELNS0_4arch9wavefront6targetE0EEEvSR_,comdat
	.protected	_ZN7rocprim17ROCPRIM_400000_NS6detail17trampoline_kernelINS0_14default_configENS1_27lower_bound_config_selectorIxN6thrust23THRUST_200600_302600_NS6detail10any_assignEEEZNS1_14transform_implILb0ES3_S9_NS7_15normal_iteratorINS6_10device_ptrIxEEEENS6_16discard_iteratorINS6_11use_defaultEEEZNS1_13binary_searchIS3_S9_SE_SE_SH_NS1_21lower_bound_search_opENS7_16wrapped_functionINS0_4lessIvEEbEEEE10hipError_tPvRmT1_T2_T3_mmT4_T5_P12ihipStream_tbEUlRKxE_EESO_SS_ST_mSU_SX_bEUlT_E_NS1_11comp_targetILNS1_3genE5ELNS1_11target_archE942ELNS1_3gpuE9ELNS1_3repE0EEENS1_30default_config_static_selectorELNS0_4arch9wavefront6targetE0EEEvSR_ ; -- Begin function _ZN7rocprim17ROCPRIM_400000_NS6detail17trampoline_kernelINS0_14default_configENS1_27lower_bound_config_selectorIxN6thrust23THRUST_200600_302600_NS6detail10any_assignEEEZNS1_14transform_implILb0ES3_S9_NS7_15normal_iteratorINS6_10device_ptrIxEEEENS6_16discard_iteratorINS6_11use_defaultEEEZNS1_13binary_searchIS3_S9_SE_SE_SH_NS1_21lower_bound_search_opENS7_16wrapped_functionINS0_4lessIvEEbEEEE10hipError_tPvRmT1_T2_T3_mmT4_T5_P12ihipStream_tbEUlRKxE_EESO_SS_ST_mSU_SX_bEUlT_E_NS1_11comp_targetILNS1_3genE5ELNS1_11target_archE942ELNS1_3gpuE9ELNS1_3repE0EEENS1_30default_config_static_selectorELNS0_4arch9wavefront6targetE0EEEvSR_
	.globl	_ZN7rocprim17ROCPRIM_400000_NS6detail17trampoline_kernelINS0_14default_configENS1_27lower_bound_config_selectorIxN6thrust23THRUST_200600_302600_NS6detail10any_assignEEEZNS1_14transform_implILb0ES3_S9_NS7_15normal_iteratorINS6_10device_ptrIxEEEENS6_16discard_iteratorINS6_11use_defaultEEEZNS1_13binary_searchIS3_S9_SE_SE_SH_NS1_21lower_bound_search_opENS7_16wrapped_functionINS0_4lessIvEEbEEEE10hipError_tPvRmT1_T2_T3_mmT4_T5_P12ihipStream_tbEUlRKxE_EESO_SS_ST_mSU_SX_bEUlT_E_NS1_11comp_targetILNS1_3genE5ELNS1_11target_archE942ELNS1_3gpuE9ELNS1_3repE0EEENS1_30default_config_static_selectorELNS0_4arch9wavefront6targetE0EEEvSR_
	.p2align	8
	.type	_ZN7rocprim17ROCPRIM_400000_NS6detail17trampoline_kernelINS0_14default_configENS1_27lower_bound_config_selectorIxN6thrust23THRUST_200600_302600_NS6detail10any_assignEEEZNS1_14transform_implILb0ES3_S9_NS7_15normal_iteratorINS6_10device_ptrIxEEEENS6_16discard_iteratorINS6_11use_defaultEEEZNS1_13binary_searchIS3_S9_SE_SE_SH_NS1_21lower_bound_search_opENS7_16wrapped_functionINS0_4lessIvEEbEEEE10hipError_tPvRmT1_T2_T3_mmT4_T5_P12ihipStream_tbEUlRKxE_EESO_SS_ST_mSU_SX_bEUlT_E_NS1_11comp_targetILNS1_3genE5ELNS1_11target_archE942ELNS1_3gpuE9ELNS1_3repE0EEENS1_30default_config_static_selectorELNS0_4arch9wavefront6targetE0EEEvSR_,@function
_ZN7rocprim17ROCPRIM_400000_NS6detail17trampoline_kernelINS0_14default_configENS1_27lower_bound_config_selectorIxN6thrust23THRUST_200600_302600_NS6detail10any_assignEEEZNS1_14transform_implILb0ES3_S9_NS7_15normal_iteratorINS6_10device_ptrIxEEEENS6_16discard_iteratorINS6_11use_defaultEEEZNS1_13binary_searchIS3_S9_SE_SE_SH_NS1_21lower_bound_search_opENS7_16wrapped_functionINS0_4lessIvEEbEEEE10hipError_tPvRmT1_T2_T3_mmT4_T5_P12ihipStream_tbEUlRKxE_EESO_SS_ST_mSU_SX_bEUlT_E_NS1_11comp_targetILNS1_3genE5ELNS1_11target_archE942ELNS1_3gpuE9ELNS1_3repE0EEENS1_30default_config_static_selectorELNS0_4arch9wavefront6targetE0EEEvSR_: ; @_ZN7rocprim17ROCPRIM_400000_NS6detail17trampoline_kernelINS0_14default_configENS1_27lower_bound_config_selectorIxN6thrust23THRUST_200600_302600_NS6detail10any_assignEEEZNS1_14transform_implILb0ES3_S9_NS7_15normal_iteratorINS6_10device_ptrIxEEEENS6_16discard_iteratorINS6_11use_defaultEEEZNS1_13binary_searchIS3_S9_SE_SE_SH_NS1_21lower_bound_search_opENS7_16wrapped_functionINS0_4lessIvEEbEEEE10hipError_tPvRmT1_T2_T3_mmT4_T5_P12ihipStream_tbEUlRKxE_EESO_SS_ST_mSU_SX_bEUlT_E_NS1_11comp_targetILNS1_3genE5ELNS1_11target_archE942ELNS1_3gpuE9ELNS1_3repE0EEENS1_30default_config_static_selectorELNS0_4arch9wavefront6targetE0EEEvSR_
; %bb.0:
	.section	.rodata,"a",@progbits
	.p2align	6, 0x0
	.amdhsa_kernel _ZN7rocprim17ROCPRIM_400000_NS6detail17trampoline_kernelINS0_14default_configENS1_27lower_bound_config_selectorIxN6thrust23THRUST_200600_302600_NS6detail10any_assignEEEZNS1_14transform_implILb0ES3_S9_NS7_15normal_iteratorINS6_10device_ptrIxEEEENS6_16discard_iteratorINS6_11use_defaultEEEZNS1_13binary_searchIS3_S9_SE_SE_SH_NS1_21lower_bound_search_opENS7_16wrapped_functionINS0_4lessIvEEbEEEE10hipError_tPvRmT1_T2_T3_mmT4_T5_P12ihipStream_tbEUlRKxE_EESO_SS_ST_mSU_SX_bEUlT_E_NS1_11comp_targetILNS1_3genE5ELNS1_11target_archE942ELNS1_3gpuE9ELNS1_3repE0EEENS1_30default_config_static_selectorELNS0_4arch9wavefront6targetE0EEEvSR_
		.amdhsa_group_segment_fixed_size 0
		.amdhsa_private_segment_fixed_size 0
		.amdhsa_kernarg_size 64
		.amdhsa_user_sgpr_count 15
		.amdhsa_user_sgpr_dispatch_ptr 0
		.amdhsa_user_sgpr_queue_ptr 0
		.amdhsa_user_sgpr_kernarg_segment_ptr 1
		.amdhsa_user_sgpr_dispatch_id 0
		.amdhsa_user_sgpr_private_segment_size 0
		.amdhsa_wavefront_size32 1
		.amdhsa_uses_dynamic_stack 0
		.amdhsa_enable_private_segment 0
		.amdhsa_system_sgpr_workgroup_id_x 1
		.amdhsa_system_sgpr_workgroup_id_y 0
		.amdhsa_system_sgpr_workgroup_id_z 0
		.amdhsa_system_sgpr_workgroup_info 0
		.amdhsa_system_vgpr_workitem_id 0
		.amdhsa_next_free_vgpr 1
		.amdhsa_next_free_sgpr 1
		.amdhsa_reserve_vcc 0
		.amdhsa_float_round_mode_32 0
		.amdhsa_float_round_mode_16_64 0
		.amdhsa_float_denorm_mode_32 3
		.amdhsa_float_denorm_mode_16_64 3
		.amdhsa_dx10_clamp 1
		.amdhsa_ieee_mode 1
		.amdhsa_fp16_overflow 0
		.amdhsa_workgroup_processor_mode 1
		.amdhsa_memory_ordered 1
		.amdhsa_forward_progress 0
		.amdhsa_shared_vgpr_count 0
		.amdhsa_exception_fp_ieee_invalid_op 0
		.amdhsa_exception_fp_denorm_src 0
		.amdhsa_exception_fp_ieee_div_zero 0
		.amdhsa_exception_fp_ieee_overflow 0
		.amdhsa_exception_fp_ieee_underflow 0
		.amdhsa_exception_fp_ieee_inexact 0
		.amdhsa_exception_int_div_zero 0
	.end_amdhsa_kernel
	.section	.text._ZN7rocprim17ROCPRIM_400000_NS6detail17trampoline_kernelINS0_14default_configENS1_27lower_bound_config_selectorIxN6thrust23THRUST_200600_302600_NS6detail10any_assignEEEZNS1_14transform_implILb0ES3_S9_NS7_15normal_iteratorINS6_10device_ptrIxEEEENS6_16discard_iteratorINS6_11use_defaultEEEZNS1_13binary_searchIS3_S9_SE_SE_SH_NS1_21lower_bound_search_opENS7_16wrapped_functionINS0_4lessIvEEbEEEE10hipError_tPvRmT1_T2_T3_mmT4_T5_P12ihipStream_tbEUlRKxE_EESO_SS_ST_mSU_SX_bEUlT_E_NS1_11comp_targetILNS1_3genE5ELNS1_11target_archE942ELNS1_3gpuE9ELNS1_3repE0EEENS1_30default_config_static_selectorELNS0_4arch9wavefront6targetE0EEEvSR_,"axG",@progbits,_ZN7rocprim17ROCPRIM_400000_NS6detail17trampoline_kernelINS0_14default_configENS1_27lower_bound_config_selectorIxN6thrust23THRUST_200600_302600_NS6detail10any_assignEEEZNS1_14transform_implILb0ES3_S9_NS7_15normal_iteratorINS6_10device_ptrIxEEEENS6_16discard_iteratorINS6_11use_defaultEEEZNS1_13binary_searchIS3_S9_SE_SE_SH_NS1_21lower_bound_search_opENS7_16wrapped_functionINS0_4lessIvEEbEEEE10hipError_tPvRmT1_T2_T3_mmT4_T5_P12ihipStream_tbEUlRKxE_EESO_SS_ST_mSU_SX_bEUlT_E_NS1_11comp_targetILNS1_3genE5ELNS1_11target_archE942ELNS1_3gpuE9ELNS1_3repE0EEENS1_30default_config_static_selectorELNS0_4arch9wavefront6targetE0EEEvSR_,comdat
.Lfunc_end547:
	.size	_ZN7rocprim17ROCPRIM_400000_NS6detail17trampoline_kernelINS0_14default_configENS1_27lower_bound_config_selectorIxN6thrust23THRUST_200600_302600_NS6detail10any_assignEEEZNS1_14transform_implILb0ES3_S9_NS7_15normal_iteratorINS6_10device_ptrIxEEEENS6_16discard_iteratorINS6_11use_defaultEEEZNS1_13binary_searchIS3_S9_SE_SE_SH_NS1_21lower_bound_search_opENS7_16wrapped_functionINS0_4lessIvEEbEEEE10hipError_tPvRmT1_T2_T3_mmT4_T5_P12ihipStream_tbEUlRKxE_EESO_SS_ST_mSU_SX_bEUlT_E_NS1_11comp_targetILNS1_3genE5ELNS1_11target_archE942ELNS1_3gpuE9ELNS1_3repE0EEENS1_30default_config_static_selectorELNS0_4arch9wavefront6targetE0EEEvSR_, .Lfunc_end547-_ZN7rocprim17ROCPRIM_400000_NS6detail17trampoline_kernelINS0_14default_configENS1_27lower_bound_config_selectorIxN6thrust23THRUST_200600_302600_NS6detail10any_assignEEEZNS1_14transform_implILb0ES3_S9_NS7_15normal_iteratorINS6_10device_ptrIxEEEENS6_16discard_iteratorINS6_11use_defaultEEEZNS1_13binary_searchIS3_S9_SE_SE_SH_NS1_21lower_bound_search_opENS7_16wrapped_functionINS0_4lessIvEEbEEEE10hipError_tPvRmT1_T2_T3_mmT4_T5_P12ihipStream_tbEUlRKxE_EESO_SS_ST_mSU_SX_bEUlT_E_NS1_11comp_targetILNS1_3genE5ELNS1_11target_archE942ELNS1_3gpuE9ELNS1_3repE0EEENS1_30default_config_static_selectorELNS0_4arch9wavefront6targetE0EEEvSR_
                                        ; -- End function
	.section	.AMDGPU.csdata,"",@progbits
; Kernel info:
; codeLenInByte = 0
; NumSgprs: 0
; NumVgprs: 0
; ScratchSize: 0
; MemoryBound: 0
; FloatMode: 240
; IeeeMode: 1
; LDSByteSize: 0 bytes/workgroup (compile time only)
; SGPRBlocks: 0
; VGPRBlocks: 0
; NumSGPRsForWavesPerEU: 1
; NumVGPRsForWavesPerEU: 1
; Occupancy: 16
; WaveLimiterHint : 0
; COMPUTE_PGM_RSRC2:SCRATCH_EN: 0
; COMPUTE_PGM_RSRC2:USER_SGPR: 15
; COMPUTE_PGM_RSRC2:TRAP_HANDLER: 0
; COMPUTE_PGM_RSRC2:TGID_X_EN: 1
; COMPUTE_PGM_RSRC2:TGID_Y_EN: 0
; COMPUTE_PGM_RSRC2:TGID_Z_EN: 0
; COMPUTE_PGM_RSRC2:TIDIG_COMP_CNT: 0
	.section	.text._ZN7rocprim17ROCPRIM_400000_NS6detail17trampoline_kernelINS0_14default_configENS1_27lower_bound_config_selectorIxN6thrust23THRUST_200600_302600_NS6detail10any_assignEEEZNS1_14transform_implILb0ES3_S9_NS7_15normal_iteratorINS6_10device_ptrIxEEEENS6_16discard_iteratorINS6_11use_defaultEEEZNS1_13binary_searchIS3_S9_SE_SE_SH_NS1_21lower_bound_search_opENS7_16wrapped_functionINS0_4lessIvEEbEEEE10hipError_tPvRmT1_T2_T3_mmT4_T5_P12ihipStream_tbEUlRKxE_EESO_SS_ST_mSU_SX_bEUlT_E_NS1_11comp_targetILNS1_3genE4ELNS1_11target_archE910ELNS1_3gpuE8ELNS1_3repE0EEENS1_30default_config_static_selectorELNS0_4arch9wavefront6targetE0EEEvSR_,"axG",@progbits,_ZN7rocprim17ROCPRIM_400000_NS6detail17trampoline_kernelINS0_14default_configENS1_27lower_bound_config_selectorIxN6thrust23THRUST_200600_302600_NS6detail10any_assignEEEZNS1_14transform_implILb0ES3_S9_NS7_15normal_iteratorINS6_10device_ptrIxEEEENS6_16discard_iteratorINS6_11use_defaultEEEZNS1_13binary_searchIS3_S9_SE_SE_SH_NS1_21lower_bound_search_opENS7_16wrapped_functionINS0_4lessIvEEbEEEE10hipError_tPvRmT1_T2_T3_mmT4_T5_P12ihipStream_tbEUlRKxE_EESO_SS_ST_mSU_SX_bEUlT_E_NS1_11comp_targetILNS1_3genE4ELNS1_11target_archE910ELNS1_3gpuE8ELNS1_3repE0EEENS1_30default_config_static_selectorELNS0_4arch9wavefront6targetE0EEEvSR_,comdat
	.protected	_ZN7rocprim17ROCPRIM_400000_NS6detail17trampoline_kernelINS0_14default_configENS1_27lower_bound_config_selectorIxN6thrust23THRUST_200600_302600_NS6detail10any_assignEEEZNS1_14transform_implILb0ES3_S9_NS7_15normal_iteratorINS6_10device_ptrIxEEEENS6_16discard_iteratorINS6_11use_defaultEEEZNS1_13binary_searchIS3_S9_SE_SE_SH_NS1_21lower_bound_search_opENS7_16wrapped_functionINS0_4lessIvEEbEEEE10hipError_tPvRmT1_T2_T3_mmT4_T5_P12ihipStream_tbEUlRKxE_EESO_SS_ST_mSU_SX_bEUlT_E_NS1_11comp_targetILNS1_3genE4ELNS1_11target_archE910ELNS1_3gpuE8ELNS1_3repE0EEENS1_30default_config_static_selectorELNS0_4arch9wavefront6targetE0EEEvSR_ ; -- Begin function _ZN7rocprim17ROCPRIM_400000_NS6detail17trampoline_kernelINS0_14default_configENS1_27lower_bound_config_selectorIxN6thrust23THRUST_200600_302600_NS6detail10any_assignEEEZNS1_14transform_implILb0ES3_S9_NS7_15normal_iteratorINS6_10device_ptrIxEEEENS6_16discard_iteratorINS6_11use_defaultEEEZNS1_13binary_searchIS3_S9_SE_SE_SH_NS1_21lower_bound_search_opENS7_16wrapped_functionINS0_4lessIvEEbEEEE10hipError_tPvRmT1_T2_T3_mmT4_T5_P12ihipStream_tbEUlRKxE_EESO_SS_ST_mSU_SX_bEUlT_E_NS1_11comp_targetILNS1_3genE4ELNS1_11target_archE910ELNS1_3gpuE8ELNS1_3repE0EEENS1_30default_config_static_selectorELNS0_4arch9wavefront6targetE0EEEvSR_
	.globl	_ZN7rocprim17ROCPRIM_400000_NS6detail17trampoline_kernelINS0_14default_configENS1_27lower_bound_config_selectorIxN6thrust23THRUST_200600_302600_NS6detail10any_assignEEEZNS1_14transform_implILb0ES3_S9_NS7_15normal_iteratorINS6_10device_ptrIxEEEENS6_16discard_iteratorINS6_11use_defaultEEEZNS1_13binary_searchIS3_S9_SE_SE_SH_NS1_21lower_bound_search_opENS7_16wrapped_functionINS0_4lessIvEEbEEEE10hipError_tPvRmT1_T2_T3_mmT4_T5_P12ihipStream_tbEUlRKxE_EESO_SS_ST_mSU_SX_bEUlT_E_NS1_11comp_targetILNS1_3genE4ELNS1_11target_archE910ELNS1_3gpuE8ELNS1_3repE0EEENS1_30default_config_static_selectorELNS0_4arch9wavefront6targetE0EEEvSR_
	.p2align	8
	.type	_ZN7rocprim17ROCPRIM_400000_NS6detail17trampoline_kernelINS0_14default_configENS1_27lower_bound_config_selectorIxN6thrust23THRUST_200600_302600_NS6detail10any_assignEEEZNS1_14transform_implILb0ES3_S9_NS7_15normal_iteratorINS6_10device_ptrIxEEEENS6_16discard_iteratorINS6_11use_defaultEEEZNS1_13binary_searchIS3_S9_SE_SE_SH_NS1_21lower_bound_search_opENS7_16wrapped_functionINS0_4lessIvEEbEEEE10hipError_tPvRmT1_T2_T3_mmT4_T5_P12ihipStream_tbEUlRKxE_EESO_SS_ST_mSU_SX_bEUlT_E_NS1_11comp_targetILNS1_3genE4ELNS1_11target_archE910ELNS1_3gpuE8ELNS1_3repE0EEENS1_30default_config_static_selectorELNS0_4arch9wavefront6targetE0EEEvSR_,@function
_ZN7rocprim17ROCPRIM_400000_NS6detail17trampoline_kernelINS0_14default_configENS1_27lower_bound_config_selectorIxN6thrust23THRUST_200600_302600_NS6detail10any_assignEEEZNS1_14transform_implILb0ES3_S9_NS7_15normal_iteratorINS6_10device_ptrIxEEEENS6_16discard_iteratorINS6_11use_defaultEEEZNS1_13binary_searchIS3_S9_SE_SE_SH_NS1_21lower_bound_search_opENS7_16wrapped_functionINS0_4lessIvEEbEEEE10hipError_tPvRmT1_T2_T3_mmT4_T5_P12ihipStream_tbEUlRKxE_EESO_SS_ST_mSU_SX_bEUlT_E_NS1_11comp_targetILNS1_3genE4ELNS1_11target_archE910ELNS1_3gpuE8ELNS1_3repE0EEENS1_30default_config_static_selectorELNS0_4arch9wavefront6targetE0EEEvSR_: ; @_ZN7rocprim17ROCPRIM_400000_NS6detail17trampoline_kernelINS0_14default_configENS1_27lower_bound_config_selectorIxN6thrust23THRUST_200600_302600_NS6detail10any_assignEEEZNS1_14transform_implILb0ES3_S9_NS7_15normal_iteratorINS6_10device_ptrIxEEEENS6_16discard_iteratorINS6_11use_defaultEEEZNS1_13binary_searchIS3_S9_SE_SE_SH_NS1_21lower_bound_search_opENS7_16wrapped_functionINS0_4lessIvEEbEEEE10hipError_tPvRmT1_T2_T3_mmT4_T5_P12ihipStream_tbEUlRKxE_EESO_SS_ST_mSU_SX_bEUlT_E_NS1_11comp_targetILNS1_3genE4ELNS1_11target_archE910ELNS1_3gpuE8ELNS1_3repE0EEENS1_30default_config_static_selectorELNS0_4arch9wavefront6targetE0EEEvSR_
; %bb.0:
	.section	.rodata,"a",@progbits
	.p2align	6, 0x0
	.amdhsa_kernel _ZN7rocprim17ROCPRIM_400000_NS6detail17trampoline_kernelINS0_14default_configENS1_27lower_bound_config_selectorIxN6thrust23THRUST_200600_302600_NS6detail10any_assignEEEZNS1_14transform_implILb0ES3_S9_NS7_15normal_iteratorINS6_10device_ptrIxEEEENS6_16discard_iteratorINS6_11use_defaultEEEZNS1_13binary_searchIS3_S9_SE_SE_SH_NS1_21lower_bound_search_opENS7_16wrapped_functionINS0_4lessIvEEbEEEE10hipError_tPvRmT1_T2_T3_mmT4_T5_P12ihipStream_tbEUlRKxE_EESO_SS_ST_mSU_SX_bEUlT_E_NS1_11comp_targetILNS1_3genE4ELNS1_11target_archE910ELNS1_3gpuE8ELNS1_3repE0EEENS1_30default_config_static_selectorELNS0_4arch9wavefront6targetE0EEEvSR_
		.amdhsa_group_segment_fixed_size 0
		.amdhsa_private_segment_fixed_size 0
		.amdhsa_kernarg_size 64
		.amdhsa_user_sgpr_count 15
		.amdhsa_user_sgpr_dispatch_ptr 0
		.amdhsa_user_sgpr_queue_ptr 0
		.amdhsa_user_sgpr_kernarg_segment_ptr 1
		.amdhsa_user_sgpr_dispatch_id 0
		.amdhsa_user_sgpr_private_segment_size 0
		.amdhsa_wavefront_size32 1
		.amdhsa_uses_dynamic_stack 0
		.amdhsa_enable_private_segment 0
		.amdhsa_system_sgpr_workgroup_id_x 1
		.amdhsa_system_sgpr_workgroup_id_y 0
		.amdhsa_system_sgpr_workgroup_id_z 0
		.amdhsa_system_sgpr_workgroup_info 0
		.amdhsa_system_vgpr_workitem_id 0
		.amdhsa_next_free_vgpr 1
		.amdhsa_next_free_sgpr 1
		.amdhsa_reserve_vcc 0
		.amdhsa_float_round_mode_32 0
		.amdhsa_float_round_mode_16_64 0
		.amdhsa_float_denorm_mode_32 3
		.amdhsa_float_denorm_mode_16_64 3
		.amdhsa_dx10_clamp 1
		.amdhsa_ieee_mode 1
		.amdhsa_fp16_overflow 0
		.amdhsa_workgroup_processor_mode 1
		.amdhsa_memory_ordered 1
		.amdhsa_forward_progress 0
		.amdhsa_shared_vgpr_count 0
		.amdhsa_exception_fp_ieee_invalid_op 0
		.amdhsa_exception_fp_denorm_src 0
		.amdhsa_exception_fp_ieee_div_zero 0
		.amdhsa_exception_fp_ieee_overflow 0
		.amdhsa_exception_fp_ieee_underflow 0
		.amdhsa_exception_fp_ieee_inexact 0
		.amdhsa_exception_int_div_zero 0
	.end_amdhsa_kernel
	.section	.text._ZN7rocprim17ROCPRIM_400000_NS6detail17trampoline_kernelINS0_14default_configENS1_27lower_bound_config_selectorIxN6thrust23THRUST_200600_302600_NS6detail10any_assignEEEZNS1_14transform_implILb0ES3_S9_NS7_15normal_iteratorINS6_10device_ptrIxEEEENS6_16discard_iteratorINS6_11use_defaultEEEZNS1_13binary_searchIS3_S9_SE_SE_SH_NS1_21lower_bound_search_opENS7_16wrapped_functionINS0_4lessIvEEbEEEE10hipError_tPvRmT1_T2_T3_mmT4_T5_P12ihipStream_tbEUlRKxE_EESO_SS_ST_mSU_SX_bEUlT_E_NS1_11comp_targetILNS1_3genE4ELNS1_11target_archE910ELNS1_3gpuE8ELNS1_3repE0EEENS1_30default_config_static_selectorELNS0_4arch9wavefront6targetE0EEEvSR_,"axG",@progbits,_ZN7rocprim17ROCPRIM_400000_NS6detail17trampoline_kernelINS0_14default_configENS1_27lower_bound_config_selectorIxN6thrust23THRUST_200600_302600_NS6detail10any_assignEEEZNS1_14transform_implILb0ES3_S9_NS7_15normal_iteratorINS6_10device_ptrIxEEEENS6_16discard_iteratorINS6_11use_defaultEEEZNS1_13binary_searchIS3_S9_SE_SE_SH_NS1_21lower_bound_search_opENS7_16wrapped_functionINS0_4lessIvEEbEEEE10hipError_tPvRmT1_T2_T3_mmT4_T5_P12ihipStream_tbEUlRKxE_EESO_SS_ST_mSU_SX_bEUlT_E_NS1_11comp_targetILNS1_3genE4ELNS1_11target_archE910ELNS1_3gpuE8ELNS1_3repE0EEENS1_30default_config_static_selectorELNS0_4arch9wavefront6targetE0EEEvSR_,comdat
.Lfunc_end548:
	.size	_ZN7rocprim17ROCPRIM_400000_NS6detail17trampoline_kernelINS0_14default_configENS1_27lower_bound_config_selectorIxN6thrust23THRUST_200600_302600_NS6detail10any_assignEEEZNS1_14transform_implILb0ES3_S9_NS7_15normal_iteratorINS6_10device_ptrIxEEEENS6_16discard_iteratorINS6_11use_defaultEEEZNS1_13binary_searchIS3_S9_SE_SE_SH_NS1_21lower_bound_search_opENS7_16wrapped_functionINS0_4lessIvEEbEEEE10hipError_tPvRmT1_T2_T3_mmT4_T5_P12ihipStream_tbEUlRKxE_EESO_SS_ST_mSU_SX_bEUlT_E_NS1_11comp_targetILNS1_3genE4ELNS1_11target_archE910ELNS1_3gpuE8ELNS1_3repE0EEENS1_30default_config_static_selectorELNS0_4arch9wavefront6targetE0EEEvSR_, .Lfunc_end548-_ZN7rocprim17ROCPRIM_400000_NS6detail17trampoline_kernelINS0_14default_configENS1_27lower_bound_config_selectorIxN6thrust23THRUST_200600_302600_NS6detail10any_assignEEEZNS1_14transform_implILb0ES3_S9_NS7_15normal_iteratorINS6_10device_ptrIxEEEENS6_16discard_iteratorINS6_11use_defaultEEEZNS1_13binary_searchIS3_S9_SE_SE_SH_NS1_21lower_bound_search_opENS7_16wrapped_functionINS0_4lessIvEEbEEEE10hipError_tPvRmT1_T2_T3_mmT4_T5_P12ihipStream_tbEUlRKxE_EESO_SS_ST_mSU_SX_bEUlT_E_NS1_11comp_targetILNS1_3genE4ELNS1_11target_archE910ELNS1_3gpuE8ELNS1_3repE0EEENS1_30default_config_static_selectorELNS0_4arch9wavefront6targetE0EEEvSR_
                                        ; -- End function
	.section	.AMDGPU.csdata,"",@progbits
; Kernel info:
; codeLenInByte = 0
; NumSgprs: 0
; NumVgprs: 0
; ScratchSize: 0
; MemoryBound: 0
; FloatMode: 240
; IeeeMode: 1
; LDSByteSize: 0 bytes/workgroup (compile time only)
; SGPRBlocks: 0
; VGPRBlocks: 0
; NumSGPRsForWavesPerEU: 1
; NumVGPRsForWavesPerEU: 1
; Occupancy: 16
; WaveLimiterHint : 0
; COMPUTE_PGM_RSRC2:SCRATCH_EN: 0
; COMPUTE_PGM_RSRC2:USER_SGPR: 15
; COMPUTE_PGM_RSRC2:TRAP_HANDLER: 0
; COMPUTE_PGM_RSRC2:TGID_X_EN: 1
; COMPUTE_PGM_RSRC2:TGID_Y_EN: 0
; COMPUTE_PGM_RSRC2:TGID_Z_EN: 0
; COMPUTE_PGM_RSRC2:TIDIG_COMP_CNT: 0
	.section	.text._ZN7rocprim17ROCPRIM_400000_NS6detail17trampoline_kernelINS0_14default_configENS1_27lower_bound_config_selectorIxN6thrust23THRUST_200600_302600_NS6detail10any_assignEEEZNS1_14transform_implILb0ES3_S9_NS7_15normal_iteratorINS6_10device_ptrIxEEEENS6_16discard_iteratorINS6_11use_defaultEEEZNS1_13binary_searchIS3_S9_SE_SE_SH_NS1_21lower_bound_search_opENS7_16wrapped_functionINS0_4lessIvEEbEEEE10hipError_tPvRmT1_T2_T3_mmT4_T5_P12ihipStream_tbEUlRKxE_EESO_SS_ST_mSU_SX_bEUlT_E_NS1_11comp_targetILNS1_3genE3ELNS1_11target_archE908ELNS1_3gpuE7ELNS1_3repE0EEENS1_30default_config_static_selectorELNS0_4arch9wavefront6targetE0EEEvSR_,"axG",@progbits,_ZN7rocprim17ROCPRIM_400000_NS6detail17trampoline_kernelINS0_14default_configENS1_27lower_bound_config_selectorIxN6thrust23THRUST_200600_302600_NS6detail10any_assignEEEZNS1_14transform_implILb0ES3_S9_NS7_15normal_iteratorINS6_10device_ptrIxEEEENS6_16discard_iteratorINS6_11use_defaultEEEZNS1_13binary_searchIS3_S9_SE_SE_SH_NS1_21lower_bound_search_opENS7_16wrapped_functionINS0_4lessIvEEbEEEE10hipError_tPvRmT1_T2_T3_mmT4_T5_P12ihipStream_tbEUlRKxE_EESO_SS_ST_mSU_SX_bEUlT_E_NS1_11comp_targetILNS1_3genE3ELNS1_11target_archE908ELNS1_3gpuE7ELNS1_3repE0EEENS1_30default_config_static_selectorELNS0_4arch9wavefront6targetE0EEEvSR_,comdat
	.protected	_ZN7rocprim17ROCPRIM_400000_NS6detail17trampoline_kernelINS0_14default_configENS1_27lower_bound_config_selectorIxN6thrust23THRUST_200600_302600_NS6detail10any_assignEEEZNS1_14transform_implILb0ES3_S9_NS7_15normal_iteratorINS6_10device_ptrIxEEEENS6_16discard_iteratorINS6_11use_defaultEEEZNS1_13binary_searchIS3_S9_SE_SE_SH_NS1_21lower_bound_search_opENS7_16wrapped_functionINS0_4lessIvEEbEEEE10hipError_tPvRmT1_T2_T3_mmT4_T5_P12ihipStream_tbEUlRKxE_EESO_SS_ST_mSU_SX_bEUlT_E_NS1_11comp_targetILNS1_3genE3ELNS1_11target_archE908ELNS1_3gpuE7ELNS1_3repE0EEENS1_30default_config_static_selectorELNS0_4arch9wavefront6targetE0EEEvSR_ ; -- Begin function _ZN7rocprim17ROCPRIM_400000_NS6detail17trampoline_kernelINS0_14default_configENS1_27lower_bound_config_selectorIxN6thrust23THRUST_200600_302600_NS6detail10any_assignEEEZNS1_14transform_implILb0ES3_S9_NS7_15normal_iteratorINS6_10device_ptrIxEEEENS6_16discard_iteratorINS6_11use_defaultEEEZNS1_13binary_searchIS3_S9_SE_SE_SH_NS1_21lower_bound_search_opENS7_16wrapped_functionINS0_4lessIvEEbEEEE10hipError_tPvRmT1_T2_T3_mmT4_T5_P12ihipStream_tbEUlRKxE_EESO_SS_ST_mSU_SX_bEUlT_E_NS1_11comp_targetILNS1_3genE3ELNS1_11target_archE908ELNS1_3gpuE7ELNS1_3repE0EEENS1_30default_config_static_selectorELNS0_4arch9wavefront6targetE0EEEvSR_
	.globl	_ZN7rocprim17ROCPRIM_400000_NS6detail17trampoline_kernelINS0_14default_configENS1_27lower_bound_config_selectorIxN6thrust23THRUST_200600_302600_NS6detail10any_assignEEEZNS1_14transform_implILb0ES3_S9_NS7_15normal_iteratorINS6_10device_ptrIxEEEENS6_16discard_iteratorINS6_11use_defaultEEEZNS1_13binary_searchIS3_S9_SE_SE_SH_NS1_21lower_bound_search_opENS7_16wrapped_functionINS0_4lessIvEEbEEEE10hipError_tPvRmT1_T2_T3_mmT4_T5_P12ihipStream_tbEUlRKxE_EESO_SS_ST_mSU_SX_bEUlT_E_NS1_11comp_targetILNS1_3genE3ELNS1_11target_archE908ELNS1_3gpuE7ELNS1_3repE0EEENS1_30default_config_static_selectorELNS0_4arch9wavefront6targetE0EEEvSR_
	.p2align	8
	.type	_ZN7rocprim17ROCPRIM_400000_NS6detail17trampoline_kernelINS0_14default_configENS1_27lower_bound_config_selectorIxN6thrust23THRUST_200600_302600_NS6detail10any_assignEEEZNS1_14transform_implILb0ES3_S9_NS7_15normal_iteratorINS6_10device_ptrIxEEEENS6_16discard_iteratorINS6_11use_defaultEEEZNS1_13binary_searchIS3_S9_SE_SE_SH_NS1_21lower_bound_search_opENS7_16wrapped_functionINS0_4lessIvEEbEEEE10hipError_tPvRmT1_T2_T3_mmT4_T5_P12ihipStream_tbEUlRKxE_EESO_SS_ST_mSU_SX_bEUlT_E_NS1_11comp_targetILNS1_3genE3ELNS1_11target_archE908ELNS1_3gpuE7ELNS1_3repE0EEENS1_30default_config_static_selectorELNS0_4arch9wavefront6targetE0EEEvSR_,@function
_ZN7rocprim17ROCPRIM_400000_NS6detail17trampoline_kernelINS0_14default_configENS1_27lower_bound_config_selectorIxN6thrust23THRUST_200600_302600_NS6detail10any_assignEEEZNS1_14transform_implILb0ES3_S9_NS7_15normal_iteratorINS6_10device_ptrIxEEEENS6_16discard_iteratorINS6_11use_defaultEEEZNS1_13binary_searchIS3_S9_SE_SE_SH_NS1_21lower_bound_search_opENS7_16wrapped_functionINS0_4lessIvEEbEEEE10hipError_tPvRmT1_T2_T3_mmT4_T5_P12ihipStream_tbEUlRKxE_EESO_SS_ST_mSU_SX_bEUlT_E_NS1_11comp_targetILNS1_3genE3ELNS1_11target_archE908ELNS1_3gpuE7ELNS1_3repE0EEENS1_30default_config_static_selectorELNS0_4arch9wavefront6targetE0EEEvSR_: ; @_ZN7rocprim17ROCPRIM_400000_NS6detail17trampoline_kernelINS0_14default_configENS1_27lower_bound_config_selectorIxN6thrust23THRUST_200600_302600_NS6detail10any_assignEEEZNS1_14transform_implILb0ES3_S9_NS7_15normal_iteratorINS6_10device_ptrIxEEEENS6_16discard_iteratorINS6_11use_defaultEEEZNS1_13binary_searchIS3_S9_SE_SE_SH_NS1_21lower_bound_search_opENS7_16wrapped_functionINS0_4lessIvEEbEEEE10hipError_tPvRmT1_T2_T3_mmT4_T5_P12ihipStream_tbEUlRKxE_EESO_SS_ST_mSU_SX_bEUlT_E_NS1_11comp_targetILNS1_3genE3ELNS1_11target_archE908ELNS1_3gpuE7ELNS1_3repE0EEENS1_30default_config_static_selectorELNS0_4arch9wavefront6targetE0EEEvSR_
; %bb.0:
	.section	.rodata,"a",@progbits
	.p2align	6, 0x0
	.amdhsa_kernel _ZN7rocprim17ROCPRIM_400000_NS6detail17trampoline_kernelINS0_14default_configENS1_27lower_bound_config_selectorIxN6thrust23THRUST_200600_302600_NS6detail10any_assignEEEZNS1_14transform_implILb0ES3_S9_NS7_15normal_iteratorINS6_10device_ptrIxEEEENS6_16discard_iteratorINS6_11use_defaultEEEZNS1_13binary_searchIS3_S9_SE_SE_SH_NS1_21lower_bound_search_opENS7_16wrapped_functionINS0_4lessIvEEbEEEE10hipError_tPvRmT1_T2_T3_mmT4_T5_P12ihipStream_tbEUlRKxE_EESO_SS_ST_mSU_SX_bEUlT_E_NS1_11comp_targetILNS1_3genE3ELNS1_11target_archE908ELNS1_3gpuE7ELNS1_3repE0EEENS1_30default_config_static_selectorELNS0_4arch9wavefront6targetE0EEEvSR_
		.amdhsa_group_segment_fixed_size 0
		.amdhsa_private_segment_fixed_size 0
		.amdhsa_kernarg_size 64
		.amdhsa_user_sgpr_count 15
		.amdhsa_user_sgpr_dispatch_ptr 0
		.amdhsa_user_sgpr_queue_ptr 0
		.amdhsa_user_sgpr_kernarg_segment_ptr 1
		.amdhsa_user_sgpr_dispatch_id 0
		.amdhsa_user_sgpr_private_segment_size 0
		.amdhsa_wavefront_size32 1
		.amdhsa_uses_dynamic_stack 0
		.amdhsa_enable_private_segment 0
		.amdhsa_system_sgpr_workgroup_id_x 1
		.amdhsa_system_sgpr_workgroup_id_y 0
		.amdhsa_system_sgpr_workgroup_id_z 0
		.amdhsa_system_sgpr_workgroup_info 0
		.amdhsa_system_vgpr_workitem_id 0
		.amdhsa_next_free_vgpr 1
		.amdhsa_next_free_sgpr 1
		.amdhsa_reserve_vcc 0
		.amdhsa_float_round_mode_32 0
		.amdhsa_float_round_mode_16_64 0
		.amdhsa_float_denorm_mode_32 3
		.amdhsa_float_denorm_mode_16_64 3
		.amdhsa_dx10_clamp 1
		.amdhsa_ieee_mode 1
		.amdhsa_fp16_overflow 0
		.amdhsa_workgroup_processor_mode 1
		.amdhsa_memory_ordered 1
		.amdhsa_forward_progress 0
		.amdhsa_shared_vgpr_count 0
		.amdhsa_exception_fp_ieee_invalid_op 0
		.amdhsa_exception_fp_denorm_src 0
		.amdhsa_exception_fp_ieee_div_zero 0
		.amdhsa_exception_fp_ieee_overflow 0
		.amdhsa_exception_fp_ieee_underflow 0
		.amdhsa_exception_fp_ieee_inexact 0
		.amdhsa_exception_int_div_zero 0
	.end_amdhsa_kernel
	.section	.text._ZN7rocprim17ROCPRIM_400000_NS6detail17trampoline_kernelINS0_14default_configENS1_27lower_bound_config_selectorIxN6thrust23THRUST_200600_302600_NS6detail10any_assignEEEZNS1_14transform_implILb0ES3_S9_NS7_15normal_iteratorINS6_10device_ptrIxEEEENS6_16discard_iteratorINS6_11use_defaultEEEZNS1_13binary_searchIS3_S9_SE_SE_SH_NS1_21lower_bound_search_opENS7_16wrapped_functionINS0_4lessIvEEbEEEE10hipError_tPvRmT1_T2_T3_mmT4_T5_P12ihipStream_tbEUlRKxE_EESO_SS_ST_mSU_SX_bEUlT_E_NS1_11comp_targetILNS1_3genE3ELNS1_11target_archE908ELNS1_3gpuE7ELNS1_3repE0EEENS1_30default_config_static_selectorELNS0_4arch9wavefront6targetE0EEEvSR_,"axG",@progbits,_ZN7rocprim17ROCPRIM_400000_NS6detail17trampoline_kernelINS0_14default_configENS1_27lower_bound_config_selectorIxN6thrust23THRUST_200600_302600_NS6detail10any_assignEEEZNS1_14transform_implILb0ES3_S9_NS7_15normal_iteratorINS6_10device_ptrIxEEEENS6_16discard_iteratorINS6_11use_defaultEEEZNS1_13binary_searchIS3_S9_SE_SE_SH_NS1_21lower_bound_search_opENS7_16wrapped_functionINS0_4lessIvEEbEEEE10hipError_tPvRmT1_T2_T3_mmT4_T5_P12ihipStream_tbEUlRKxE_EESO_SS_ST_mSU_SX_bEUlT_E_NS1_11comp_targetILNS1_3genE3ELNS1_11target_archE908ELNS1_3gpuE7ELNS1_3repE0EEENS1_30default_config_static_selectorELNS0_4arch9wavefront6targetE0EEEvSR_,comdat
.Lfunc_end549:
	.size	_ZN7rocprim17ROCPRIM_400000_NS6detail17trampoline_kernelINS0_14default_configENS1_27lower_bound_config_selectorIxN6thrust23THRUST_200600_302600_NS6detail10any_assignEEEZNS1_14transform_implILb0ES3_S9_NS7_15normal_iteratorINS6_10device_ptrIxEEEENS6_16discard_iteratorINS6_11use_defaultEEEZNS1_13binary_searchIS3_S9_SE_SE_SH_NS1_21lower_bound_search_opENS7_16wrapped_functionINS0_4lessIvEEbEEEE10hipError_tPvRmT1_T2_T3_mmT4_T5_P12ihipStream_tbEUlRKxE_EESO_SS_ST_mSU_SX_bEUlT_E_NS1_11comp_targetILNS1_3genE3ELNS1_11target_archE908ELNS1_3gpuE7ELNS1_3repE0EEENS1_30default_config_static_selectorELNS0_4arch9wavefront6targetE0EEEvSR_, .Lfunc_end549-_ZN7rocprim17ROCPRIM_400000_NS6detail17trampoline_kernelINS0_14default_configENS1_27lower_bound_config_selectorIxN6thrust23THRUST_200600_302600_NS6detail10any_assignEEEZNS1_14transform_implILb0ES3_S9_NS7_15normal_iteratorINS6_10device_ptrIxEEEENS6_16discard_iteratorINS6_11use_defaultEEEZNS1_13binary_searchIS3_S9_SE_SE_SH_NS1_21lower_bound_search_opENS7_16wrapped_functionINS0_4lessIvEEbEEEE10hipError_tPvRmT1_T2_T3_mmT4_T5_P12ihipStream_tbEUlRKxE_EESO_SS_ST_mSU_SX_bEUlT_E_NS1_11comp_targetILNS1_3genE3ELNS1_11target_archE908ELNS1_3gpuE7ELNS1_3repE0EEENS1_30default_config_static_selectorELNS0_4arch9wavefront6targetE0EEEvSR_
                                        ; -- End function
	.section	.AMDGPU.csdata,"",@progbits
; Kernel info:
; codeLenInByte = 0
; NumSgprs: 0
; NumVgprs: 0
; ScratchSize: 0
; MemoryBound: 0
; FloatMode: 240
; IeeeMode: 1
; LDSByteSize: 0 bytes/workgroup (compile time only)
; SGPRBlocks: 0
; VGPRBlocks: 0
; NumSGPRsForWavesPerEU: 1
; NumVGPRsForWavesPerEU: 1
; Occupancy: 16
; WaveLimiterHint : 0
; COMPUTE_PGM_RSRC2:SCRATCH_EN: 0
; COMPUTE_PGM_RSRC2:USER_SGPR: 15
; COMPUTE_PGM_RSRC2:TRAP_HANDLER: 0
; COMPUTE_PGM_RSRC2:TGID_X_EN: 1
; COMPUTE_PGM_RSRC2:TGID_Y_EN: 0
; COMPUTE_PGM_RSRC2:TGID_Z_EN: 0
; COMPUTE_PGM_RSRC2:TIDIG_COMP_CNT: 0
	.section	.text._ZN7rocprim17ROCPRIM_400000_NS6detail17trampoline_kernelINS0_14default_configENS1_27lower_bound_config_selectorIxN6thrust23THRUST_200600_302600_NS6detail10any_assignEEEZNS1_14transform_implILb0ES3_S9_NS7_15normal_iteratorINS6_10device_ptrIxEEEENS6_16discard_iteratorINS6_11use_defaultEEEZNS1_13binary_searchIS3_S9_SE_SE_SH_NS1_21lower_bound_search_opENS7_16wrapped_functionINS0_4lessIvEEbEEEE10hipError_tPvRmT1_T2_T3_mmT4_T5_P12ihipStream_tbEUlRKxE_EESO_SS_ST_mSU_SX_bEUlT_E_NS1_11comp_targetILNS1_3genE2ELNS1_11target_archE906ELNS1_3gpuE6ELNS1_3repE0EEENS1_30default_config_static_selectorELNS0_4arch9wavefront6targetE0EEEvSR_,"axG",@progbits,_ZN7rocprim17ROCPRIM_400000_NS6detail17trampoline_kernelINS0_14default_configENS1_27lower_bound_config_selectorIxN6thrust23THRUST_200600_302600_NS6detail10any_assignEEEZNS1_14transform_implILb0ES3_S9_NS7_15normal_iteratorINS6_10device_ptrIxEEEENS6_16discard_iteratorINS6_11use_defaultEEEZNS1_13binary_searchIS3_S9_SE_SE_SH_NS1_21lower_bound_search_opENS7_16wrapped_functionINS0_4lessIvEEbEEEE10hipError_tPvRmT1_T2_T3_mmT4_T5_P12ihipStream_tbEUlRKxE_EESO_SS_ST_mSU_SX_bEUlT_E_NS1_11comp_targetILNS1_3genE2ELNS1_11target_archE906ELNS1_3gpuE6ELNS1_3repE0EEENS1_30default_config_static_selectorELNS0_4arch9wavefront6targetE0EEEvSR_,comdat
	.protected	_ZN7rocprim17ROCPRIM_400000_NS6detail17trampoline_kernelINS0_14default_configENS1_27lower_bound_config_selectorIxN6thrust23THRUST_200600_302600_NS6detail10any_assignEEEZNS1_14transform_implILb0ES3_S9_NS7_15normal_iteratorINS6_10device_ptrIxEEEENS6_16discard_iteratorINS6_11use_defaultEEEZNS1_13binary_searchIS3_S9_SE_SE_SH_NS1_21lower_bound_search_opENS7_16wrapped_functionINS0_4lessIvEEbEEEE10hipError_tPvRmT1_T2_T3_mmT4_T5_P12ihipStream_tbEUlRKxE_EESO_SS_ST_mSU_SX_bEUlT_E_NS1_11comp_targetILNS1_3genE2ELNS1_11target_archE906ELNS1_3gpuE6ELNS1_3repE0EEENS1_30default_config_static_selectorELNS0_4arch9wavefront6targetE0EEEvSR_ ; -- Begin function _ZN7rocprim17ROCPRIM_400000_NS6detail17trampoline_kernelINS0_14default_configENS1_27lower_bound_config_selectorIxN6thrust23THRUST_200600_302600_NS6detail10any_assignEEEZNS1_14transform_implILb0ES3_S9_NS7_15normal_iteratorINS6_10device_ptrIxEEEENS6_16discard_iteratorINS6_11use_defaultEEEZNS1_13binary_searchIS3_S9_SE_SE_SH_NS1_21lower_bound_search_opENS7_16wrapped_functionINS0_4lessIvEEbEEEE10hipError_tPvRmT1_T2_T3_mmT4_T5_P12ihipStream_tbEUlRKxE_EESO_SS_ST_mSU_SX_bEUlT_E_NS1_11comp_targetILNS1_3genE2ELNS1_11target_archE906ELNS1_3gpuE6ELNS1_3repE0EEENS1_30default_config_static_selectorELNS0_4arch9wavefront6targetE0EEEvSR_
	.globl	_ZN7rocprim17ROCPRIM_400000_NS6detail17trampoline_kernelINS0_14default_configENS1_27lower_bound_config_selectorIxN6thrust23THRUST_200600_302600_NS6detail10any_assignEEEZNS1_14transform_implILb0ES3_S9_NS7_15normal_iteratorINS6_10device_ptrIxEEEENS6_16discard_iteratorINS6_11use_defaultEEEZNS1_13binary_searchIS3_S9_SE_SE_SH_NS1_21lower_bound_search_opENS7_16wrapped_functionINS0_4lessIvEEbEEEE10hipError_tPvRmT1_T2_T3_mmT4_T5_P12ihipStream_tbEUlRKxE_EESO_SS_ST_mSU_SX_bEUlT_E_NS1_11comp_targetILNS1_3genE2ELNS1_11target_archE906ELNS1_3gpuE6ELNS1_3repE0EEENS1_30default_config_static_selectorELNS0_4arch9wavefront6targetE0EEEvSR_
	.p2align	8
	.type	_ZN7rocprim17ROCPRIM_400000_NS6detail17trampoline_kernelINS0_14default_configENS1_27lower_bound_config_selectorIxN6thrust23THRUST_200600_302600_NS6detail10any_assignEEEZNS1_14transform_implILb0ES3_S9_NS7_15normal_iteratorINS6_10device_ptrIxEEEENS6_16discard_iteratorINS6_11use_defaultEEEZNS1_13binary_searchIS3_S9_SE_SE_SH_NS1_21lower_bound_search_opENS7_16wrapped_functionINS0_4lessIvEEbEEEE10hipError_tPvRmT1_T2_T3_mmT4_T5_P12ihipStream_tbEUlRKxE_EESO_SS_ST_mSU_SX_bEUlT_E_NS1_11comp_targetILNS1_3genE2ELNS1_11target_archE906ELNS1_3gpuE6ELNS1_3repE0EEENS1_30default_config_static_selectorELNS0_4arch9wavefront6targetE0EEEvSR_,@function
_ZN7rocprim17ROCPRIM_400000_NS6detail17trampoline_kernelINS0_14default_configENS1_27lower_bound_config_selectorIxN6thrust23THRUST_200600_302600_NS6detail10any_assignEEEZNS1_14transform_implILb0ES3_S9_NS7_15normal_iteratorINS6_10device_ptrIxEEEENS6_16discard_iteratorINS6_11use_defaultEEEZNS1_13binary_searchIS3_S9_SE_SE_SH_NS1_21lower_bound_search_opENS7_16wrapped_functionINS0_4lessIvEEbEEEE10hipError_tPvRmT1_T2_T3_mmT4_T5_P12ihipStream_tbEUlRKxE_EESO_SS_ST_mSU_SX_bEUlT_E_NS1_11comp_targetILNS1_3genE2ELNS1_11target_archE906ELNS1_3gpuE6ELNS1_3repE0EEENS1_30default_config_static_selectorELNS0_4arch9wavefront6targetE0EEEvSR_: ; @_ZN7rocprim17ROCPRIM_400000_NS6detail17trampoline_kernelINS0_14default_configENS1_27lower_bound_config_selectorIxN6thrust23THRUST_200600_302600_NS6detail10any_assignEEEZNS1_14transform_implILb0ES3_S9_NS7_15normal_iteratorINS6_10device_ptrIxEEEENS6_16discard_iteratorINS6_11use_defaultEEEZNS1_13binary_searchIS3_S9_SE_SE_SH_NS1_21lower_bound_search_opENS7_16wrapped_functionINS0_4lessIvEEbEEEE10hipError_tPvRmT1_T2_T3_mmT4_T5_P12ihipStream_tbEUlRKxE_EESO_SS_ST_mSU_SX_bEUlT_E_NS1_11comp_targetILNS1_3genE2ELNS1_11target_archE906ELNS1_3gpuE6ELNS1_3repE0EEENS1_30default_config_static_selectorELNS0_4arch9wavefront6targetE0EEEvSR_
; %bb.0:
	.section	.rodata,"a",@progbits
	.p2align	6, 0x0
	.amdhsa_kernel _ZN7rocprim17ROCPRIM_400000_NS6detail17trampoline_kernelINS0_14default_configENS1_27lower_bound_config_selectorIxN6thrust23THRUST_200600_302600_NS6detail10any_assignEEEZNS1_14transform_implILb0ES3_S9_NS7_15normal_iteratorINS6_10device_ptrIxEEEENS6_16discard_iteratorINS6_11use_defaultEEEZNS1_13binary_searchIS3_S9_SE_SE_SH_NS1_21lower_bound_search_opENS7_16wrapped_functionINS0_4lessIvEEbEEEE10hipError_tPvRmT1_T2_T3_mmT4_T5_P12ihipStream_tbEUlRKxE_EESO_SS_ST_mSU_SX_bEUlT_E_NS1_11comp_targetILNS1_3genE2ELNS1_11target_archE906ELNS1_3gpuE6ELNS1_3repE0EEENS1_30default_config_static_selectorELNS0_4arch9wavefront6targetE0EEEvSR_
		.amdhsa_group_segment_fixed_size 0
		.amdhsa_private_segment_fixed_size 0
		.amdhsa_kernarg_size 64
		.amdhsa_user_sgpr_count 15
		.amdhsa_user_sgpr_dispatch_ptr 0
		.amdhsa_user_sgpr_queue_ptr 0
		.amdhsa_user_sgpr_kernarg_segment_ptr 1
		.amdhsa_user_sgpr_dispatch_id 0
		.amdhsa_user_sgpr_private_segment_size 0
		.amdhsa_wavefront_size32 1
		.amdhsa_uses_dynamic_stack 0
		.amdhsa_enable_private_segment 0
		.amdhsa_system_sgpr_workgroup_id_x 1
		.amdhsa_system_sgpr_workgroup_id_y 0
		.amdhsa_system_sgpr_workgroup_id_z 0
		.amdhsa_system_sgpr_workgroup_info 0
		.amdhsa_system_vgpr_workitem_id 0
		.amdhsa_next_free_vgpr 1
		.amdhsa_next_free_sgpr 1
		.amdhsa_reserve_vcc 0
		.amdhsa_float_round_mode_32 0
		.amdhsa_float_round_mode_16_64 0
		.amdhsa_float_denorm_mode_32 3
		.amdhsa_float_denorm_mode_16_64 3
		.amdhsa_dx10_clamp 1
		.amdhsa_ieee_mode 1
		.amdhsa_fp16_overflow 0
		.amdhsa_workgroup_processor_mode 1
		.amdhsa_memory_ordered 1
		.amdhsa_forward_progress 0
		.amdhsa_shared_vgpr_count 0
		.amdhsa_exception_fp_ieee_invalid_op 0
		.amdhsa_exception_fp_denorm_src 0
		.amdhsa_exception_fp_ieee_div_zero 0
		.amdhsa_exception_fp_ieee_overflow 0
		.amdhsa_exception_fp_ieee_underflow 0
		.amdhsa_exception_fp_ieee_inexact 0
		.amdhsa_exception_int_div_zero 0
	.end_amdhsa_kernel
	.section	.text._ZN7rocprim17ROCPRIM_400000_NS6detail17trampoline_kernelINS0_14default_configENS1_27lower_bound_config_selectorIxN6thrust23THRUST_200600_302600_NS6detail10any_assignEEEZNS1_14transform_implILb0ES3_S9_NS7_15normal_iteratorINS6_10device_ptrIxEEEENS6_16discard_iteratorINS6_11use_defaultEEEZNS1_13binary_searchIS3_S9_SE_SE_SH_NS1_21lower_bound_search_opENS7_16wrapped_functionINS0_4lessIvEEbEEEE10hipError_tPvRmT1_T2_T3_mmT4_T5_P12ihipStream_tbEUlRKxE_EESO_SS_ST_mSU_SX_bEUlT_E_NS1_11comp_targetILNS1_3genE2ELNS1_11target_archE906ELNS1_3gpuE6ELNS1_3repE0EEENS1_30default_config_static_selectorELNS0_4arch9wavefront6targetE0EEEvSR_,"axG",@progbits,_ZN7rocprim17ROCPRIM_400000_NS6detail17trampoline_kernelINS0_14default_configENS1_27lower_bound_config_selectorIxN6thrust23THRUST_200600_302600_NS6detail10any_assignEEEZNS1_14transform_implILb0ES3_S9_NS7_15normal_iteratorINS6_10device_ptrIxEEEENS6_16discard_iteratorINS6_11use_defaultEEEZNS1_13binary_searchIS3_S9_SE_SE_SH_NS1_21lower_bound_search_opENS7_16wrapped_functionINS0_4lessIvEEbEEEE10hipError_tPvRmT1_T2_T3_mmT4_T5_P12ihipStream_tbEUlRKxE_EESO_SS_ST_mSU_SX_bEUlT_E_NS1_11comp_targetILNS1_3genE2ELNS1_11target_archE906ELNS1_3gpuE6ELNS1_3repE0EEENS1_30default_config_static_selectorELNS0_4arch9wavefront6targetE0EEEvSR_,comdat
.Lfunc_end550:
	.size	_ZN7rocprim17ROCPRIM_400000_NS6detail17trampoline_kernelINS0_14default_configENS1_27lower_bound_config_selectorIxN6thrust23THRUST_200600_302600_NS6detail10any_assignEEEZNS1_14transform_implILb0ES3_S9_NS7_15normal_iteratorINS6_10device_ptrIxEEEENS6_16discard_iteratorINS6_11use_defaultEEEZNS1_13binary_searchIS3_S9_SE_SE_SH_NS1_21lower_bound_search_opENS7_16wrapped_functionINS0_4lessIvEEbEEEE10hipError_tPvRmT1_T2_T3_mmT4_T5_P12ihipStream_tbEUlRKxE_EESO_SS_ST_mSU_SX_bEUlT_E_NS1_11comp_targetILNS1_3genE2ELNS1_11target_archE906ELNS1_3gpuE6ELNS1_3repE0EEENS1_30default_config_static_selectorELNS0_4arch9wavefront6targetE0EEEvSR_, .Lfunc_end550-_ZN7rocprim17ROCPRIM_400000_NS6detail17trampoline_kernelINS0_14default_configENS1_27lower_bound_config_selectorIxN6thrust23THRUST_200600_302600_NS6detail10any_assignEEEZNS1_14transform_implILb0ES3_S9_NS7_15normal_iteratorINS6_10device_ptrIxEEEENS6_16discard_iteratorINS6_11use_defaultEEEZNS1_13binary_searchIS3_S9_SE_SE_SH_NS1_21lower_bound_search_opENS7_16wrapped_functionINS0_4lessIvEEbEEEE10hipError_tPvRmT1_T2_T3_mmT4_T5_P12ihipStream_tbEUlRKxE_EESO_SS_ST_mSU_SX_bEUlT_E_NS1_11comp_targetILNS1_3genE2ELNS1_11target_archE906ELNS1_3gpuE6ELNS1_3repE0EEENS1_30default_config_static_selectorELNS0_4arch9wavefront6targetE0EEEvSR_
                                        ; -- End function
	.section	.AMDGPU.csdata,"",@progbits
; Kernel info:
; codeLenInByte = 0
; NumSgprs: 0
; NumVgprs: 0
; ScratchSize: 0
; MemoryBound: 0
; FloatMode: 240
; IeeeMode: 1
; LDSByteSize: 0 bytes/workgroup (compile time only)
; SGPRBlocks: 0
; VGPRBlocks: 0
; NumSGPRsForWavesPerEU: 1
; NumVGPRsForWavesPerEU: 1
; Occupancy: 16
; WaveLimiterHint : 0
; COMPUTE_PGM_RSRC2:SCRATCH_EN: 0
; COMPUTE_PGM_RSRC2:USER_SGPR: 15
; COMPUTE_PGM_RSRC2:TRAP_HANDLER: 0
; COMPUTE_PGM_RSRC2:TGID_X_EN: 1
; COMPUTE_PGM_RSRC2:TGID_Y_EN: 0
; COMPUTE_PGM_RSRC2:TGID_Z_EN: 0
; COMPUTE_PGM_RSRC2:TIDIG_COMP_CNT: 0
	.section	.text._ZN7rocprim17ROCPRIM_400000_NS6detail17trampoline_kernelINS0_14default_configENS1_27lower_bound_config_selectorIxN6thrust23THRUST_200600_302600_NS6detail10any_assignEEEZNS1_14transform_implILb0ES3_S9_NS7_15normal_iteratorINS6_10device_ptrIxEEEENS6_16discard_iteratorINS6_11use_defaultEEEZNS1_13binary_searchIS3_S9_SE_SE_SH_NS1_21lower_bound_search_opENS7_16wrapped_functionINS0_4lessIvEEbEEEE10hipError_tPvRmT1_T2_T3_mmT4_T5_P12ihipStream_tbEUlRKxE_EESO_SS_ST_mSU_SX_bEUlT_E_NS1_11comp_targetILNS1_3genE10ELNS1_11target_archE1201ELNS1_3gpuE5ELNS1_3repE0EEENS1_30default_config_static_selectorELNS0_4arch9wavefront6targetE0EEEvSR_,"axG",@progbits,_ZN7rocprim17ROCPRIM_400000_NS6detail17trampoline_kernelINS0_14default_configENS1_27lower_bound_config_selectorIxN6thrust23THRUST_200600_302600_NS6detail10any_assignEEEZNS1_14transform_implILb0ES3_S9_NS7_15normal_iteratorINS6_10device_ptrIxEEEENS6_16discard_iteratorINS6_11use_defaultEEEZNS1_13binary_searchIS3_S9_SE_SE_SH_NS1_21lower_bound_search_opENS7_16wrapped_functionINS0_4lessIvEEbEEEE10hipError_tPvRmT1_T2_T3_mmT4_T5_P12ihipStream_tbEUlRKxE_EESO_SS_ST_mSU_SX_bEUlT_E_NS1_11comp_targetILNS1_3genE10ELNS1_11target_archE1201ELNS1_3gpuE5ELNS1_3repE0EEENS1_30default_config_static_selectorELNS0_4arch9wavefront6targetE0EEEvSR_,comdat
	.protected	_ZN7rocprim17ROCPRIM_400000_NS6detail17trampoline_kernelINS0_14default_configENS1_27lower_bound_config_selectorIxN6thrust23THRUST_200600_302600_NS6detail10any_assignEEEZNS1_14transform_implILb0ES3_S9_NS7_15normal_iteratorINS6_10device_ptrIxEEEENS6_16discard_iteratorINS6_11use_defaultEEEZNS1_13binary_searchIS3_S9_SE_SE_SH_NS1_21lower_bound_search_opENS7_16wrapped_functionINS0_4lessIvEEbEEEE10hipError_tPvRmT1_T2_T3_mmT4_T5_P12ihipStream_tbEUlRKxE_EESO_SS_ST_mSU_SX_bEUlT_E_NS1_11comp_targetILNS1_3genE10ELNS1_11target_archE1201ELNS1_3gpuE5ELNS1_3repE0EEENS1_30default_config_static_selectorELNS0_4arch9wavefront6targetE0EEEvSR_ ; -- Begin function _ZN7rocprim17ROCPRIM_400000_NS6detail17trampoline_kernelINS0_14default_configENS1_27lower_bound_config_selectorIxN6thrust23THRUST_200600_302600_NS6detail10any_assignEEEZNS1_14transform_implILb0ES3_S9_NS7_15normal_iteratorINS6_10device_ptrIxEEEENS6_16discard_iteratorINS6_11use_defaultEEEZNS1_13binary_searchIS3_S9_SE_SE_SH_NS1_21lower_bound_search_opENS7_16wrapped_functionINS0_4lessIvEEbEEEE10hipError_tPvRmT1_T2_T3_mmT4_T5_P12ihipStream_tbEUlRKxE_EESO_SS_ST_mSU_SX_bEUlT_E_NS1_11comp_targetILNS1_3genE10ELNS1_11target_archE1201ELNS1_3gpuE5ELNS1_3repE0EEENS1_30default_config_static_selectorELNS0_4arch9wavefront6targetE0EEEvSR_
	.globl	_ZN7rocprim17ROCPRIM_400000_NS6detail17trampoline_kernelINS0_14default_configENS1_27lower_bound_config_selectorIxN6thrust23THRUST_200600_302600_NS6detail10any_assignEEEZNS1_14transform_implILb0ES3_S9_NS7_15normal_iteratorINS6_10device_ptrIxEEEENS6_16discard_iteratorINS6_11use_defaultEEEZNS1_13binary_searchIS3_S9_SE_SE_SH_NS1_21lower_bound_search_opENS7_16wrapped_functionINS0_4lessIvEEbEEEE10hipError_tPvRmT1_T2_T3_mmT4_T5_P12ihipStream_tbEUlRKxE_EESO_SS_ST_mSU_SX_bEUlT_E_NS1_11comp_targetILNS1_3genE10ELNS1_11target_archE1201ELNS1_3gpuE5ELNS1_3repE0EEENS1_30default_config_static_selectorELNS0_4arch9wavefront6targetE0EEEvSR_
	.p2align	8
	.type	_ZN7rocprim17ROCPRIM_400000_NS6detail17trampoline_kernelINS0_14default_configENS1_27lower_bound_config_selectorIxN6thrust23THRUST_200600_302600_NS6detail10any_assignEEEZNS1_14transform_implILb0ES3_S9_NS7_15normal_iteratorINS6_10device_ptrIxEEEENS6_16discard_iteratorINS6_11use_defaultEEEZNS1_13binary_searchIS3_S9_SE_SE_SH_NS1_21lower_bound_search_opENS7_16wrapped_functionINS0_4lessIvEEbEEEE10hipError_tPvRmT1_T2_T3_mmT4_T5_P12ihipStream_tbEUlRKxE_EESO_SS_ST_mSU_SX_bEUlT_E_NS1_11comp_targetILNS1_3genE10ELNS1_11target_archE1201ELNS1_3gpuE5ELNS1_3repE0EEENS1_30default_config_static_selectorELNS0_4arch9wavefront6targetE0EEEvSR_,@function
_ZN7rocprim17ROCPRIM_400000_NS6detail17trampoline_kernelINS0_14default_configENS1_27lower_bound_config_selectorIxN6thrust23THRUST_200600_302600_NS6detail10any_assignEEEZNS1_14transform_implILb0ES3_S9_NS7_15normal_iteratorINS6_10device_ptrIxEEEENS6_16discard_iteratorINS6_11use_defaultEEEZNS1_13binary_searchIS3_S9_SE_SE_SH_NS1_21lower_bound_search_opENS7_16wrapped_functionINS0_4lessIvEEbEEEE10hipError_tPvRmT1_T2_T3_mmT4_T5_P12ihipStream_tbEUlRKxE_EESO_SS_ST_mSU_SX_bEUlT_E_NS1_11comp_targetILNS1_3genE10ELNS1_11target_archE1201ELNS1_3gpuE5ELNS1_3repE0EEENS1_30default_config_static_selectorELNS0_4arch9wavefront6targetE0EEEvSR_: ; @_ZN7rocprim17ROCPRIM_400000_NS6detail17trampoline_kernelINS0_14default_configENS1_27lower_bound_config_selectorIxN6thrust23THRUST_200600_302600_NS6detail10any_assignEEEZNS1_14transform_implILb0ES3_S9_NS7_15normal_iteratorINS6_10device_ptrIxEEEENS6_16discard_iteratorINS6_11use_defaultEEEZNS1_13binary_searchIS3_S9_SE_SE_SH_NS1_21lower_bound_search_opENS7_16wrapped_functionINS0_4lessIvEEbEEEE10hipError_tPvRmT1_T2_T3_mmT4_T5_P12ihipStream_tbEUlRKxE_EESO_SS_ST_mSU_SX_bEUlT_E_NS1_11comp_targetILNS1_3genE10ELNS1_11target_archE1201ELNS1_3gpuE5ELNS1_3repE0EEENS1_30default_config_static_selectorELNS0_4arch9wavefront6targetE0EEEvSR_
; %bb.0:
	.section	.rodata,"a",@progbits
	.p2align	6, 0x0
	.amdhsa_kernel _ZN7rocprim17ROCPRIM_400000_NS6detail17trampoline_kernelINS0_14default_configENS1_27lower_bound_config_selectorIxN6thrust23THRUST_200600_302600_NS6detail10any_assignEEEZNS1_14transform_implILb0ES3_S9_NS7_15normal_iteratorINS6_10device_ptrIxEEEENS6_16discard_iteratorINS6_11use_defaultEEEZNS1_13binary_searchIS3_S9_SE_SE_SH_NS1_21lower_bound_search_opENS7_16wrapped_functionINS0_4lessIvEEbEEEE10hipError_tPvRmT1_T2_T3_mmT4_T5_P12ihipStream_tbEUlRKxE_EESO_SS_ST_mSU_SX_bEUlT_E_NS1_11comp_targetILNS1_3genE10ELNS1_11target_archE1201ELNS1_3gpuE5ELNS1_3repE0EEENS1_30default_config_static_selectorELNS0_4arch9wavefront6targetE0EEEvSR_
		.amdhsa_group_segment_fixed_size 0
		.amdhsa_private_segment_fixed_size 0
		.amdhsa_kernarg_size 64
		.amdhsa_user_sgpr_count 15
		.amdhsa_user_sgpr_dispatch_ptr 0
		.amdhsa_user_sgpr_queue_ptr 0
		.amdhsa_user_sgpr_kernarg_segment_ptr 1
		.amdhsa_user_sgpr_dispatch_id 0
		.amdhsa_user_sgpr_private_segment_size 0
		.amdhsa_wavefront_size32 1
		.amdhsa_uses_dynamic_stack 0
		.amdhsa_enable_private_segment 0
		.amdhsa_system_sgpr_workgroup_id_x 1
		.amdhsa_system_sgpr_workgroup_id_y 0
		.amdhsa_system_sgpr_workgroup_id_z 0
		.amdhsa_system_sgpr_workgroup_info 0
		.amdhsa_system_vgpr_workitem_id 0
		.amdhsa_next_free_vgpr 1
		.amdhsa_next_free_sgpr 1
		.amdhsa_reserve_vcc 0
		.amdhsa_float_round_mode_32 0
		.amdhsa_float_round_mode_16_64 0
		.amdhsa_float_denorm_mode_32 3
		.amdhsa_float_denorm_mode_16_64 3
		.amdhsa_dx10_clamp 1
		.amdhsa_ieee_mode 1
		.amdhsa_fp16_overflow 0
		.amdhsa_workgroup_processor_mode 1
		.amdhsa_memory_ordered 1
		.amdhsa_forward_progress 0
		.amdhsa_shared_vgpr_count 0
		.amdhsa_exception_fp_ieee_invalid_op 0
		.amdhsa_exception_fp_denorm_src 0
		.amdhsa_exception_fp_ieee_div_zero 0
		.amdhsa_exception_fp_ieee_overflow 0
		.amdhsa_exception_fp_ieee_underflow 0
		.amdhsa_exception_fp_ieee_inexact 0
		.amdhsa_exception_int_div_zero 0
	.end_amdhsa_kernel
	.section	.text._ZN7rocprim17ROCPRIM_400000_NS6detail17trampoline_kernelINS0_14default_configENS1_27lower_bound_config_selectorIxN6thrust23THRUST_200600_302600_NS6detail10any_assignEEEZNS1_14transform_implILb0ES3_S9_NS7_15normal_iteratorINS6_10device_ptrIxEEEENS6_16discard_iteratorINS6_11use_defaultEEEZNS1_13binary_searchIS3_S9_SE_SE_SH_NS1_21lower_bound_search_opENS7_16wrapped_functionINS0_4lessIvEEbEEEE10hipError_tPvRmT1_T2_T3_mmT4_T5_P12ihipStream_tbEUlRKxE_EESO_SS_ST_mSU_SX_bEUlT_E_NS1_11comp_targetILNS1_3genE10ELNS1_11target_archE1201ELNS1_3gpuE5ELNS1_3repE0EEENS1_30default_config_static_selectorELNS0_4arch9wavefront6targetE0EEEvSR_,"axG",@progbits,_ZN7rocprim17ROCPRIM_400000_NS6detail17trampoline_kernelINS0_14default_configENS1_27lower_bound_config_selectorIxN6thrust23THRUST_200600_302600_NS6detail10any_assignEEEZNS1_14transform_implILb0ES3_S9_NS7_15normal_iteratorINS6_10device_ptrIxEEEENS6_16discard_iteratorINS6_11use_defaultEEEZNS1_13binary_searchIS3_S9_SE_SE_SH_NS1_21lower_bound_search_opENS7_16wrapped_functionINS0_4lessIvEEbEEEE10hipError_tPvRmT1_T2_T3_mmT4_T5_P12ihipStream_tbEUlRKxE_EESO_SS_ST_mSU_SX_bEUlT_E_NS1_11comp_targetILNS1_3genE10ELNS1_11target_archE1201ELNS1_3gpuE5ELNS1_3repE0EEENS1_30default_config_static_selectorELNS0_4arch9wavefront6targetE0EEEvSR_,comdat
.Lfunc_end551:
	.size	_ZN7rocprim17ROCPRIM_400000_NS6detail17trampoline_kernelINS0_14default_configENS1_27lower_bound_config_selectorIxN6thrust23THRUST_200600_302600_NS6detail10any_assignEEEZNS1_14transform_implILb0ES3_S9_NS7_15normal_iteratorINS6_10device_ptrIxEEEENS6_16discard_iteratorINS6_11use_defaultEEEZNS1_13binary_searchIS3_S9_SE_SE_SH_NS1_21lower_bound_search_opENS7_16wrapped_functionINS0_4lessIvEEbEEEE10hipError_tPvRmT1_T2_T3_mmT4_T5_P12ihipStream_tbEUlRKxE_EESO_SS_ST_mSU_SX_bEUlT_E_NS1_11comp_targetILNS1_3genE10ELNS1_11target_archE1201ELNS1_3gpuE5ELNS1_3repE0EEENS1_30default_config_static_selectorELNS0_4arch9wavefront6targetE0EEEvSR_, .Lfunc_end551-_ZN7rocprim17ROCPRIM_400000_NS6detail17trampoline_kernelINS0_14default_configENS1_27lower_bound_config_selectorIxN6thrust23THRUST_200600_302600_NS6detail10any_assignEEEZNS1_14transform_implILb0ES3_S9_NS7_15normal_iteratorINS6_10device_ptrIxEEEENS6_16discard_iteratorINS6_11use_defaultEEEZNS1_13binary_searchIS3_S9_SE_SE_SH_NS1_21lower_bound_search_opENS7_16wrapped_functionINS0_4lessIvEEbEEEE10hipError_tPvRmT1_T2_T3_mmT4_T5_P12ihipStream_tbEUlRKxE_EESO_SS_ST_mSU_SX_bEUlT_E_NS1_11comp_targetILNS1_3genE10ELNS1_11target_archE1201ELNS1_3gpuE5ELNS1_3repE0EEENS1_30default_config_static_selectorELNS0_4arch9wavefront6targetE0EEEvSR_
                                        ; -- End function
	.section	.AMDGPU.csdata,"",@progbits
; Kernel info:
; codeLenInByte = 0
; NumSgprs: 0
; NumVgprs: 0
; ScratchSize: 0
; MemoryBound: 0
; FloatMode: 240
; IeeeMode: 1
; LDSByteSize: 0 bytes/workgroup (compile time only)
; SGPRBlocks: 0
; VGPRBlocks: 0
; NumSGPRsForWavesPerEU: 1
; NumVGPRsForWavesPerEU: 1
; Occupancy: 16
; WaveLimiterHint : 0
; COMPUTE_PGM_RSRC2:SCRATCH_EN: 0
; COMPUTE_PGM_RSRC2:USER_SGPR: 15
; COMPUTE_PGM_RSRC2:TRAP_HANDLER: 0
; COMPUTE_PGM_RSRC2:TGID_X_EN: 1
; COMPUTE_PGM_RSRC2:TGID_Y_EN: 0
; COMPUTE_PGM_RSRC2:TGID_Z_EN: 0
; COMPUTE_PGM_RSRC2:TIDIG_COMP_CNT: 0
	.section	.text._ZN7rocprim17ROCPRIM_400000_NS6detail17trampoline_kernelINS0_14default_configENS1_27lower_bound_config_selectorIxN6thrust23THRUST_200600_302600_NS6detail10any_assignEEEZNS1_14transform_implILb0ES3_S9_NS7_15normal_iteratorINS6_10device_ptrIxEEEENS6_16discard_iteratorINS6_11use_defaultEEEZNS1_13binary_searchIS3_S9_SE_SE_SH_NS1_21lower_bound_search_opENS7_16wrapped_functionINS0_4lessIvEEbEEEE10hipError_tPvRmT1_T2_T3_mmT4_T5_P12ihipStream_tbEUlRKxE_EESO_SS_ST_mSU_SX_bEUlT_E_NS1_11comp_targetILNS1_3genE10ELNS1_11target_archE1200ELNS1_3gpuE4ELNS1_3repE0EEENS1_30default_config_static_selectorELNS0_4arch9wavefront6targetE0EEEvSR_,"axG",@progbits,_ZN7rocprim17ROCPRIM_400000_NS6detail17trampoline_kernelINS0_14default_configENS1_27lower_bound_config_selectorIxN6thrust23THRUST_200600_302600_NS6detail10any_assignEEEZNS1_14transform_implILb0ES3_S9_NS7_15normal_iteratorINS6_10device_ptrIxEEEENS6_16discard_iteratorINS6_11use_defaultEEEZNS1_13binary_searchIS3_S9_SE_SE_SH_NS1_21lower_bound_search_opENS7_16wrapped_functionINS0_4lessIvEEbEEEE10hipError_tPvRmT1_T2_T3_mmT4_T5_P12ihipStream_tbEUlRKxE_EESO_SS_ST_mSU_SX_bEUlT_E_NS1_11comp_targetILNS1_3genE10ELNS1_11target_archE1200ELNS1_3gpuE4ELNS1_3repE0EEENS1_30default_config_static_selectorELNS0_4arch9wavefront6targetE0EEEvSR_,comdat
	.protected	_ZN7rocprim17ROCPRIM_400000_NS6detail17trampoline_kernelINS0_14default_configENS1_27lower_bound_config_selectorIxN6thrust23THRUST_200600_302600_NS6detail10any_assignEEEZNS1_14transform_implILb0ES3_S9_NS7_15normal_iteratorINS6_10device_ptrIxEEEENS6_16discard_iteratorINS6_11use_defaultEEEZNS1_13binary_searchIS3_S9_SE_SE_SH_NS1_21lower_bound_search_opENS7_16wrapped_functionINS0_4lessIvEEbEEEE10hipError_tPvRmT1_T2_T3_mmT4_T5_P12ihipStream_tbEUlRKxE_EESO_SS_ST_mSU_SX_bEUlT_E_NS1_11comp_targetILNS1_3genE10ELNS1_11target_archE1200ELNS1_3gpuE4ELNS1_3repE0EEENS1_30default_config_static_selectorELNS0_4arch9wavefront6targetE0EEEvSR_ ; -- Begin function _ZN7rocprim17ROCPRIM_400000_NS6detail17trampoline_kernelINS0_14default_configENS1_27lower_bound_config_selectorIxN6thrust23THRUST_200600_302600_NS6detail10any_assignEEEZNS1_14transform_implILb0ES3_S9_NS7_15normal_iteratorINS6_10device_ptrIxEEEENS6_16discard_iteratorINS6_11use_defaultEEEZNS1_13binary_searchIS3_S9_SE_SE_SH_NS1_21lower_bound_search_opENS7_16wrapped_functionINS0_4lessIvEEbEEEE10hipError_tPvRmT1_T2_T3_mmT4_T5_P12ihipStream_tbEUlRKxE_EESO_SS_ST_mSU_SX_bEUlT_E_NS1_11comp_targetILNS1_3genE10ELNS1_11target_archE1200ELNS1_3gpuE4ELNS1_3repE0EEENS1_30default_config_static_selectorELNS0_4arch9wavefront6targetE0EEEvSR_
	.globl	_ZN7rocprim17ROCPRIM_400000_NS6detail17trampoline_kernelINS0_14default_configENS1_27lower_bound_config_selectorIxN6thrust23THRUST_200600_302600_NS6detail10any_assignEEEZNS1_14transform_implILb0ES3_S9_NS7_15normal_iteratorINS6_10device_ptrIxEEEENS6_16discard_iteratorINS6_11use_defaultEEEZNS1_13binary_searchIS3_S9_SE_SE_SH_NS1_21lower_bound_search_opENS7_16wrapped_functionINS0_4lessIvEEbEEEE10hipError_tPvRmT1_T2_T3_mmT4_T5_P12ihipStream_tbEUlRKxE_EESO_SS_ST_mSU_SX_bEUlT_E_NS1_11comp_targetILNS1_3genE10ELNS1_11target_archE1200ELNS1_3gpuE4ELNS1_3repE0EEENS1_30default_config_static_selectorELNS0_4arch9wavefront6targetE0EEEvSR_
	.p2align	8
	.type	_ZN7rocprim17ROCPRIM_400000_NS6detail17trampoline_kernelINS0_14default_configENS1_27lower_bound_config_selectorIxN6thrust23THRUST_200600_302600_NS6detail10any_assignEEEZNS1_14transform_implILb0ES3_S9_NS7_15normal_iteratorINS6_10device_ptrIxEEEENS6_16discard_iteratorINS6_11use_defaultEEEZNS1_13binary_searchIS3_S9_SE_SE_SH_NS1_21lower_bound_search_opENS7_16wrapped_functionINS0_4lessIvEEbEEEE10hipError_tPvRmT1_T2_T3_mmT4_T5_P12ihipStream_tbEUlRKxE_EESO_SS_ST_mSU_SX_bEUlT_E_NS1_11comp_targetILNS1_3genE10ELNS1_11target_archE1200ELNS1_3gpuE4ELNS1_3repE0EEENS1_30default_config_static_selectorELNS0_4arch9wavefront6targetE0EEEvSR_,@function
_ZN7rocprim17ROCPRIM_400000_NS6detail17trampoline_kernelINS0_14default_configENS1_27lower_bound_config_selectorIxN6thrust23THRUST_200600_302600_NS6detail10any_assignEEEZNS1_14transform_implILb0ES3_S9_NS7_15normal_iteratorINS6_10device_ptrIxEEEENS6_16discard_iteratorINS6_11use_defaultEEEZNS1_13binary_searchIS3_S9_SE_SE_SH_NS1_21lower_bound_search_opENS7_16wrapped_functionINS0_4lessIvEEbEEEE10hipError_tPvRmT1_T2_T3_mmT4_T5_P12ihipStream_tbEUlRKxE_EESO_SS_ST_mSU_SX_bEUlT_E_NS1_11comp_targetILNS1_3genE10ELNS1_11target_archE1200ELNS1_3gpuE4ELNS1_3repE0EEENS1_30default_config_static_selectorELNS0_4arch9wavefront6targetE0EEEvSR_: ; @_ZN7rocprim17ROCPRIM_400000_NS6detail17trampoline_kernelINS0_14default_configENS1_27lower_bound_config_selectorIxN6thrust23THRUST_200600_302600_NS6detail10any_assignEEEZNS1_14transform_implILb0ES3_S9_NS7_15normal_iteratorINS6_10device_ptrIxEEEENS6_16discard_iteratorINS6_11use_defaultEEEZNS1_13binary_searchIS3_S9_SE_SE_SH_NS1_21lower_bound_search_opENS7_16wrapped_functionINS0_4lessIvEEbEEEE10hipError_tPvRmT1_T2_T3_mmT4_T5_P12ihipStream_tbEUlRKxE_EESO_SS_ST_mSU_SX_bEUlT_E_NS1_11comp_targetILNS1_3genE10ELNS1_11target_archE1200ELNS1_3gpuE4ELNS1_3repE0EEENS1_30default_config_static_selectorELNS0_4arch9wavefront6targetE0EEEvSR_
; %bb.0:
	.section	.rodata,"a",@progbits
	.p2align	6, 0x0
	.amdhsa_kernel _ZN7rocprim17ROCPRIM_400000_NS6detail17trampoline_kernelINS0_14default_configENS1_27lower_bound_config_selectorIxN6thrust23THRUST_200600_302600_NS6detail10any_assignEEEZNS1_14transform_implILb0ES3_S9_NS7_15normal_iteratorINS6_10device_ptrIxEEEENS6_16discard_iteratorINS6_11use_defaultEEEZNS1_13binary_searchIS3_S9_SE_SE_SH_NS1_21lower_bound_search_opENS7_16wrapped_functionINS0_4lessIvEEbEEEE10hipError_tPvRmT1_T2_T3_mmT4_T5_P12ihipStream_tbEUlRKxE_EESO_SS_ST_mSU_SX_bEUlT_E_NS1_11comp_targetILNS1_3genE10ELNS1_11target_archE1200ELNS1_3gpuE4ELNS1_3repE0EEENS1_30default_config_static_selectorELNS0_4arch9wavefront6targetE0EEEvSR_
		.amdhsa_group_segment_fixed_size 0
		.amdhsa_private_segment_fixed_size 0
		.amdhsa_kernarg_size 64
		.amdhsa_user_sgpr_count 15
		.amdhsa_user_sgpr_dispatch_ptr 0
		.amdhsa_user_sgpr_queue_ptr 0
		.amdhsa_user_sgpr_kernarg_segment_ptr 1
		.amdhsa_user_sgpr_dispatch_id 0
		.amdhsa_user_sgpr_private_segment_size 0
		.amdhsa_wavefront_size32 1
		.amdhsa_uses_dynamic_stack 0
		.amdhsa_enable_private_segment 0
		.amdhsa_system_sgpr_workgroup_id_x 1
		.amdhsa_system_sgpr_workgroup_id_y 0
		.amdhsa_system_sgpr_workgroup_id_z 0
		.amdhsa_system_sgpr_workgroup_info 0
		.amdhsa_system_vgpr_workitem_id 0
		.amdhsa_next_free_vgpr 1
		.amdhsa_next_free_sgpr 1
		.amdhsa_reserve_vcc 0
		.amdhsa_float_round_mode_32 0
		.amdhsa_float_round_mode_16_64 0
		.amdhsa_float_denorm_mode_32 3
		.amdhsa_float_denorm_mode_16_64 3
		.amdhsa_dx10_clamp 1
		.amdhsa_ieee_mode 1
		.amdhsa_fp16_overflow 0
		.amdhsa_workgroup_processor_mode 1
		.amdhsa_memory_ordered 1
		.amdhsa_forward_progress 0
		.amdhsa_shared_vgpr_count 0
		.amdhsa_exception_fp_ieee_invalid_op 0
		.amdhsa_exception_fp_denorm_src 0
		.amdhsa_exception_fp_ieee_div_zero 0
		.amdhsa_exception_fp_ieee_overflow 0
		.amdhsa_exception_fp_ieee_underflow 0
		.amdhsa_exception_fp_ieee_inexact 0
		.amdhsa_exception_int_div_zero 0
	.end_amdhsa_kernel
	.section	.text._ZN7rocprim17ROCPRIM_400000_NS6detail17trampoline_kernelINS0_14default_configENS1_27lower_bound_config_selectorIxN6thrust23THRUST_200600_302600_NS6detail10any_assignEEEZNS1_14transform_implILb0ES3_S9_NS7_15normal_iteratorINS6_10device_ptrIxEEEENS6_16discard_iteratorINS6_11use_defaultEEEZNS1_13binary_searchIS3_S9_SE_SE_SH_NS1_21lower_bound_search_opENS7_16wrapped_functionINS0_4lessIvEEbEEEE10hipError_tPvRmT1_T2_T3_mmT4_T5_P12ihipStream_tbEUlRKxE_EESO_SS_ST_mSU_SX_bEUlT_E_NS1_11comp_targetILNS1_3genE10ELNS1_11target_archE1200ELNS1_3gpuE4ELNS1_3repE0EEENS1_30default_config_static_selectorELNS0_4arch9wavefront6targetE0EEEvSR_,"axG",@progbits,_ZN7rocprim17ROCPRIM_400000_NS6detail17trampoline_kernelINS0_14default_configENS1_27lower_bound_config_selectorIxN6thrust23THRUST_200600_302600_NS6detail10any_assignEEEZNS1_14transform_implILb0ES3_S9_NS7_15normal_iteratorINS6_10device_ptrIxEEEENS6_16discard_iteratorINS6_11use_defaultEEEZNS1_13binary_searchIS3_S9_SE_SE_SH_NS1_21lower_bound_search_opENS7_16wrapped_functionINS0_4lessIvEEbEEEE10hipError_tPvRmT1_T2_T3_mmT4_T5_P12ihipStream_tbEUlRKxE_EESO_SS_ST_mSU_SX_bEUlT_E_NS1_11comp_targetILNS1_3genE10ELNS1_11target_archE1200ELNS1_3gpuE4ELNS1_3repE0EEENS1_30default_config_static_selectorELNS0_4arch9wavefront6targetE0EEEvSR_,comdat
.Lfunc_end552:
	.size	_ZN7rocprim17ROCPRIM_400000_NS6detail17trampoline_kernelINS0_14default_configENS1_27lower_bound_config_selectorIxN6thrust23THRUST_200600_302600_NS6detail10any_assignEEEZNS1_14transform_implILb0ES3_S9_NS7_15normal_iteratorINS6_10device_ptrIxEEEENS6_16discard_iteratorINS6_11use_defaultEEEZNS1_13binary_searchIS3_S9_SE_SE_SH_NS1_21lower_bound_search_opENS7_16wrapped_functionINS0_4lessIvEEbEEEE10hipError_tPvRmT1_T2_T3_mmT4_T5_P12ihipStream_tbEUlRKxE_EESO_SS_ST_mSU_SX_bEUlT_E_NS1_11comp_targetILNS1_3genE10ELNS1_11target_archE1200ELNS1_3gpuE4ELNS1_3repE0EEENS1_30default_config_static_selectorELNS0_4arch9wavefront6targetE0EEEvSR_, .Lfunc_end552-_ZN7rocprim17ROCPRIM_400000_NS6detail17trampoline_kernelINS0_14default_configENS1_27lower_bound_config_selectorIxN6thrust23THRUST_200600_302600_NS6detail10any_assignEEEZNS1_14transform_implILb0ES3_S9_NS7_15normal_iteratorINS6_10device_ptrIxEEEENS6_16discard_iteratorINS6_11use_defaultEEEZNS1_13binary_searchIS3_S9_SE_SE_SH_NS1_21lower_bound_search_opENS7_16wrapped_functionINS0_4lessIvEEbEEEE10hipError_tPvRmT1_T2_T3_mmT4_T5_P12ihipStream_tbEUlRKxE_EESO_SS_ST_mSU_SX_bEUlT_E_NS1_11comp_targetILNS1_3genE10ELNS1_11target_archE1200ELNS1_3gpuE4ELNS1_3repE0EEENS1_30default_config_static_selectorELNS0_4arch9wavefront6targetE0EEEvSR_
                                        ; -- End function
	.section	.AMDGPU.csdata,"",@progbits
; Kernel info:
; codeLenInByte = 0
; NumSgprs: 0
; NumVgprs: 0
; ScratchSize: 0
; MemoryBound: 0
; FloatMode: 240
; IeeeMode: 1
; LDSByteSize: 0 bytes/workgroup (compile time only)
; SGPRBlocks: 0
; VGPRBlocks: 0
; NumSGPRsForWavesPerEU: 1
; NumVGPRsForWavesPerEU: 1
; Occupancy: 16
; WaveLimiterHint : 0
; COMPUTE_PGM_RSRC2:SCRATCH_EN: 0
; COMPUTE_PGM_RSRC2:USER_SGPR: 15
; COMPUTE_PGM_RSRC2:TRAP_HANDLER: 0
; COMPUTE_PGM_RSRC2:TGID_X_EN: 1
; COMPUTE_PGM_RSRC2:TGID_Y_EN: 0
; COMPUTE_PGM_RSRC2:TGID_Z_EN: 0
; COMPUTE_PGM_RSRC2:TIDIG_COMP_CNT: 0
	.section	.text._ZN7rocprim17ROCPRIM_400000_NS6detail17trampoline_kernelINS0_14default_configENS1_27lower_bound_config_selectorIxN6thrust23THRUST_200600_302600_NS6detail10any_assignEEEZNS1_14transform_implILb0ES3_S9_NS7_15normal_iteratorINS6_10device_ptrIxEEEENS6_16discard_iteratorINS6_11use_defaultEEEZNS1_13binary_searchIS3_S9_SE_SE_SH_NS1_21lower_bound_search_opENS7_16wrapped_functionINS0_4lessIvEEbEEEE10hipError_tPvRmT1_T2_T3_mmT4_T5_P12ihipStream_tbEUlRKxE_EESO_SS_ST_mSU_SX_bEUlT_E_NS1_11comp_targetILNS1_3genE9ELNS1_11target_archE1100ELNS1_3gpuE3ELNS1_3repE0EEENS1_30default_config_static_selectorELNS0_4arch9wavefront6targetE0EEEvSR_,"axG",@progbits,_ZN7rocprim17ROCPRIM_400000_NS6detail17trampoline_kernelINS0_14default_configENS1_27lower_bound_config_selectorIxN6thrust23THRUST_200600_302600_NS6detail10any_assignEEEZNS1_14transform_implILb0ES3_S9_NS7_15normal_iteratorINS6_10device_ptrIxEEEENS6_16discard_iteratorINS6_11use_defaultEEEZNS1_13binary_searchIS3_S9_SE_SE_SH_NS1_21lower_bound_search_opENS7_16wrapped_functionINS0_4lessIvEEbEEEE10hipError_tPvRmT1_T2_T3_mmT4_T5_P12ihipStream_tbEUlRKxE_EESO_SS_ST_mSU_SX_bEUlT_E_NS1_11comp_targetILNS1_3genE9ELNS1_11target_archE1100ELNS1_3gpuE3ELNS1_3repE0EEENS1_30default_config_static_selectorELNS0_4arch9wavefront6targetE0EEEvSR_,comdat
	.protected	_ZN7rocprim17ROCPRIM_400000_NS6detail17trampoline_kernelINS0_14default_configENS1_27lower_bound_config_selectorIxN6thrust23THRUST_200600_302600_NS6detail10any_assignEEEZNS1_14transform_implILb0ES3_S9_NS7_15normal_iteratorINS6_10device_ptrIxEEEENS6_16discard_iteratorINS6_11use_defaultEEEZNS1_13binary_searchIS3_S9_SE_SE_SH_NS1_21lower_bound_search_opENS7_16wrapped_functionINS0_4lessIvEEbEEEE10hipError_tPvRmT1_T2_T3_mmT4_T5_P12ihipStream_tbEUlRKxE_EESO_SS_ST_mSU_SX_bEUlT_E_NS1_11comp_targetILNS1_3genE9ELNS1_11target_archE1100ELNS1_3gpuE3ELNS1_3repE0EEENS1_30default_config_static_selectorELNS0_4arch9wavefront6targetE0EEEvSR_ ; -- Begin function _ZN7rocprim17ROCPRIM_400000_NS6detail17trampoline_kernelINS0_14default_configENS1_27lower_bound_config_selectorIxN6thrust23THRUST_200600_302600_NS6detail10any_assignEEEZNS1_14transform_implILb0ES3_S9_NS7_15normal_iteratorINS6_10device_ptrIxEEEENS6_16discard_iteratorINS6_11use_defaultEEEZNS1_13binary_searchIS3_S9_SE_SE_SH_NS1_21lower_bound_search_opENS7_16wrapped_functionINS0_4lessIvEEbEEEE10hipError_tPvRmT1_T2_T3_mmT4_T5_P12ihipStream_tbEUlRKxE_EESO_SS_ST_mSU_SX_bEUlT_E_NS1_11comp_targetILNS1_3genE9ELNS1_11target_archE1100ELNS1_3gpuE3ELNS1_3repE0EEENS1_30default_config_static_selectorELNS0_4arch9wavefront6targetE0EEEvSR_
	.globl	_ZN7rocprim17ROCPRIM_400000_NS6detail17trampoline_kernelINS0_14default_configENS1_27lower_bound_config_selectorIxN6thrust23THRUST_200600_302600_NS6detail10any_assignEEEZNS1_14transform_implILb0ES3_S9_NS7_15normal_iteratorINS6_10device_ptrIxEEEENS6_16discard_iteratorINS6_11use_defaultEEEZNS1_13binary_searchIS3_S9_SE_SE_SH_NS1_21lower_bound_search_opENS7_16wrapped_functionINS0_4lessIvEEbEEEE10hipError_tPvRmT1_T2_T3_mmT4_T5_P12ihipStream_tbEUlRKxE_EESO_SS_ST_mSU_SX_bEUlT_E_NS1_11comp_targetILNS1_3genE9ELNS1_11target_archE1100ELNS1_3gpuE3ELNS1_3repE0EEENS1_30default_config_static_selectorELNS0_4arch9wavefront6targetE0EEEvSR_
	.p2align	8
	.type	_ZN7rocprim17ROCPRIM_400000_NS6detail17trampoline_kernelINS0_14default_configENS1_27lower_bound_config_selectorIxN6thrust23THRUST_200600_302600_NS6detail10any_assignEEEZNS1_14transform_implILb0ES3_S9_NS7_15normal_iteratorINS6_10device_ptrIxEEEENS6_16discard_iteratorINS6_11use_defaultEEEZNS1_13binary_searchIS3_S9_SE_SE_SH_NS1_21lower_bound_search_opENS7_16wrapped_functionINS0_4lessIvEEbEEEE10hipError_tPvRmT1_T2_T3_mmT4_T5_P12ihipStream_tbEUlRKxE_EESO_SS_ST_mSU_SX_bEUlT_E_NS1_11comp_targetILNS1_3genE9ELNS1_11target_archE1100ELNS1_3gpuE3ELNS1_3repE0EEENS1_30default_config_static_selectorELNS0_4arch9wavefront6targetE0EEEvSR_,@function
_ZN7rocprim17ROCPRIM_400000_NS6detail17trampoline_kernelINS0_14default_configENS1_27lower_bound_config_selectorIxN6thrust23THRUST_200600_302600_NS6detail10any_assignEEEZNS1_14transform_implILb0ES3_S9_NS7_15normal_iteratorINS6_10device_ptrIxEEEENS6_16discard_iteratorINS6_11use_defaultEEEZNS1_13binary_searchIS3_S9_SE_SE_SH_NS1_21lower_bound_search_opENS7_16wrapped_functionINS0_4lessIvEEbEEEE10hipError_tPvRmT1_T2_T3_mmT4_T5_P12ihipStream_tbEUlRKxE_EESO_SS_ST_mSU_SX_bEUlT_E_NS1_11comp_targetILNS1_3genE9ELNS1_11target_archE1100ELNS1_3gpuE3ELNS1_3repE0EEENS1_30default_config_static_selectorELNS0_4arch9wavefront6targetE0EEEvSR_: ; @_ZN7rocprim17ROCPRIM_400000_NS6detail17trampoline_kernelINS0_14default_configENS1_27lower_bound_config_selectorIxN6thrust23THRUST_200600_302600_NS6detail10any_assignEEEZNS1_14transform_implILb0ES3_S9_NS7_15normal_iteratorINS6_10device_ptrIxEEEENS6_16discard_iteratorINS6_11use_defaultEEEZNS1_13binary_searchIS3_S9_SE_SE_SH_NS1_21lower_bound_search_opENS7_16wrapped_functionINS0_4lessIvEEbEEEE10hipError_tPvRmT1_T2_T3_mmT4_T5_P12ihipStream_tbEUlRKxE_EESO_SS_ST_mSU_SX_bEUlT_E_NS1_11comp_targetILNS1_3genE9ELNS1_11target_archE1100ELNS1_3gpuE3ELNS1_3repE0EEENS1_30default_config_static_selectorELNS0_4arch9wavefront6targetE0EEEvSR_
; %bb.0:
	s_endpgm
	.section	.rodata,"a",@progbits
	.p2align	6, 0x0
	.amdhsa_kernel _ZN7rocprim17ROCPRIM_400000_NS6detail17trampoline_kernelINS0_14default_configENS1_27lower_bound_config_selectorIxN6thrust23THRUST_200600_302600_NS6detail10any_assignEEEZNS1_14transform_implILb0ES3_S9_NS7_15normal_iteratorINS6_10device_ptrIxEEEENS6_16discard_iteratorINS6_11use_defaultEEEZNS1_13binary_searchIS3_S9_SE_SE_SH_NS1_21lower_bound_search_opENS7_16wrapped_functionINS0_4lessIvEEbEEEE10hipError_tPvRmT1_T2_T3_mmT4_T5_P12ihipStream_tbEUlRKxE_EESO_SS_ST_mSU_SX_bEUlT_E_NS1_11comp_targetILNS1_3genE9ELNS1_11target_archE1100ELNS1_3gpuE3ELNS1_3repE0EEENS1_30default_config_static_selectorELNS0_4arch9wavefront6targetE0EEEvSR_
		.amdhsa_group_segment_fixed_size 0
		.amdhsa_private_segment_fixed_size 0
		.amdhsa_kernarg_size 64
		.amdhsa_user_sgpr_count 15
		.amdhsa_user_sgpr_dispatch_ptr 0
		.amdhsa_user_sgpr_queue_ptr 0
		.amdhsa_user_sgpr_kernarg_segment_ptr 1
		.amdhsa_user_sgpr_dispatch_id 0
		.amdhsa_user_sgpr_private_segment_size 0
		.amdhsa_wavefront_size32 1
		.amdhsa_uses_dynamic_stack 0
		.amdhsa_enable_private_segment 0
		.amdhsa_system_sgpr_workgroup_id_x 1
		.amdhsa_system_sgpr_workgroup_id_y 0
		.amdhsa_system_sgpr_workgroup_id_z 0
		.amdhsa_system_sgpr_workgroup_info 0
		.amdhsa_system_vgpr_workitem_id 0
		.amdhsa_next_free_vgpr 1
		.amdhsa_next_free_sgpr 1
		.amdhsa_reserve_vcc 0
		.amdhsa_float_round_mode_32 0
		.amdhsa_float_round_mode_16_64 0
		.amdhsa_float_denorm_mode_32 3
		.amdhsa_float_denorm_mode_16_64 3
		.amdhsa_dx10_clamp 1
		.amdhsa_ieee_mode 1
		.amdhsa_fp16_overflow 0
		.amdhsa_workgroup_processor_mode 1
		.amdhsa_memory_ordered 1
		.amdhsa_forward_progress 0
		.amdhsa_shared_vgpr_count 0
		.amdhsa_exception_fp_ieee_invalid_op 0
		.amdhsa_exception_fp_denorm_src 0
		.amdhsa_exception_fp_ieee_div_zero 0
		.amdhsa_exception_fp_ieee_overflow 0
		.amdhsa_exception_fp_ieee_underflow 0
		.amdhsa_exception_fp_ieee_inexact 0
		.amdhsa_exception_int_div_zero 0
	.end_amdhsa_kernel
	.section	.text._ZN7rocprim17ROCPRIM_400000_NS6detail17trampoline_kernelINS0_14default_configENS1_27lower_bound_config_selectorIxN6thrust23THRUST_200600_302600_NS6detail10any_assignEEEZNS1_14transform_implILb0ES3_S9_NS7_15normal_iteratorINS6_10device_ptrIxEEEENS6_16discard_iteratorINS6_11use_defaultEEEZNS1_13binary_searchIS3_S9_SE_SE_SH_NS1_21lower_bound_search_opENS7_16wrapped_functionINS0_4lessIvEEbEEEE10hipError_tPvRmT1_T2_T3_mmT4_T5_P12ihipStream_tbEUlRKxE_EESO_SS_ST_mSU_SX_bEUlT_E_NS1_11comp_targetILNS1_3genE9ELNS1_11target_archE1100ELNS1_3gpuE3ELNS1_3repE0EEENS1_30default_config_static_selectorELNS0_4arch9wavefront6targetE0EEEvSR_,"axG",@progbits,_ZN7rocprim17ROCPRIM_400000_NS6detail17trampoline_kernelINS0_14default_configENS1_27lower_bound_config_selectorIxN6thrust23THRUST_200600_302600_NS6detail10any_assignEEEZNS1_14transform_implILb0ES3_S9_NS7_15normal_iteratorINS6_10device_ptrIxEEEENS6_16discard_iteratorINS6_11use_defaultEEEZNS1_13binary_searchIS3_S9_SE_SE_SH_NS1_21lower_bound_search_opENS7_16wrapped_functionINS0_4lessIvEEbEEEE10hipError_tPvRmT1_T2_T3_mmT4_T5_P12ihipStream_tbEUlRKxE_EESO_SS_ST_mSU_SX_bEUlT_E_NS1_11comp_targetILNS1_3genE9ELNS1_11target_archE1100ELNS1_3gpuE3ELNS1_3repE0EEENS1_30default_config_static_selectorELNS0_4arch9wavefront6targetE0EEEvSR_,comdat
.Lfunc_end553:
	.size	_ZN7rocprim17ROCPRIM_400000_NS6detail17trampoline_kernelINS0_14default_configENS1_27lower_bound_config_selectorIxN6thrust23THRUST_200600_302600_NS6detail10any_assignEEEZNS1_14transform_implILb0ES3_S9_NS7_15normal_iteratorINS6_10device_ptrIxEEEENS6_16discard_iteratorINS6_11use_defaultEEEZNS1_13binary_searchIS3_S9_SE_SE_SH_NS1_21lower_bound_search_opENS7_16wrapped_functionINS0_4lessIvEEbEEEE10hipError_tPvRmT1_T2_T3_mmT4_T5_P12ihipStream_tbEUlRKxE_EESO_SS_ST_mSU_SX_bEUlT_E_NS1_11comp_targetILNS1_3genE9ELNS1_11target_archE1100ELNS1_3gpuE3ELNS1_3repE0EEENS1_30default_config_static_selectorELNS0_4arch9wavefront6targetE0EEEvSR_, .Lfunc_end553-_ZN7rocprim17ROCPRIM_400000_NS6detail17trampoline_kernelINS0_14default_configENS1_27lower_bound_config_selectorIxN6thrust23THRUST_200600_302600_NS6detail10any_assignEEEZNS1_14transform_implILb0ES3_S9_NS7_15normal_iteratorINS6_10device_ptrIxEEEENS6_16discard_iteratorINS6_11use_defaultEEEZNS1_13binary_searchIS3_S9_SE_SE_SH_NS1_21lower_bound_search_opENS7_16wrapped_functionINS0_4lessIvEEbEEEE10hipError_tPvRmT1_T2_T3_mmT4_T5_P12ihipStream_tbEUlRKxE_EESO_SS_ST_mSU_SX_bEUlT_E_NS1_11comp_targetILNS1_3genE9ELNS1_11target_archE1100ELNS1_3gpuE3ELNS1_3repE0EEENS1_30default_config_static_selectorELNS0_4arch9wavefront6targetE0EEEvSR_
                                        ; -- End function
	.section	.AMDGPU.csdata,"",@progbits
; Kernel info:
; codeLenInByte = 4
; NumSgprs: 0
; NumVgprs: 0
; ScratchSize: 0
; MemoryBound: 0
; FloatMode: 240
; IeeeMode: 1
; LDSByteSize: 0 bytes/workgroup (compile time only)
; SGPRBlocks: 0
; VGPRBlocks: 0
; NumSGPRsForWavesPerEU: 1
; NumVGPRsForWavesPerEU: 1
; Occupancy: 16
; WaveLimiterHint : 0
; COMPUTE_PGM_RSRC2:SCRATCH_EN: 0
; COMPUTE_PGM_RSRC2:USER_SGPR: 15
; COMPUTE_PGM_RSRC2:TRAP_HANDLER: 0
; COMPUTE_PGM_RSRC2:TGID_X_EN: 1
; COMPUTE_PGM_RSRC2:TGID_Y_EN: 0
; COMPUTE_PGM_RSRC2:TGID_Z_EN: 0
; COMPUTE_PGM_RSRC2:TIDIG_COMP_CNT: 0
	.section	.text._ZN7rocprim17ROCPRIM_400000_NS6detail17trampoline_kernelINS0_14default_configENS1_27lower_bound_config_selectorIxN6thrust23THRUST_200600_302600_NS6detail10any_assignEEEZNS1_14transform_implILb0ES3_S9_NS7_15normal_iteratorINS6_10device_ptrIxEEEENS6_16discard_iteratorINS6_11use_defaultEEEZNS1_13binary_searchIS3_S9_SE_SE_SH_NS1_21lower_bound_search_opENS7_16wrapped_functionINS0_4lessIvEEbEEEE10hipError_tPvRmT1_T2_T3_mmT4_T5_P12ihipStream_tbEUlRKxE_EESO_SS_ST_mSU_SX_bEUlT_E_NS1_11comp_targetILNS1_3genE8ELNS1_11target_archE1030ELNS1_3gpuE2ELNS1_3repE0EEENS1_30default_config_static_selectorELNS0_4arch9wavefront6targetE0EEEvSR_,"axG",@progbits,_ZN7rocprim17ROCPRIM_400000_NS6detail17trampoline_kernelINS0_14default_configENS1_27lower_bound_config_selectorIxN6thrust23THRUST_200600_302600_NS6detail10any_assignEEEZNS1_14transform_implILb0ES3_S9_NS7_15normal_iteratorINS6_10device_ptrIxEEEENS6_16discard_iteratorINS6_11use_defaultEEEZNS1_13binary_searchIS3_S9_SE_SE_SH_NS1_21lower_bound_search_opENS7_16wrapped_functionINS0_4lessIvEEbEEEE10hipError_tPvRmT1_T2_T3_mmT4_T5_P12ihipStream_tbEUlRKxE_EESO_SS_ST_mSU_SX_bEUlT_E_NS1_11comp_targetILNS1_3genE8ELNS1_11target_archE1030ELNS1_3gpuE2ELNS1_3repE0EEENS1_30default_config_static_selectorELNS0_4arch9wavefront6targetE0EEEvSR_,comdat
	.protected	_ZN7rocprim17ROCPRIM_400000_NS6detail17trampoline_kernelINS0_14default_configENS1_27lower_bound_config_selectorIxN6thrust23THRUST_200600_302600_NS6detail10any_assignEEEZNS1_14transform_implILb0ES3_S9_NS7_15normal_iteratorINS6_10device_ptrIxEEEENS6_16discard_iteratorINS6_11use_defaultEEEZNS1_13binary_searchIS3_S9_SE_SE_SH_NS1_21lower_bound_search_opENS7_16wrapped_functionINS0_4lessIvEEbEEEE10hipError_tPvRmT1_T2_T3_mmT4_T5_P12ihipStream_tbEUlRKxE_EESO_SS_ST_mSU_SX_bEUlT_E_NS1_11comp_targetILNS1_3genE8ELNS1_11target_archE1030ELNS1_3gpuE2ELNS1_3repE0EEENS1_30default_config_static_selectorELNS0_4arch9wavefront6targetE0EEEvSR_ ; -- Begin function _ZN7rocprim17ROCPRIM_400000_NS6detail17trampoline_kernelINS0_14default_configENS1_27lower_bound_config_selectorIxN6thrust23THRUST_200600_302600_NS6detail10any_assignEEEZNS1_14transform_implILb0ES3_S9_NS7_15normal_iteratorINS6_10device_ptrIxEEEENS6_16discard_iteratorINS6_11use_defaultEEEZNS1_13binary_searchIS3_S9_SE_SE_SH_NS1_21lower_bound_search_opENS7_16wrapped_functionINS0_4lessIvEEbEEEE10hipError_tPvRmT1_T2_T3_mmT4_T5_P12ihipStream_tbEUlRKxE_EESO_SS_ST_mSU_SX_bEUlT_E_NS1_11comp_targetILNS1_3genE8ELNS1_11target_archE1030ELNS1_3gpuE2ELNS1_3repE0EEENS1_30default_config_static_selectorELNS0_4arch9wavefront6targetE0EEEvSR_
	.globl	_ZN7rocprim17ROCPRIM_400000_NS6detail17trampoline_kernelINS0_14default_configENS1_27lower_bound_config_selectorIxN6thrust23THRUST_200600_302600_NS6detail10any_assignEEEZNS1_14transform_implILb0ES3_S9_NS7_15normal_iteratorINS6_10device_ptrIxEEEENS6_16discard_iteratorINS6_11use_defaultEEEZNS1_13binary_searchIS3_S9_SE_SE_SH_NS1_21lower_bound_search_opENS7_16wrapped_functionINS0_4lessIvEEbEEEE10hipError_tPvRmT1_T2_T3_mmT4_T5_P12ihipStream_tbEUlRKxE_EESO_SS_ST_mSU_SX_bEUlT_E_NS1_11comp_targetILNS1_3genE8ELNS1_11target_archE1030ELNS1_3gpuE2ELNS1_3repE0EEENS1_30default_config_static_selectorELNS0_4arch9wavefront6targetE0EEEvSR_
	.p2align	8
	.type	_ZN7rocprim17ROCPRIM_400000_NS6detail17trampoline_kernelINS0_14default_configENS1_27lower_bound_config_selectorIxN6thrust23THRUST_200600_302600_NS6detail10any_assignEEEZNS1_14transform_implILb0ES3_S9_NS7_15normal_iteratorINS6_10device_ptrIxEEEENS6_16discard_iteratorINS6_11use_defaultEEEZNS1_13binary_searchIS3_S9_SE_SE_SH_NS1_21lower_bound_search_opENS7_16wrapped_functionINS0_4lessIvEEbEEEE10hipError_tPvRmT1_T2_T3_mmT4_T5_P12ihipStream_tbEUlRKxE_EESO_SS_ST_mSU_SX_bEUlT_E_NS1_11comp_targetILNS1_3genE8ELNS1_11target_archE1030ELNS1_3gpuE2ELNS1_3repE0EEENS1_30default_config_static_selectorELNS0_4arch9wavefront6targetE0EEEvSR_,@function
_ZN7rocprim17ROCPRIM_400000_NS6detail17trampoline_kernelINS0_14default_configENS1_27lower_bound_config_selectorIxN6thrust23THRUST_200600_302600_NS6detail10any_assignEEEZNS1_14transform_implILb0ES3_S9_NS7_15normal_iteratorINS6_10device_ptrIxEEEENS6_16discard_iteratorINS6_11use_defaultEEEZNS1_13binary_searchIS3_S9_SE_SE_SH_NS1_21lower_bound_search_opENS7_16wrapped_functionINS0_4lessIvEEbEEEE10hipError_tPvRmT1_T2_T3_mmT4_T5_P12ihipStream_tbEUlRKxE_EESO_SS_ST_mSU_SX_bEUlT_E_NS1_11comp_targetILNS1_3genE8ELNS1_11target_archE1030ELNS1_3gpuE2ELNS1_3repE0EEENS1_30default_config_static_selectorELNS0_4arch9wavefront6targetE0EEEvSR_: ; @_ZN7rocprim17ROCPRIM_400000_NS6detail17trampoline_kernelINS0_14default_configENS1_27lower_bound_config_selectorIxN6thrust23THRUST_200600_302600_NS6detail10any_assignEEEZNS1_14transform_implILb0ES3_S9_NS7_15normal_iteratorINS6_10device_ptrIxEEEENS6_16discard_iteratorINS6_11use_defaultEEEZNS1_13binary_searchIS3_S9_SE_SE_SH_NS1_21lower_bound_search_opENS7_16wrapped_functionINS0_4lessIvEEbEEEE10hipError_tPvRmT1_T2_T3_mmT4_T5_P12ihipStream_tbEUlRKxE_EESO_SS_ST_mSU_SX_bEUlT_E_NS1_11comp_targetILNS1_3genE8ELNS1_11target_archE1030ELNS1_3gpuE2ELNS1_3repE0EEENS1_30default_config_static_selectorELNS0_4arch9wavefront6targetE0EEEvSR_
; %bb.0:
	.section	.rodata,"a",@progbits
	.p2align	6, 0x0
	.amdhsa_kernel _ZN7rocprim17ROCPRIM_400000_NS6detail17trampoline_kernelINS0_14default_configENS1_27lower_bound_config_selectorIxN6thrust23THRUST_200600_302600_NS6detail10any_assignEEEZNS1_14transform_implILb0ES3_S9_NS7_15normal_iteratorINS6_10device_ptrIxEEEENS6_16discard_iteratorINS6_11use_defaultEEEZNS1_13binary_searchIS3_S9_SE_SE_SH_NS1_21lower_bound_search_opENS7_16wrapped_functionINS0_4lessIvEEbEEEE10hipError_tPvRmT1_T2_T3_mmT4_T5_P12ihipStream_tbEUlRKxE_EESO_SS_ST_mSU_SX_bEUlT_E_NS1_11comp_targetILNS1_3genE8ELNS1_11target_archE1030ELNS1_3gpuE2ELNS1_3repE0EEENS1_30default_config_static_selectorELNS0_4arch9wavefront6targetE0EEEvSR_
		.amdhsa_group_segment_fixed_size 0
		.amdhsa_private_segment_fixed_size 0
		.amdhsa_kernarg_size 64
		.amdhsa_user_sgpr_count 15
		.amdhsa_user_sgpr_dispatch_ptr 0
		.amdhsa_user_sgpr_queue_ptr 0
		.amdhsa_user_sgpr_kernarg_segment_ptr 1
		.amdhsa_user_sgpr_dispatch_id 0
		.amdhsa_user_sgpr_private_segment_size 0
		.amdhsa_wavefront_size32 1
		.amdhsa_uses_dynamic_stack 0
		.amdhsa_enable_private_segment 0
		.amdhsa_system_sgpr_workgroup_id_x 1
		.amdhsa_system_sgpr_workgroup_id_y 0
		.amdhsa_system_sgpr_workgroup_id_z 0
		.amdhsa_system_sgpr_workgroup_info 0
		.amdhsa_system_vgpr_workitem_id 0
		.amdhsa_next_free_vgpr 1
		.amdhsa_next_free_sgpr 1
		.amdhsa_reserve_vcc 0
		.amdhsa_float_round_mode_32 0
		.amdhsa_float_round_mode_16_64 0
		.amdhsa_float_denorm_mode_32 3
		.amdhsa_float_denorm_mode_16_64 3
		.amdhsa_dx10_clamp 1
		.amdhsa_ieee_mode 1
		.amdhsa_fp16_overflow 0
		.amdhsa_workgroup_processor_mode 1
		.amdhsa_memory_ordered 1
		.amdhsa_forward_progress 0
		.amdhsa_shared_vgpr_count 0
		.amdhsa_exception_fp_ieee_invalid_op 0
		.amdhsa_exception_fp_denorm_src 0
		.amdhsa_exception_fp_ieee_div_zero 0
		.amdhsa_exception_fp_ieee_overflow 0
		.amdhsa_exception_fp_ieee_underflow 0
		.amdhsa_exception_fp_ieee_inexact 0
		.amdhsa_exception_int_div_zero 0
	.end_amdhsa_kernel
	.section	.text._ZN7rocprim17ROCPRIM_400000_NS6detail17trampoline_kernelINS0_14default_configENS1_27lower_bound_config_selectorIxN6thrust23THRUST_200600_302600_NS6detail10any_assignEEEZNS1_14transform_implILb0ES3_S9_NS7_15normal_iteratorINS6_10device_ptrIxEEEENS6_16discard_iteratorINS6_11use_defaultEEEZNS1_13binary_searchIS3_S9_SE_SE_SH_NS1_21lower_bound_search_opENS7_16wrapped_functionINS0_4lessIvEEbEEEE10hipError_tPvRmT1_T2_T3_mmT4_T5_P12ihipStream_tbEUlRKxE_EESO_SS_ST_mSU_SX_bEUlT_E_NS1_11comp_targetILNS1_3genE8ELNS1_11target_archE1030ELNS1_3gpuE2ELNS1_3repE0EEENS1_30default_config_static_selectorELNS0_4arch9wavefront6targetE0EEEvSR_,"axG",@progbits,_ZN7rocprim17ROCPRIM_400000_NS6detail17trampoline_kernelINS0_14default_configENS1_27lower_bound_config_selectorIxN6thrust23THRUST_200600_302600_NS6detail10any_assignEEEZNS1_14transform_implILb0ES3_S9_NS7_15normal_iteratorINS6_10device_ptrIxEEEENS6_16discard_iteratorINS6_11use_defaultEEEZNS1_13binary_searchIS3_S9_SE_SE_SH_NS1_21lower_bound_search_opENS7_16wrapped_functionINS0_4lessIvEEbEEEE10hipError_tPvRmT1_T2_T3_mmT4_T5_P12ihipStream_tbEUlRKxE_EESO_SS_ST_mSU_SX_bEUlT_E_NS1_11comp_targetILNS1_3genE8ELNS1_11target_archE1030ELNS1_3gpuE2ELNS1_3repE0EEENS1_30default_config_static_selectorELNS0_4arch9wavefront6targetE0EEEvSR_,comdat
.Lfunc_end554:
	.size	_ZN7rocprim17ROCPRIM_400000_NS6detail17trampoline_kernelINS0_14default_configENS1_27lower_bound_config_selectorIxN6thrust23THRUST_200600_302600_NS6detail10any_assignEEEZNS1_14transform_implILb0ES3_S9_NS7_15normal_iteratorINS6_10device_ptrIxEEEENS6_16discard_iteratorINS6_11use_defaultEEEZNS1_13binary_searchIS3_S9_SE_SE_SH_NS1_21lower_bound_search_opENS7_16wrapped_functionINS0_4lessIvEEbEEEE10hipError_tPvRmT1_T2_T3_mmT4_T5_P12ihipStream_tbEUlRKxE_EESO_SS_ST_mSU_SX_bEUlT_E_NS1_11comp_targetILNS1_3genE8ELNS1_11target_archE1030ELNS1_3gpuE2ELNS1_3repE0EEENS1_30default_config_static_selectorELNS0_4arch9wavefront6targetE0EEEvSR_, .Lfunc_end554-_ZN7rocprim17ROCPRIM_400000_NS6detail17trampoline_kernelINS0_14default_configENS1_27lower_bound_config_selectorIxN6thrust23THRUST_200600_302600_NS6detail10any_assignEEEZNS1_14transform_implILb0ES3_S9_NS7_15normal_iteratorINS6_10device_ptrIxEEEENS6_16discard_iteratorINS6_11use_defaultEEEZNS1_13binary_searchIS3_S9_SE_SE_SH_NS1_21lower_bound_search_opENS7_16wrapped_functionINS0_4lessIvEEbEEEE10hipError_tPvRmT1_T2_T3_mmT4_T5_P12ihipStream_tbEUlRKxE_EESO_SS_ST_mSU_SX_bEUlT_E_NS1_11comp_targetILNS1_3genE8ELNS1_11target_archE1030ELNS1_3gpuE2ELNS1_3repE0EEENS1_30default_config_static_selectorELNS0_4arch9wavefront6targetE0EEEvSR_
                                        ; -- End function
	.section	.AMDGPU.csdata,"",@progbits
; Kernel info:
; codeLenInByte = 0
; NumSgprs: 0
; NumVgprs: 0
; ScratchSize: 0
; MemoryBound: 0
; FloatMode: 240
; IeeeMode: 1
; LDSByteSize: 0 bytes/workgroup (compile time only)
; SGPRBlocks: 0
; VGPRBlocks: 0
; NumSGPRsForWavesPerEU: 1
; NumVGPRsForWavesPerEU: 1
; Occupancy: 16
; WaveLimiterHint : 0
; COMPUTE_PGM_RSRC2:SCRATCH_EN: 0
; COMPUTE_PGM_RSRC2:USER_SGPR: 15
; COMPUTE_PGM_RSRC2:TRAP_HANDLER: 0
; COMPUTE_PGM_RSRC2:TGID_X_EN: 1
; COMPUTE_PGM_RSRC2:TGID_Y_EN: 0
; COMPUTE_PGM_RSRC2:TGID_Z_EN: 0
; COMPUTE_PGM_RSRC2:TIDIG_COMP_CNT: 0
	.section	.text._ZN7rocprim17ROCPRIM_400000_NS6detail17trampoline_kernelINS0_14default_configENS1_27lower_bound_config_selectorIiN6thrust23THRUST_200600_302600_NS6detail10any_assignEEEZNS1_14transform_implILb0ES3_S9_NS7_15normal_iteratorINS6_10device_ptrIiEEEENS6_16discard_iteratorINS6_11use_defaultEEEZNS1_13binary_searchIS3_S9_SE_SE_SH_NS1_21lower_bound_search_opENS7_16wrapped_functionINS0_4lessIvEEbEEEE10hipError_tPvRmT1_T2_T3_mmT4_T5_P12ihipStream_tbEUlRKiE_EESO_SS_ST_mSU_SX_bEUlT_E_NS1_11comp_targetILNS1_3genE0ELNS1_11target_archE4294967295ELNS1_3gpuE0ELNS1_3repE0EEENS1_30default_config_static_selectorELNS0_4arch9wavefront6targetE0EEEvSR_,"axG",@progbits,_ZN7rocprim17ROCPRIM_400000_NS6detail17trampoline_kernelINS0_14default_configENS1_27lower_bound_config_selectorIiN6thrust23THRUST_200600_302600_NS6detail10any_assignEEEZNS1_14transform_implILb0ES3_S9_NS7_15normal_iteratorINS6_10device_ptrIiEEEENS6_16discard_iteratorINS6_11use_defaultEEEZNS1_13binary_searchIS3_S9_SE_SE_SH_NS1_21lower_bound_search_opENS7_16wrapped_functionINS0_4lessIvEEbEEEE10hipError_tPvRmT1_T2_T3_mmT4_T5_P12ihipStream_tbEUlRKiE_EESO_SS_ST_mSU_SX_bEUlT_E_NS1_11comp_targetILNS1_3genE0ELNS1_11target_archE4294967295ELNS1_3gpuE0ELNS1_3repE0EEENS1_30default_config_static_selectorELNS0_4arch9wavefront6targetE0EEEvSR_,comdat
	.protected	_ZN7rocprim17ROCPRIM_400000_NS6detail17trampoline_kernelINS0_14default_configENS1_27lower_bound_config_selectorIiN6thrust23THRUST_200600_302600_NS6detail10any_assignEEEZNS1_14transform_implILb0ES3_S9_NS7_15normal_iteratorINS6_10device_ptrIiEEEENS6_16discard_iteratorINS6_11use_defaultEEEZNS1_13binary_searchIS3_S9_SE_SE_SH_NS1_21lower_bound_search_opENS7_16wrapped_functionINS0_4lessIvEEbEEEE10hipError_tPvRmT1_T2_T3_mmT4_T5_P12ihipStream_tbEUlRKiE_EESO_SS_ST_mSU_SX_bEUlT_E_NS1_11comp_targetILNS1_3genE0ELNS1_11target_archE4294967295ELNS1_3gpuE0ELNS1_3repE0EEENS1_30default_config_static_selectorELNS0_4arch9wavefront6targetE0EEEvSR_ ; -- Begin function _ZN7rocprim17ROCPRIM_400000_NS6detail17trampoline_kernelINS0_14default_configENS1_27lower_bound_config_selectorIiN6thrust23THRUST_200600_302600_NS6detail10any_assignEEEZNS1_14transform_implILb0ES3_S9_NS7_15normal_iteratorINS6_10device_ptrIiEEEENS6_16discard_iteratorINS6_11use_defaultEEEZNS1_13binary_searchIS3_S9_SE_SE_SH_NS1_21lower_bound_search_opENS7_16wrapped_functionINS0_4lessIvEEbEEEE10hipError_tPvRmT1_T2_T3_mmT4_T5_P12ihipStream_tbEUlRKiE_EESO_SS_ST_mSU_SX_bEUlT_E_NS1_11comp_targetILNS1_3genE0ELNS1_11target_archE4294967295ELNS1_3gpuE0ELNS1_3repE0EEENS1_30default_config_static_selectorELNS0_4arch9wavefront6targetE0EEEvSR_
	.globl	_ZN7rocprim17ROCPRIM_400000_NS6detail17trampoline_kernelINS0_14default_configENS1_27lower_bound_config_selectorIiN6thrust23THRUST_200600_302600_NS6detail10any_assignEEEZNS1_14transform_implILb0ES3_S9_NS7_15normal_iteratorINS6_10device_ptrIiEEEENS6_16discard_iteratorINS6_11use_defaultEEEZNS1_13binary_searchIS3_S9_SE_SE_SH_NS1_21lower_bound_search_opENS7_16wrapped_functionINS0_4lessIvEEbEEEE10hipError_tPvRmT1_T2_T3_mmT4_T5_P12ihipStream_tbEUlRKiE_EESO_SS_ST_mSU_SX_bEUlT_E_NS1_11comp_targetILNS1_3genE0ELNS1_11target_archE4294967295ELNS1_3gpuE0ELNS1_3repE0EEENS1_30default_config_static_selectorELNS0_4arch9wavefront6targetE0EEEvSR_
	.p2align	8
	.type	_ZN7rocprim17ROCPRIM_400000_NS6detail17trampoline_kernelINS0_14default_configENS1_27lower_bound_config_selectorIiN6thrust23THRUST_200600_302600_NS6detail10any_assignEEEZNS1_14transform_implILb0ES3_S9_NS7_15normal_iteratorINS6_10device_ptrIiEEEENS6_16discard_iteratorINS6_11use_defaultEEEZNS1_13binary_searchIS3_S9_SE_SE_SH_NS1_21lower_bound_search_opENS7_16wrapped_functionINS0_4lessIvEEbEEEE10hipError_tPvRmT1_T2_T3_mmT4_T5_P12ihipStream_tbEUlRKiE_EESO_SS_ST_mSU_SX_bEUlT_E_NS1_11comp_targetILNS1_3genE0ELNS1_11target_archE4294967295ELNS1_3gpuE0ELNS1_3repE0EEENS1_30default_config_static_selectorELNS0_4arch9wavefront6targetE0EEEvSR_,@function
_ZN7rocprim17ROCPRIM_400000_NS6detail17trampoline_kernelINS0_14default_configENS1_27lower_bound_config_selectorIiN6thrust23THRUST_200600_302600_NS6detail10any_assignEEEZNS1_14transform_implILb0ES3_S9_NS7_15normal_iteratorINS6_10device_ptrIiEEEENS6_16discard_iteratorINS6_11use_defaultEEEZNS1_13binary_searchIS3_S9_SE_SE_SH_NS1_21lower_bound_search_opENS7_16wrapped_functionINS0_4lessIvEEbEEEE10hipError_tPvRmT1_T2_T3_mmT4_T5_P12ihipStream_tbEUlRKiE_EESO_SS_ST_mSU_SX_bEUlT_E_NS1_11comp_targetILNS1_3genE0ELNS1_11target_archE4294967295ELNS1_3gpuE0ELNS1_3repE0EEENS1_30default_config_static_selectorELNS0_4arch9wavefront6targetE0EEEvSR_: ; @_ZN7rocprim17ROCPRIM_400000_NS6detail17trampoline_kernelINS0_14default_configENS1_27lower_bound_config_selectorIiN6thrust23THRUST_200600_302600_NS6detail10any_assignEEEZNS1_14transform_implILb0ES3_S9_NS7_15normal_iteratorINS6_10device_ptrIiEEEENS6_16discard_iteratorINS6_11use_defaultEEEZNS1_13binary_searchIS3_S9_SE_SE_SH_NS1_21lower_bound_search_opENS7_16wrapped_functionINS0_4lessIvEEbEEEE10hipError_tPvRmT1_T2_T3_mmT4_T5_P12ihipStream_tbEUlRKiE_EESO_SS_ST_mSU_SX_bEUlT_E_NS1_11comp_targetILNS1_3genE0ELNS1_11target_archE4294967295ELNS1_3gpuE0ELNS1_3repE0EEENS1_30default_config_static_selectorELNS0_4arch9wavefront6targetE0EEEvSR_
; %bb.0:
	.section	.rodata,"a",@progbits
	.p2align	6, 0x0
	.amdhsa_kernel _ZN7rocprim17ROCPRIM_400000_NS6detail17trampoline_kernelINS0_14default_configENS1_27lower_bound_config_selectorIiN6thrust23THRUST_200600_302600_NS6detail10any_assignEEEZNS1_14transform_implILb0ES3_S9_NS7_15normal_iteratorINS6_10device_ptrIiEEEENS6_16discard_iteratorINS6_11use_defaultEEEZNS1_13binary_searchIS3_S9_SE_SE_SH_NS1_21lower_bound_search_opENS7_16wrapped_functionINS0_4lessIvEEbEEEE10hipError_tPvRmT1_T2_T3_mmT4_T5_P12ihipStream_tbEUlRKiE_EESO_SS_ST_mSU_SX_bEUlT_E_NS1_11comp_targetILNS1_3genE0ELNS1_11target_archE4294967295ELNS1_3gpuE0ELNS1_3repE0EEENS1_30default_config_static_selectorELNS0_4arch9wavefront6targetE0EEEvSR_
		.amdhsa_group_segment_fixed_size 0
		.amdhsa_private_segment_fixed_size 0
		.amdhsa_kernarg_size 64
		.amdhsa_user_sgpr_count 15
		.amdhsa_user_sgpr_dispatch_ptr 0
		.amdhsa_user_sgpr_queue_ptr 0
		.amdhsa_user_sgpr_kernarg_segment_ptr 1
		.amdhsa_user_sgpr_dispatch_id 0
		.amdhsa_user_sgpr_private_segment_size 0
		.amdhsa_wavefront_size32 1
		.amdhsa_uses_dynamic_stack 0
		.amdhsa_enable_private_segment 0
		.amdhsa_system_sgpr_workgroup_id_x 1
		.amdhsa_system_sgpr_workgroup_id_y 0
		.amdhsa_system_sgpr_workgroup_id_z 0
		.amdhsa_system_sgpr_workgroup_info 0
		.amdhsa_system_vgpr_workitem_id 0
		.amdhsa_next_free_vgpr 1
		.amdhsa_next_free_sgpr 1
		.amdhsa_reserve_vcc 0
		.amdhsa_float_round_mode_32 0
		.amdhsa_float_round_mode_16_64 0
		.amdhsa_float_denorm_mode_32 3
		.amdhsa_float_denorm_mode_16_64 3
		.amdhsa_dx10_clamp 1
		.amdhsa_ieee_mode 1
		.amdhsa_fp16_overflow 0
		.amdhsa_workgroup_processor_mode 1
		.amdhsa_memory_ordered 1
		.amdhsa_forward_progress 0
		.amdhsa_shared_vgpr_count 0
		.amdhsa_exception_fp_ieee_invalid_op 0
		.amdhsa_exception_fp_denorm_src 0
		.amdhsa_exception_fp_ieee_div_zero 0
		.amdhsa_exception_fp_ieee_overflow 0
		.amdhsa_exception_fp_ieee_underflow 0
		.amdhsa_exception_fp_ieee_inexact 0
		.amdhsa_exception_int_div_zero 0
	.end_amdhsa_kernel
	.section	.text._ZN7rocprim17ROCPRIM_400000_NS6detail17trampoline_kernelINS0_14default_configENS1_27lower_bound_config_selectorIiN6thrust23THRUST_200600_302600_NS6detail10any_assignEEEZNS1_14transform_implILb0ES3_S9_NS7_15normal_iteratorINS6_10device_ptrIiEEEENS6_16discard_iteratorINS6_11use_defaultEEEZNS1_13binary_searchIS3_S9_SE_SE_SH_NS1_21lower_bound_search_opENS7_16wrapped_functionINS0_4lessIvEEbEEEE10hipError_tPvRmT1_T2_T3_mmT4_T5_P12ihipStream_tbEUlRKiE_EESO_SS_ST_mSU_SX_bEUlT_E_NS1_11comp_targetILNS1_3genE0ELNS1_11target_archE4294967295ELNS1_3gpuE0ELNS1_3repE0EEENS1_30default_config_static_selectorELNS0_4arch9wavefront6targetE0EEEvSR_,"axG",@progbits,_ZN7rocprim17ROCPRIM_400000_NS6detail17trampoline_kernelINS0_14default_configENS1_27lower_bound_config_selectorIiN6thrust23THRUST_200600_302600_NS6detail10any_assignEEEZNS1_14transform_implILb0ES3_S9_NS7_15normal_iteratorINS6_10device_ptrIiEEEENS6_16discard_iteratorINS6_11use_defaultEEEZNS1_13binary_searchIS3_S9_SE_SE_SH_NS1_21lower_bound_search_opENS7_16wrapped_functionINS0_4lessIvEEbEEEE10hipError_tPvRmT1_T2_T3_mmT4_T5_P12ihipStream_tbEUlRKiE_EESO_SS_ST_mSU_SX_bEUlT_E_NS1_11comp_targetILNS1_3genE0ELNS1_11target_archE4294967295ELNS1_3gpuE0ELNS1_3repE0EEENS1_30default_config_static_selectorELNS0_4arch9wavefront6targetE0EEEvSR_,comdat
.Lfunc_end555:
	.size	_ZN7rocprim17ROCPRIM_400000_NS6detail17trampoline_kernelINS0_14default_configENS1_27lower_bound_config_selectorIiN6thrust23THRUST_200600_302600_NS6detail10any_assignEEEZNS1_14transform_implILb0ES3_S9_NS7_15normal_iteratorINS6_10device_ptrIiEEEENS6_16discard_iteratorINS6_11use_defaultEEEZNS1_13binary_searchIS3_S9_SE_SE_SH_NS1_21lower_bound_search_opENS7_16wrapped_functionINS0_4lessIvEEbEEEE10hipError_tPvRmT1_T2_T3_mmT4_T5_P12ihipStream_tbEUlRKiE_EESO_SS_ST_mSU_SX_bEUlT_E_NS1_11comp_targetILNS1_3genE0ELNS1_11target_archE4294967295ELNS1_3gpuE0ELNS1_3repE0EEENS1_30default_config_static_selectorELNS0_4arch9wavefront6targetE0EEEvSR_, .Lfunc_end555-_ZN7rocprim17ROCPRIM_400000_NS6detail17trampoline_kernelINS0_14default_configENS1_27lower_bound_config_selectorIiN6thrust23THRUST_200600_302600_NS6detail10any_assignEEEZNS1_14transform_implILb0ES3_S9_NS7_15normal_iteratorINS6_10device_ptrIiEEEENS6_16discard_iteratorINS6_11use_defaultEEEZNS1_13binary_searchIS3_S9_SE_SE_SH_NS1_21lower_bound_search_opENS7_16wrapped_functionINS0_4lessIvEEbEEEE10hipError_tPvRmT1_T2_T3_mmT4_T5_P12ihipStream_tbEUlRKiE_EESO_SS_ST_mSU_SX_bEUlT_E_NS1_11comp_targetILNS1_3genE0ELNS1_11target_archE4294967295ELNS1_3gpuE0ELNS1_3repE0EEENS1_30default_config_static_selectorELNS0_4arch9wavefront6targetE0EEEvSR_
                                        ; -- End function
	.section	.AMDGPU.csdata,"",@progbits
; Kernel info:
; codeLenInByte = 0
; NumSgprs: 0
; NumVgprs: 0
; ScratchSize: 0
; MemoryBound: 0
; FloatMode: 240
; IeeeMode: 1
; LDSByteSize: 0 bytes/workgroup (compile time only)
; SGPRBlocks: 0
; VGPRBlocks: 0
; NumSGPRsForWavesPerEU: 1
; NumVGPRsForWavesPerEU: 1
; Occupancy: 16
; WaveLimiterHint : 0
; COMPUTE_PGM_RSRC2:SCRATCH_EN: 0
; COMPUTE_PGM_RSRC2:USER_SGPR: 15
; COMPUTE_PGM_RSRC2:TRAP_HANDLER: 0
; COMPUTE_PGM_RSRC2:TGID_X_EN: 1
; COMPUTE_PGM_RSRC2:TGID_Y_EN: 0
; COMPUTE_PGM_RSRC2:TGID_Z_EN: 0
; COMPUTE_PGM_RSRC2:TIDIG_COMP_CNT: 0
	.section	.text._ZN7rocprim17ROCPRIM_400000_NS6detail17trampoline_kernelINS0_14default_configENS1_27lower_bound_config_selectorIiN6thrust23THRUST_200600_302600_NS6detail10any_assignEEEZNS1_14transform_implILb0ES3_S9_NS7_15normal_iteratorINS6_10device_ptrIiEEEENS6_16discard_iteratorINS6_11use_defaultEEEZNS1_13binary_searchIS3_S9_SE_SE_SH_NS1_21lower_bound_search_opENS7_16wrapped_functionINS0_4lessIvEEbEEEE10hipError_tPvRmT1_T2_T3_mmT4_T5_P12ihipStream_tbEUlRKiE_EESO_SS_ST_mSU_SX_bEUlT_E_NS1_11comp_targetILNS1_3genE5ELNS1_11target_archE942ELNS1_3gpuE9ELNS1_3repE0EEENS1_30default_config_static_selectorELNS0_4arch9wavefront6targetE0EEEvSR_,"axG",@progbits,_ZN7rocprim17ROCPRIM_400000_NS6detail17trampoline_kernelINS0_14default_configENS1_27lower_bound_config_selectorIiN6thrust23THRUST_200600_302600_NS6detail10any_assignEEEZNS1_14transform_implILb0ES3_S9_NS7_15normal_iteratorINS6_10device_ptrIiEEEENS6_16discard_iteratorINS6_11use_defaultEEEZNS1_13binary_searchIS3_S9_SE_SE_SH_NS1_21lower_bound_search_opENS7_16wrapped_functionINS0_4lessIvEEbEEEE10hipError_tPvRmT1_T2_T3_mmT4_T5_P12ihipStream_tbEUlRKiE_EESO_SS_ST_mSU_SX_bEUlT_E_NS1_11comp_targetILNS1_3genE5ELNS1_11target_archE942ELNS1_3gpuE9ELNS1_3repE0EEENS1_30default_config_static_selectorELNS0_4arch9wavefront6targetE0EEEvSR_,comdat
	.protected	_ZN7rocprim17ROCPRIM_400000_NS6detail17trampoline_kernelINS0_14default_configENS1_27lower_bound_config_selectorIiN6thrust23THRUST_200600_302600_NS6detail10any_assignEEEZNS1_14transform_implILb0ES3_S9_NS7_15normal_iteratorINS6_10device_ptrIiEEEENS6_16discard_iteratorINS6_11use_defaultEEEZNS1_13binary_searchIS3_S9_SE_SE_SH_NS1_21lower_bound_search_opENS7_16wrapped_functionINS0_4lessIvEEbEEEE10hipError_tPvRmT1_T2_T3_mmT4_T5_P12ihipStream_tbEUlRKiE_EESO_SS_ST_mSU_SX_bEUlT_E_NS1_11comp_targetILNS1_3genE5ELNS1_11target_archE942ELNS1_3gpuE9ELNS1_3repE0EEENS1_30default_config_static_selectorELNS0_4arch9wavefront6targetE0EEEvSR_ ; -- Begin function _ZN7rocprim17ROCPRIM_400000_NS6detail17trampoline_kernelINS0_14default_configENS1_27lower_bound_config_selectorIiN6thrust23THRUST_200600_302600_NS6detail10any_assignEEEZNS1_14transform_implILb0ES3_S9_NS7_15normal_iteratorINS6_10device_ptrIiEEEENS6_16discard_iteratorINS6_11use_defaultEEEZNS1_13binary_searchIS3_S9_SE_SE_SH_NS1_21lower_bound_search_opENS7_16wrapped_functionINS0_4lessIvEEbEEEE10hipError_tPvRmT1_T2_T3_mmT4_T5_P12ihipStream_tbEUlRKiE_EESO_SS_ST_mSU_SX_bEUlT_E_NS1_11comp_targetILNS1_3genE5ELNS1_11target_archE942ELNS1_3gpuE9ELNS1_3repE0EEENS1_30default_config_static_selectorELNS0_4arch9wavefront6targetE0EEEvSR_
	.globl	_ZN7rocprim17ROCPRIM_400000_NS6detail17trampoline_kernelINS0_14default_configENS1_27lower_bound_config_selectorIiN6thrust23THRUST_200600_302600_NS6detail10any_assignEEEZNS1_14transform_implILb0ES3_S9_NS7_15normal_iteratorINS6_10device_ptrIiEEEENS6_16discard_iteratorINS6_11use_defaultEEEZNS1_13binary_searchIS3_S9_SE_SE_SH_NS1_21lower_bound_search_opENS7_16wrapped_functionINS0_4lessIvEEbEEEE10hipError_tPvRmT1_T2_T3_mmT4_T5_P12ihipStream_tbEUlRKiE_EESO_SS_ST_mSU_SX_bEUlT_E_NS1_11comp_targetILNS1_3genE5ELNS1_11target_archE942ELNS1_3gpuE9ELNS1_3repE0EEENS1_30default_config_static_selectorELNS0_4arch9wavefront6targetE0EEEvSR_
	.p2align	8
	.type	_ZN7rocprim17ROCPRIM_400000_NS6detail17trampoline_kernelINS0_14default_configENS1_27lower_bound_config_selectorIiN6thrust23THRUST_200600_302600_NS6detail10any_assignEEEZNS1_14transform_implILb0ES3_S9_NS7_15normal_iteratorINS6_10device_ptrIiEEEENS6_16discard_iteratorINS6_11use_defaultEEEZNS1_13binary_searchIS3_S9_SE_SE_SH_NS1_21lower_bound_search_opENS7_16wrapped_functionINS0_4lessIvEEbEEEE10hipError_tPvRmT1_T2_T3_mmT4_T5_P12ihipStream_tbEUlRKiE_EESO_SS_ST_mSU_SX_bEUlT_E_NS1_11comp_targetILNS1_3genE5ELNS1_11target_archE942ELNS1_3gpuE9ELNS1_3repE0EEENS1_30default_config_static_selectorELNS0_4arch9wavefront6targetE0EEEvSR_,@function
_ZN7rocprim17ROCPRIM_400000_NS6detail17trampoline_kernelINS0_14default_configENS1_27lower_bound_config_selectorIiN6thrust23THRUST_200600_302600_NS6detail10any_assignEEEZNS1_14transform_implILb0ES3_S9_NS7_15normal_iteratorINS6_10device_ptrIiEEEENS6_16discard_iteratorINS6_11use_defaultEEEZNS1_13binary_searchIS3_S9_SE_SE_SH_NS1_21lower_bound_search_opENS7_16wrapped_functionINS0_4lessIvEEbEEEE10hipError_tPvRmT1_T2_T3_mmT4_T5_P12ihipStream_tbEUlRKiE_EESO_SS_ST_mSU_SX_bEUlT_E_NS1_11comp_targetILNS1_3genE5ELNS1_11target_archE942ELNS1_3gpuE9ELNS1_3repE0EEENS1_30default_config_static_selectorELNS0_4arch9wavefront6targetE0EEEvSR_: ; @_ZN7rocprim17ROCPRIM_400000_NS6detail17trampoline_kernelINS0_14default_configENS1_27lower_bound_config_selectorIiN6thrust23THRUST_200600_302600_NS6detail10any_assignEEEZNS1_14transform_implILb0ES3_S9_NS7_15normal_iteratorINS6_10device_ptrIiEEEENS6_16discard_iteratorINS6_11use_defaultEEEZNS1_13binary_searchIS3_S9_SE_SE_SH_NS1_21lower_bound_search_opENS7_16wrapped_functionINS0_4lessIvEEbEEEE10hipError_tPvRmT1_T2_T3_mmT4_T5_P12ihipStream_tbEUlRKiE_EESO_SS_ST_mSU_SX_bEUlT_E_NS1_11comp_targetILNS1_3genE5ELNS1_11target_archE942ELNS1_3gpuE9ELNS1_3repE0EEENS1_30default_config_static_selectorELNS0_4arch9wavefront6targetE0EEEvSR_
; %bb.0:
	.section	.rodata,"a",@progbits
	.p2align	6, 0x0
	.amdhsa_kernel _ZN7rocprim17ROCPRIM_400000_NS6detail17trampoline_kernelINS0_14default_configENS1_27lower_bound_config_selectorIiN6thrust23THRUST_200600_302600_NS6detail10any_assignEEEZNS1_14transform_implILb0ES3_S9_NS7_15normal_iteratorINS6_10device_ptrIiEEEENS6_16discard_iteratorINS6_11use_defaultEEEZNS1_13binary_searchIS3_S9_SE_SE_SH_NS1_21lower_bound_search_opENS7_16wrapped_functionINS0_4lessIvEEbEEEE10hipError_tPvRmT1_T2_T3_mmT4_T5_P12ihipStream_tbEUlRKiE_EESO_SS_ST_mSU_SX_bEUlT_E_NS1_11comp_targetILNS1_3genE5ELNS1_11target_archE942ELNS1_3gpuE9ELNS1_3repE0EEENS1_30default_config_static_selectorELNS0_4arch9wavefront6targetE0EEEvSR_
		.amdhsa_group_segment_fixed_size 0
		.amdhsa_private_segment_fixed_size 0
		.amdhsa_kernarg_size 64
		.amdhsa_user_sgpr_count 15
		.amdhsa_user_sgpr_dispatch_ptr 0
		.amdhsa_user_sgpr_queue_ptr 0
		.amdhsa_user_sgpr_kernarg_segment_ptr 1
		.amdhsa_user_sgpr_dispatch_id 0
		.amdhsa_user_sgpr_private_segment_size 0
		.amdhsa_wavefront_size32 1
		.amdhsa_uses_dynamic_stack 0
		.amdhsa_enable_private_segment 0
		.amdhsa_system_sgpr_workgroup_id_x 1
		.amdhsa_system_sgpr_workgroup_id_y 0
		.amdhsa_system_sgpr_workgroup_id_z 0
		.amdhsa_system_sgpr_workgroup_info 0
		.amdhsa_system_vgpr_workitem_id 0
		.amdhsa_next_free_vgpr 1
		.amdhsa_next_free_sgpr 1
		.amdhsa_reserve_vcc 0
		.amdhsa_float_round_mode_32 0
		.amdhsa_float_round_mode_16_64 0
		.amdhsa_float_denorm_mode_32 3
		.amdhsa_float_denorm_mode_16_64 3
		.amdhsa_dx10_clamp 1
		.amdhsa_ieee_mode 1
		.amdhsa_fp16_overflow 0
		.amdhsa_workgroup_processor_mode 1
		.amdhsa_memory_ordered 1
		.amdhsa_forward_progress 0
		.amdhsa_shared_vgpr_count 0
		.amdhsa_exception_fp_ieee_invalid_op 0
		.amdhsa_exception_fp_denorm_src 0
		.amdhsa_exception_fp_ieee_div_zero 0
		.amdhsa_exception_fp_ieee_overflow 0
		.amdhsa_exception_fp_ieee_underflow 0
		.amdhsa_exception_fp_ieee_inexact 0
		.amdhsa_exception_int_div_zero 0
	.end_amdhsa_kernel
	.section	.text._ZN7rocprim17ROCPRIM_400000_NS6detail17trampoline_kernelINS0_14default_configENS1_27lower_bound_config_selectorIiN6thrust23THRUST_200600_302600_NS6detail10any_assignEEEZNS1_14transform_implILb0ES3_S9_NS7_15normal_iteratorINS6_10device_ptrIiEEEENS6_16discard_iteratorINS6_11use_defaultEEEZNS1_13binary_searchIS3_S9_SE_SE_SH_NS1_21lower_bound_search_opENS7_16wrapped_functionINS0_4lessIvEEbEEEE10hipError_tPvRmT1_T2_T3_mmT4_T5_P12ihipStream_tbEUlRKiE_EESO_SS_ST_mSU_SX_bEUlT_E_NS1_11comp_targetILNS1_3genE5ELNS1_11target_archE942ELNS1_3gpuE9ELNS1_3repE0EEENS1_30default_config_static_selectorELNS0_4arch9wavefront6targetE0EEEvSR_,"axG",@progbits,_ZN7rocprim17ROCPRIM_400000_NS6detail17trampoline_kernelINS0_14default_configENS1_27lower_bound_config_selectorIiN6thrust23THRUST_200600_302600_NS6detail10any_assignEEEZNS1_14transform_implILb0ES3_S9_NS7_15normal_iteratorINS6_10device_ptrIiEEEENS6_16discard_iteratorINS6_11use_defaultEEEZNS1_13binary_searchIS3_S9_SE_SE_SH_NS1_21lower_bound_search_opENS7_16wrapped_functionINS0_4lessIvEEbEEEE10hipError_tPvRmT1_T2_T3_mmT4_T5_P12ihipStream_tbEUlRKiE_EESO_SS_ST_mSU_SX_bEUlT_E_NS1_11comp_targetILNS1_3genE5ELNS1_11target_archE942ELNS1_3gpuE9ELNS1_3repE0EEENS1_30default_config_static_selectorELNS0_4arch9wavefront6targetE0EEEvSR_,comdat
.Lfunc_end556:
	.size	_ZN7rocprim17ROCPRIM_400000_NS6detail17trampoline_kernelINS0_14default_configENS1_27lower_bound_config_selectorIiN6thrust23THRUST_200600_302600_NS6detail10any_assignEEEZNS1_14transform_implILb0ES3_S9_NS7_15normal_iteratorINS6_10device_ptrIiEEEENS6_16discard_iteratorINS6_11use_defaultEEEZNS1_13binary_searchIS3_S9_SE_SE_SH_NS1_21lower_bound_search_opENS7_16wrapped_functionINS0_4lessIvEEbEEEE10hipError_tPvRmT1_T2_T3_mmT4_T5_P12ihipStream_tbEUlRKiE_EESO_SS_ST_mSU_SX_bEUlT_E_NS1_11comp_targetILNS1_3genE5ELNS1_11target_archE942ELNS1_3gpuE9ELNS1_3repE0EEENS1_30default_config_static_selectorELNS0_4arch9wavefront6targetE0EEEvSR_, .Lfunc_end556-_ZN7rocprim17ROCPRIM_400000_NS6detail17trampoline_kernelINS0_14default_configENS1_27lower_bound_config_selectorIiN6thrust23THRUST_200600_302600_NS6detail10any_assignEEEZNS1_14transform_implILb0ES3_S9_NS7_15normal_iteratorINS6_10device_ptrIiEEEENS6_16discard_iteratorINS6_11use_defaultEEEZNS1_13binary_searchIS3_S9_SE_SE_SH_NS1_21lower_bound_search_opENS7_16wrapped_functionINS0_4lessIvEEbEEEE10hipError_tPvRmT1_T2_T3_mmT4_T5_P12ihipStream_tbEUlRKiE_EESO_SS_ST_mSU_SX_bEUlT_E_NS1_11comp_targetILNS1_3genE5ELNS1_11target_archE942ELNS1_3gpuE9ELNS1_3repE0EEENS1_30default_config_static_selectorELNS0_4arch9wavefront6targetE0EEEvSR_
                                        ; -- End function
	.section	.AMDGPU.csdata,"",@progbits
; Kernel info:
; codeLenInByte = 0
; NumSgprs: 0
; NumVgprs: 0
; ScratchSize: 0
; MemoryBound: 0
; FloatMode: 240
; IeeeMode: 1
; LDSByteSize: 0 bytes/workgroup (compile time only)
; SGPRBlocks: 0
; VGPRBlocks: 0
; NumSGPRsForWavesPerEU: 1
; NumVGPRsForWavesPerEU: 1
; Occupancy: 16
; WaveLimiterHint : 0
; COMPUTE_PGM_RSRC2:SCRATCH_EN: 0
; COMPUTE_PGM_RSRC2:USER_SGPR: 15
; COMPUTE_PGM_RSRC2:TRAP_HANDLER: 0
; COMPUTE_PGM_RSRC2:TGID_X_EN: 1
; COMPUTE_PGM_RSRC2:TGID_Y_EN: 0
; COMPUTE_PGM_RSRC2:TGID_Z_EN: 0
; COMPUTE_PGM_RSRC2:TIDIG_COMP_CNT: 0
	.section	.text._ZN7rocprim17ROCPRIM_400000_NS6detail17trampoline_kernelINS0_14default_configENS1_27lower_bound_config_selectorIiN6thrust23THRUST_200600_302600_NS6detail10any_assignEEEZNS1_14transform_implILb0ES3_S9_NS7_15normal_iteratorINS6_10device_ptrIiEEEENS6_16discard_iteratorINS6_11use_defaultEEEZNS1_13binary_searchIS3_S9_SE_SE_SH_NS1_21lower_bound_search_opENS7_16wrapped_functionINS0_4lessIvEEbEEEE10hipError_tPvRmT1_T2_T3_mmT4_T5_P12ihipStream_tbEUlRKiE_EESO_SS_ST_mSU_SX_bEUlT_E_NS1_11comp_targetILNS1_3genE4ELNS1_11target_archE910ELNS1_3gpuE8ELNS1_3repE0EEENS1_30default_config_static_selectorELNS0_4arch9wavefront6targetE0EEEvSR_,"axG",@progbits,_ZN7rocprim17ROCPRIM_400000_NS6detail17trampoline_kernelINS0_14default_configENS1_27lower_bound_config_selectorIiN6thrust23THRUST_200600_302600_NS6detail10any_assignEEEZNS1_14transform_implILb0ES3_S9_NS7_15normal_iteratorINS6_10device_ptrIiEEEENS6_16discard_iteratorINS6_11use_defaultEEEZNS1_13binary_searchIS3_S9_SE_SE_SH_NS1_21lower_bound_search_opENS7_16wrapped_functionINS0_4lessIvEEbEEEE10hipError_tPvRmT1_T2_T3_mmT4_T5_P12ihipStream_tbEUlRKiE_EESO_SS_ST_mSU_SX_bEUlT_E_NS1_11comp_targetILNS1_3genE4ELNS1_11target_archE910ELNS1_3gpuE8ELNS1_3repE0EEENS1_30default_config_static_selectorELNS0_4arch9wavefront6targetE0EEEvSR_,comdat
	.protected	_ZN7rocprim17ROCPRIM_400000_NS6detail17trampoline_kernelINS0_14default_configENS1_27lower_bound_config_selectorIiN6thrust23THRUST_200600_302600_NS6detail10any_assignEEEZNS1_14transform_implILb0ES3_S9_NS7_15normal_iteratorINS6_10device_ptrIiEEEENS6_16discard_iteratorINS6_11use_defaultEEEZNS1_13binary_searchIS3_S9_SE_SE_SH_NS1_21lower_bound_search_opENS7_16wrapped_functionINS0_4lessIvEEbEEEE10hipError_tPvRmT1_T2_T3_mmT4_T5_P12ihipStream_tbEUlRKiE_EESO_SS_ST_mSU_SX_bEUlT_E_NS1_11comp_targetILNS1_3genE4ELNS1_11target_archE910ELNS1_3gpuE8ELNS1_3repE0EEENS1_30default_config_static_selectorELNS0_4arch9wavefront6targetE0EEEvSR_ ; -- Begin function _ZN7rocprim17ROCPRIM_400000_NS6detail17trampoline_kernelINS0_14default_configENS1_27lower_bound_config_selectorIiN6thrust23THRUST_200600_302600_NS6detail10any_assignEEEZNS1_14transform_implILb0ES3_S9_NS7_15normal_iteratorINS6_10device_ptrIiEEEENS6_16discard_iteratorINS6_11use_defaultEEEZNS1_13binary_searchIS3_S9_SE_SE_SH_NS1_21lower_bound_search_opENS7_16wrapped_functionINS0_4lessIvEEbEEEE10hipError_tPvRmT1_T2_T3_mmT4_T5_P12ihipStream_tbEUlRKiE_EESO_SS_ST_mSU_SX_bEUlT_E_NS1_11comp_targetILNS1_3genE4ELNS1_11target_archE910ELNS1_3gpuE8ELNS1_3repE0EEENS1_30default_config_static_selectorELNS0_4arch9wavefront6targetE0EEEvSR_
	.globl	_ZN7rocprim17ROCPRIM_400000_NS6detail17trampoline_kernelINS0_14default_configENS1_27lower_bound_config_selectorIiN6thrust23THRUST_200600_302600_NS6detail10any_assignEEEZNS1_14transform_implILb0ES3_S9_NS7_15normal_iteratorINS6_10device_ptrIiEEEENS6_16discard_iteratorINS6_11use_defaultEEEZNS1_13binary_searchIS3_S9_SE_SE_SH_NS1_21lower_bound_search_opENS7_16wrapped_functionINS0_4lessIvEEbEEEE10hipError_tPvRmT1_T2_T3_mmT4_T5_P12ihipStream_tbEUlRKiE_EESO_SS_ST_mSU_SX_bEUlT_E_NS1_11comp_targetILNS1_3genE4ELNS1_11target_archE910ELNS1_3gpuE8ELNS1_3repE0EEENS1_30default_config_static_selectorELNS0_4arch9wavefront6targetE0EEEvSR_
	.p2align	8
	.type	_ZN7rocprim17ROCPRIM_400000_NS6detail17trampoline_kernelINS0_14default_configENS1_27lower_bound_config_selectorIiN6thrust23THRUST_200600_302600_NS6detail10any_assignEEEZNS1_14transform_implILb0ES3_S9_NS7_15normal_iteratorINS6_10device_ptrIiEEEENS6_16discard_iteratorINS6_11use_defaultEEEZNS1_13binary_searchIS3_S9_SE_SE_SH_NS1_21lower_bound_search_opENS7_16wrapped_functionINS0_4lessIvEEbEEEE10hipError_tPvRmT1_T2_T3_mmT4_T5_P12ihipStream_tbEUlRKiE_EESO_SS_ST_mSU_SX_bEUlT_E_NS1_11comp_targetILNS1_3genE4ELNS1_11target_archE910ELNS1_3gpuE8ELNS1_3repE0EEENS1_30default_config_static_selectorELNS0_4arch9wavefront6targetE0EEEvSR_,@function
_ZN7rocprim17ROCPRIM_400000_NS6detail17trampoline_kernelINS0_14default_configENS1_27lower_bound_config_selectorIiN6thrust23THRUST_200600_302600_NS6detail10any_assignEEEZNS1_14transform_implILb0ES3_S9_NS7_15normal_iteratorINS6_10device_ptrIiEEEENS6_16discard_iteratorINS6_11use_defaultEEEZNS1_13binary_searchIS3_S9_SE_SE_SH_NS1_21lower_bound_search_opENS7_16wrapped_functionINS0_4lessIvEEbEEEE10hipError_tPvRmT1_T2_T3_mmT4_T5_P12ihipStream_tbEUlRKiE_EESO_SS_ST_mSU_SX_bEUlT_E_NS1_11comp_targetILNS1_3genE4ELNS1_11target_archE910ELNS1_3gpuE8ELNS1_3repE0EEENS1_30default_config_static_selectorELNS0_4arch9wavefront6targetE0EEEvSR_: ; @_ZN7rocprim17ROCPRIM_400000_NS6detail17trampoline_kernelINS0_14default_configENS1_27lower_bound_config_selectorIiN6thrust23THRUST_200600_302600_NS6detail10any_assignEEEZNS1_14transform_implILb0ES3_S9_NS7_15normal_iteratorINS6_10device_ptrIiEEEENS6_16discard_iteratorINS6_11use_defaultEEEZNS1_13binary_searchIS3_S9_SE_SE_SH_NS1_21lower_bound_search_opENS7_16wrapped_functionINS0_4lessIvEEbEEEE10hipError_tPvRmT1_T2_T3_mmT4_T5_P12ihipStream_tbEUlRKiE_EESO_SS_ST_mSU_SX_bEUlT_E_NS1_11comp_targetILNS1_3genE4ELNS1_11target_archE910ELNS1_3gpuE8ELNS1_3repE0EEENS1_30default_config_static_selectorELNS0_4arch9wavefront6targetE0EEEvSR_
; %bb.0:
	.section	.rodata,"a",@progbits
	.p2align	6, 0x0
	.amdhsa_kernel _ZN7rocprim17ROCPRIM_400000_NS6detail17trampoline_kernelINS0_14default_configENS1_27lower_bound_config_selectorIiN6thrust23THRUST_200600_302600_NS6detail10any_assignEEEZNS1_14transform_implILb0ES3_S9_NS7_15normal_iteratorINS6_10device_ptrIiEEEENS6_16discard_iteratorINS6_11use_defaultEEEZNS1_13binary_searchIS3_S9_SE_SE_SH_NS1_21lower_bound_search_opENS7_16wrapped_functionINS0_4lessIvEEbEEEE10hipError_tPvRmT1_T2_T3_mmT4_T5_P12ihipStream_tbEUlRKiE_EESO_SS_ST_mSU_SX_bEUlT_E_NS1_11comp_targetILNS1_3genE4ELNS1_11target_archE910ELNS1_3gpuE8ELNS1_3repE0EEENS1_30default_config_static_selectorELNS0_4arch9wavefront6targetE0EEEvSR_
		.amdhsa_group_segment_fixed_size 0
		.amdhsa_private_segment_fixed_size 0
		.amdhsa_kernarg_size 64
		.amdhsa_user_sgpr_count 15
		.amdhsa_user_sgpr_dispatch_ptr 0
		.amdhsa_user_sgpr_queue_ptr 0
		.amdhsa_user_sgpr_kernarg_segment_ptr 1
		.amdhsa_user_sgpr_dispatch_id 0
		.amdhsa_user_sgpr_private_segment_size 0
		.amdhsa_wavefront_size32 1
		.amdhsa_uses_dynamic_stack 0
		.amdhsa_enable_private_segment 0
		.amdhsa_system_sgpr_workgroup_id_x 1
		.amdhsa_system_sgpr_workgroup_id_y 0
		.amdhsa_system_sgpr_workgroup_id_z 0
		.amdhsa_system_sgpr_workgroup_info 0
		.amdhsa_system_vgpr_workitem_id 0
		.amdhsa_next_free_vgpr 1
		.amdhsa_next_free_sgpr 1
		.amdhsa_reserve_vcc 0
		.amdhsa_float_round_mode_32 0
		.amdhsa_float_round_mode_16_64 0
		.amdhsa_float_denorm_mode_32 3
		.amdhsa_float_denorm_mode_16_64 3
		.amdhsa_dx10_clamp 1
		.amdhsa_ieee_mode 1
		.amdhsa_fp16_overflow 0
		.amdhsa_workgroup_processor_mode 1
		.amdhsa_memory_ordered 1
		.amdhsa_forward_progress 0
		.amdhsa_shared_vgpr_count 0
		.amdhsa_exception_fp_ieee_invalid_op 0
		.amdhsa_exception_fp_denorm_src 0
		.amdhsa_exception_fp_ieee_div_zero 0
		.amdhsa_exception_fp_ieee_overflow 0
		.amdhsa_exception_fp_ieee_underflow 0
		.amdhsa_exception_fp_ieee_inexact 0
		.amdhsa_exception_int_div_zero 0
	.end_amdhsa_kernel
	.section	.text._ZN7rocprim17ROCPRIM_400000_NS6detail17trampoline_kernelINS0_14default_configENS1_27lower_bound_config_selectorIiN6thrust23THRUST_200600_302600_NS6detail10any_assignEEEZNS1_14transform_implILb0ES3_S9_NS7_15normal_iteratorINS6_10device_ptrIiEEEENS6_16discard_iteratorINS6_11use_defaultEEEZNS1_13binary_searchIS3_S9_SE_SE_SH_NS1_21lower_bound_search_opENS7_16wrapped_functionINS0_4lessIvEEbEEEE10hipError_tPvRmT1_T2_T3_mmT4_T5_P12ihipStream_tbEUlRKiE_EESO_SS_ST_mSU_SX_bEUlT_E_NS1_11comp_targetILNS1_3genE4ELNS1_11target_archE910ELNS1_3gpuE8ELNS1_3repE0EEENS1_30default_config_static_selectorELNS0_4arch9wavefront6targetE0EEEvSR_,"axG",@progbits,_ZN7rocprim17ROCPRIM_400000_NS6detail17trampoline_kernelINS0_14default_configENS1_27lower_bound_config_selectorIiN6thrust23THRUST_200600_302600_NS6detail10any_assignEEEZNS1_14transform_implILb0ES3_S9_NS7_15normal_iteratorINS6_10device_ptrIiEEEENS6_16discard_iteratorINS6_11use_defaultEEEZNS1_13binary_searchIS3_S9_SE_SE_SH_NS1_21lower_bound_search_opENS7_16wrapped_functionINS0_4lessIvEEbEEEE10hipError_tPvRmT1_T2_T3_mmT4_T5_P12ihipStream_tbEUlRKiE_EESO_SS_ST_mSU_SX_bEUlT_E_NS1_11comp_targetILNS1_3genE4ELNS1_11target_archE910ELNS1_3gpuE8ELNS1_3repE0EEENS1_30default_config_static_selectorELNS0_4arch9wavefront6targetE0EEEvSR_,comdat
.Lfunc_end557:
	.size	_ZN7rocprim17ROCPRIM_400000_NS6detail17trampoline_kernelINS0_14default_configENS1_27lower_bound_config_selectorIiN6thrust23THRUST_200600_302600_NS6detail10any_assignEEEZNS1_14transform_implILb0ES3_S9_NS7_15normal_iteratorINS6_10device_ptrIiEEEENS6_16discard_iteratorINS6_11use_defaultEEEZNS1_13binary_searchIS3_S9_SE_SE_SH_NS1_21lower_bound_search_opENS7_16wrapped_functionINS0_4lessIvEEbEEEE10hipError_tPvRmT1_T2_T3_mmT4_T5_P12ihipStream_tbEUlRKiE_EESO_SS_ST_mSU_SX_bEUlT_E_NS1_11comp_targetILNS1_3genE4ELNS1_11target_archE910ELNS1_3gpuE8ELNS1_3repE0EEENS1_30default_config_static_selectorELNS0_4arch9wavefront6targetE0EEEvSR_, .Lfunc_end557-_ZN7rocprim17ROCPRIM_400000_NS6detail17trampoline_kernelINS0_14default_configENS1_27lower_bound_config_selectorIiN6thrust23THRUST_200600_302600_NS6detail10any_assignEEEZNS1_14transform_implILb0ES3_S9_NS7_15normal_iteratorINS6_10device_ptrIiEEEENS6_16discard_iteratorINS6_11use_defaultEEEZNS1_13binary_searchIS3_S9_SE_SE_SH_NS1_21lower_bound_search_opENS7_16wrapped_functionINS0_4lessIvEEbEEEE10hipError_tPvRmT1_T2_T3_mmT4_T5_P12ihipStream_tbEUlRKiE_EESO_SS_ST_mSU_SX_bEUlT_E_NS1_11comp_targetILNS1_3genE4ELNS1_11target_archE910ELNS1_3gpuE8ELNS1_3repE0EEENS1_30default_config_static_selectorELNS0_4arch9wavefront6targetE0EEEvSR_
                                        ; -- End function
	.section	.AMDGPU.csdata,"",@progbits
; Kernel info:
; codeLenInByte = 0
; NumSgprs: 0
; NumVgprs: 0
; ScratchSize: 0
; MemoryBound: 0
; FloatMode: 240
; IeeeMode: 1
; LDSByteSize: 0 bytes/workgroup (compile time only)
; SGPRBlocks: 0
; VGPRBlocks: 0
; NumSGPRsForWavesPerEU: 1
; NumVGPRsForWavesPerEU: 1
; Occupancy: 16
; WaveLimiterHint : 0
; COMPUTE_PGM_RSRC2:SCRATCH_EN: 0
; COMPUTE_PGM_RSRC2:USER_SGPR: 15
; COMPUTE_PGM_RSRC2:TRAP_HANDLER: 0
; COMPUTE_PGM_RSRC2:TGID_X_EN: 1
; COMPUTE_PGM_RSRC2:TGID_Y_EN: 0
; COMPUTE_PGM_RSRC2:TGID_Z_EN: 0
; COMPUTE_PGM_RSRC2:TIDIG_COMP_CNT: 0
	.section	.text._ZN7rocprim17ROCPRIM_400000_NS6detail17trampoline_kernelINS0_14default_configENS1_27lower_bound_config_selectorIiN6thrust23THRUST_200600_302600_NS6detail10any_assignEEEZNS1_14transform_implILb0ES3_S9_NS7_15normal_iteratorINS6_10device_ptrIiEEEENS6_16discard_iteratorINS6_11use_defaultEEEZNS1_13binary_searchIS3_S9_SE_SE_SH_NS1_21lower_bound_search_opENS7_16wrapped_functionINS0_4lessIvEEbEEEE10hipError_tPvRmT1_T2_T3_mmT4_T5_P12ihipStream_tbEUlRKiE_EESO_SS_ST_mSU_SX_bEUlT_E_NS1_11comp_targetILNS1_3genE3ELNS1_11target_archE908ELNS1_3gpuE7ELNS1_3repE0EEENS1_30default_config_static_selectorELNS0_4arch9wavefront6targetE0EEEvSR_,"axG",@progbits,_ZN7rocprim17ROCPRIM_400000_NS6detail17trampoline_kernelINS0_14default_configENS1_27lower_bound_config_selectorIiN6thrust23THRUST_200600_302600_NS6detail10any_assignEEEZNS1_14transform_implILb0ES3_S9_NS7_15normal_iteratorINS6_10device_ptrIiEEEENS6_16discard_iteratorINS6_11use_defaultEEEZNS1_13binary_searchIS3_S9_SE_SE_SH_NS1_21lower_bound_search_opENS7_16wrapped_functionINS0_4lessIvEEbEEEE10hipError_tPvRmT1_T2_T3_mmT4_T5_P12ihipStream_tbEUlRKiE_EESO_SS_ST_mSU_SX_bEUlT_E_NS1_11comp_targetILNS1_3genE3ELNS1_11target_archE908ELNS1_3gpuE7ELNS1_3repE0EEENS1_30default_config_static_selectorELNS0_4arch9wavefront6targetE0EEEvSR_,comdat
	.protected	_ZN7rocprim17ROCPRIM_400000_NS6detail17trampoline_kernelINS0_14default_configENS1_27lower_bound_config_selectorIiN6thrust23THRUST_200600_302600_NS6detail10any_assignEEEZNS1_14transform_implILb0ES3_S9_NS7_15normal_iteratorINS6_10device_ptrIiEEEENS6_16discard_iteratorINS6_11use_defaultEEEZNS1_13binary_searchIS3_S9_SE_SE_SH_NS1_21lower_bound_search_opENS7_16wrapped_functionINS0_4lessIvEEbEEEE10hipError_tPvRmT1_T2_T3_mmT4_T5_P12ihipStream_tbEUlRKiE_EESO_SS_ST_mSU_SX_bEUlT_E_NS1_11comp_targetILNS1_3genE3ELNS1_11target_archE908ELNS1_3gpuE7ELNS1_3repE0EEENS1_30default_config_static_selectorELNS0_4arch9wavefront6targetE0EEEvSR_ ; -- Begin function _ZN7rocprim17ROCPRIM_400000_NS6detail17trampoline_kernelINS0_14default_configENS1_27lower_bound_config_selectorIiN6thrust23THRUST_200600_302600_NS6detail10any_assignEEEZNS1_14transform_implILb0ES3_S9_NS7_15normal_iteratorINS6_10device_ptrIiEEEENS6_16discard_iteratorINS6_11use_defaultEEEZNS1_13binary_searchIS3_S9_SE_SE_SH_NS1_21lower_bound_search_opENS7_16wrapped_functionINS0_4lessIvEEbEEEE10hipError_tPvRmT1_T2_T3_mmT4_T5_P12ihipStream_tbEUlRKiE_EESO_SS_ST_mSU_SX_bEUlT_E_NS1_11comp_targetILNS1_3genE3ELNS1_11target_archE908ELNS1_3gpuE7ELNS1_3repE0EEENS1_30default_config_static_selectorELNS0_4arch9wavefront6targetE0EEEvSR_
	.globl	_ZN7rocprim17ROCPRIM_400000_NS6detail17trampoline_kernelINS0_14default_configENS1_27lower_bound_config_selectorIiN6thrust23THRUST_200600_302600_NS6detail10any_assignEEEZNS1_14transform_implILb0ES3_S9_NS7_15normal_iteratorINS6_10device_ptrIiEEEENS6_16discard_iteratorINS6_11use_defaultEEEZNS1_13binary_searchIS3_S9_SE_SE_SH_NS1_21lower_bound_search_opENS7_16wrapped_functionINS0_4lessIvEEbEEEE10hipError_tPvRmT1_T2_T3_mmT4_T5_P12ihipStream_tbEUlRKiE_EESO_SS_ST_mSU_SX_bEUlT_E_NS1_11comp_targetILNS1_3genE3ELNS1_11target_archE908ELNS1_3gpuE7ELNS1_3repE0EEENS1_30default_config_static_selectorELNS0_4arch9wavefront6targetE0EEEvSR_
	.p2align	8
	.type	_ZN7rocprim17ROCPRIM_400000_NS6detail17trampoline_kernelINS0_14default_configENS1_27lower_bound_config_selectorIiN6thrust23THRUST_200600_302600_NS6detail10any_assignEEEZNS1_14transform_implILb0ES3_S9_NS7_15normal_iteratorINS6_10device_ptrIiEEEENS6_16discard_iteratorINS6_11use_defaultEEEZNS1_13binary_searchIS3_S9_SE_SE_SH_NS1_21lower_bound_search_opENS7_16wrapped_functionINS0_4lessIvEEbEEEE10hipError_tPvRmT1_T2_T3_mmT4_T5_P12ihipStream_tbEUlRKiE_EESO_SS_ST_mSU_SX_bEUlT_E_NS1_11comp_targetILNS1_3genE3ELNS1_11target_archE908ELNS1_3gpuE7ELNS1_3repE0EEENS1_30default_config_static_selectorELNS0_4arch9wavefront6targetE0EEEvSR_,@function
_ZN7rocprim17ROCPRIM_400000_NS6detail17trampoline_kernelINS0_14default_configENS1_27lower_bound_config_selectorIiN6thrust23THRUST_200600_302600_NS6detail10any_assignEEEZNS1_14transform_implILb0ES3_S9_NS7_15normal_iteratorINS6_10device_ptrIiEEEENS6_16discard_iteratorINS6_11use_defaultEEEZNS1_13binary_searchIS3_S9_SE_SE_SH_NS1_21lower_bound_search_opENS7_16wrapped_functionINS0_4lessIvEEbEEEE10hipError_tPvRmT1_T2_T3_mmT4_T5_P12ihipStream_tbEUlRKiE_EESO_SS_ST_mSU_SX_bEUlT_E_NS1_11comp_targetILNS1_3genE3ELNS1_11target_archE908ELNS1_3gpuE7ELNS1_3repE0EEENS1_30default_config_static_selectorELNS0_4arch9wavefront6targetE0EEEvSR_: ; @_ZN7rocprim17ROCPRIM_400000_NS6detail17trampoline_kernelINS0_14default_configENS1_27lower_bound_config_selectorIiN6thrust23THRUST_200600_302600_NS6detail10any_assignEEEZNS1_14transform_implILb0ES3_S9_NS7_15normal_iteratorINS6_10device_ptrIiEEEENS6_16discard_iteratorINS6_11use_defaultEEEZNS1_13binary_searchIS3_S9_SE_SE_SH_NS1_21lower_bound_search_opENS7_16wrapped_functionINS0_4lessIvEEbEEEE10hipError_tPvRmT1_T2_T3_mmT4_T5_P12ihipStream_tbEUlRKiE_EESO_SS_ST_mSU_SX_bEUlT_E_NS1_11comp_targetILNS1_3genE3ELNS1_11target_archE908ELNS1_3gpuE7ELNS1_3repE0EEENS1_30default_config_static_selectorELNS0_4arch9wavefront6targetE0EEEvSR_
; %bb.0:
	.section	.rodata,"a",@progbits
	.p2align	6, 0x0
	.amdhsa_kernel _ZN7rocprim17ROCPRIM_400000_NS6detail17trampoline_kernelINS0_14default_configENS1_27lower_bound_config_selectorIiN6thrust23THRUST_200600_302600_NS6detail10any_assignEEEZNS1_14transform_implILb0ES3_S9_NS7_15normal_iteratorINS6_10device_ptrIiEEEENS6_16discard_iteratorINS6_11use_defaultEEEZNS1_13binary_searchIS3_S9_SE_SE_SH_NS1_21lower_bound_search_opENS7_16wrapped_functionINS0_4lessIvEEbEEEE10hipError_tPvRmT1_T2_T3_mmT4_T5_P12ihipStream_tbEUlRKiE_EESO_SS_ST_mSU_SX_bEUlT_E_NS1_11comp_targetILNS1_3genE3ELNS1_11target_archE908ELNS1_3gpuE7ELNS1_3repE0EEENS1_30default_config_static_selectorELNS0_4arch9wavefront6targetE0EEEvSR_
		.amdhsa_group_segment_fixed_size 0
		.amdhsa_private_segment_fixed_size 0
		.amdhsa_kernarg_size 64
		.amdhsa_user_sgpr_count 15
		.amdhsa_user_sgpr_dispatch_ptr 0
		.amdhsa_user_sgpr_queue_ptr 0
		.amdhsa_user_sgpr_kernarg_segment_ptr 1
		.amdhsa_user_sgpr_dispatch_id 0
		.amdhsa_user_sgpr_private_segment_size 0
		.amdhsa_wavefront_size32 1
		.amdhsa_uses_dynamic_stack 0
		.amdhsa_enable_private_segment 0
		.amdhsa_system_sgpr_workgroup_id_x 1
		.amdhsa_system_sgpr_workgroup_id_y 0
		.amdhsa_system_sgpr_workgroup_id_z 0
		.amdhsa_system_sgpr_workgroup_info 0
		.amdhsa_system_vgpr_workitem_id 0
		.amdhsa_next_free_vgpr 1
		.amdhsa_next_free_sgpr 1
		.amdhsa_reserve_vcc 0
		.amdhsa_float_round_mode_32 0
		.amdhsa_float_round_mode_16_64 0
		.amdhsa_float_denorm_mode_32 3
		.amdhsa_float_denorm_mode_16_64 3
		.amdhsa_dx10_clamp 1
		.amdhsa_ieee_mode 1
		.amdhsa_fp16_overflow 0
		.amdhsa_workgroup_processor_mode 1
		.amdhsa_memory_ordered 1
		.amdhsa_forward_progress 0
		.amdhsa_shared_vgpr_count 0
		.amdhsa_exception_fp_ieee_invalid_op 0
		.amdhsa_exception_fp_denorm_src 0
		.amdhsa_exception_fp_ieee_div_zero 0
		.amdhsa_exception_fp_ieee_overflow 0
		.amdhsa_exception_fp_ieee_underflow 0
		.amdhsa_exception_fp_ieee_inexact 0
		.amdhsa_exception_int_div_zero 0
	.end_amdhsa_kernel
	.section	.text._ZN7rocprim17ROCPRIM_400000_NS6detail17trampoline_kernelINS0_14default_configENS1_27lower_bound_config_selectorIiN6thrust23THRUST_200600_302600_NS6detail10any_assignEEEZNS1_14transform_implILb0ES3_S9_NS7_15normal_iteratorINS6_10device_ptrIiEEEENS6_16discard_iteratorINS6_11use_defaultEEEZNS1_13binary_searchIS3_S9_SE_SE_SH_NS1_21lower_bound_search_opENS7_16wrapped_functionINS0_4lessIvEEbEEEE10hipError_tPvRmT1_T2_T3_mmT4_T5_P12ihipStream_tbEUlRKiE_EESO_SS_ST_mSU_SX_bEUlT_E_NS1_11comp_targetILNS1_3genE3ELNS1_11target_archE908ELNS1_3gpuE7ELNS1_3repE0EEENS1_30default_config_static_selectorELNS0_4arch9wavefront6targetE0EEEvSR_,"axG",@progbits,_ZN7rocprim17ROCPRIM_400000_NS6detail17trampoline_kernelINS0_14default_configENS1_27lower_bound_config_selectorIiN6thrust23THRUST_200600_302600_NS6detail10any_assignEEEZNS1_14transform_implILb0ES3_S9_NS7_15normal_iteratorINS6_10device_ptrIiEEEENS6_16discard_iteratorINS6_11use_defaultEEEZNS1_13binary_searchIS3_S9_SE_SE_SH_NS1_21lower_bound_search_opENS7_16wrapped_functionINS0_4lessIvEEbEEEE10hipError_tPvRmT1_T2_T3_mmT4_T5_P12ihipStream_tbEUlRKiE_EESO_SS_ST_mSU_SX_bEUlT_E_NS1_11comp_targetILNS1_3genE3ELNS1_11target_archE908ELNS1_3gpuE7ELNS1_3repE0EEENS1_30default_config_static_selectorELNS0_4arch9wavefront6targetE0EEEvSR_,comdat
.Lfunc_end558:
	.size	_ZN7rocprim17ROCPRIM_400000_NS6detail17trampoline_kernelINS0_14default_configENS1_27lower_bound_config_selectorIiN6thrust23THRUST_200600_302600_NS6detail10any_assignEEEZNS1_14transform_implILb0ES3_S9_NS7_15normal_iteratorINS6_10device_ptrIiEEEENS6_16discard_iteratorINS6_11use_defaultEEEZNS1_13binary_searchIS3_S9_SE_SE_SH_NS1_21lower_bound_search_opENS7_16wrapped_functionINS0_4lessIvEEbEEEE10hipError_tPvRmT1_T2_T3_mmT4_T5_P12ihipStream_tbEUlRKiE_EESO_SS_ST_mSU_SX_bEUlT_E_NS1_11comp_targetILNS1_3genE3ELNS1_11target_archE908ELNS1_3gpuE7ELNS1_3repE0EEENS1_30default_config_static_selectorELNS0_4arch9wavefront6targetE0EEEvSR_, .Lfunc_end558-_ZN7rocprim17ROCPRIM_400000_NS6detail17trampoline_kernelINS0_14default_configENS1_27lower_bound_config_selectorIiN6thrust23THRUST_200600_302600_NS6detail10any_assignEEEZNS1_14transform_implILb0ES3_S9_NS7_15normal_iteratorINS6_10device_ptrIiEEEENS6_16discard_iteratorINS6_11use_defaultEEEZNS1_13binary_searchIS3_S9_SE_SE_SH_NS1_21lower_bound_search_opENS7_16wrapped_functionINS0_4lessIvEEbEEEE10hipError_tPvRmT1_T2_T3_mmT4_T5_P12ihipStream_tbEUlRKiE_EESO_SS_ST_mSU_SX_bEUlT_E_NS1_11comp_targetILNS1_3genE3ELNS1_11target_archE908ELNS1_3gpuE7ELNS1_3repE0EEENS1_30default_config_static_selectorELNS0_4arch9wavefront6targetE0EEEvSR_
                                        ; -- End function
	.section	.AMDGPU.csdata,"",@progbits
; Kernel info:
; codeLenInByte = 0
; NumSgprs: 0
; NumVgprs: 0
; ScratchSize: 0
; MemoryBound: 0
; FloatMode: 240
; IeeeMode: 1
; LDSByteSize: 0 bytes/workgroup (compile time only)
; SGPRBlocks: 0
; VGPRBlocks: 0
; NumSGPRsForWavesPerEU: 1
; NumVGPRsForWavesPerEU: 1
; Occupancy: 16
; WaveLimiterHint : 0
; COMPUTE_PGM_RSRC2:SCRATCH_EN: 0
; COMPUTE_PGM_RSRC2:USER_SGPR: 15
; COMPUTE_PGM_RSRC2:TRAP_HANDLER: 0
; COMPUTE_PGM_RSRC2:TGID_X_EN: 1
; COMPUTE_PGM_RSRC2:TGID_Y_EN: 0
; COMPUTE_PGM_RSRC2:TGID_Z_EN: 0
; COMPUTE_PGM_RSRC2:TIDIG_COMP_CNT: 0
	.section	.text._ZN7rocprim17ROCPRIM_400000_NS6detail17trampoline_kernelINS0_14default_configENS1_27lower_bound_config_selectorIiN6thrust23THRUST_200600_302600_NS6detail10any_assignEEEZNS1_14transform_implILb0ES3_S9_NS7_15normal_iteratorINS6_10device_ptrIiEEEENS6_16discard_iteratorINS6_11use_defaultEEEZNS1_13binary_searchIS3_S9_SE_SE_SH_NS1_21lower_bound_search_opENS7_16wrapped_functionINS0_4lessIvEEbEEEE10hipError_tPvRmT1_T2_T3_mmT4_T5_P12ihipStream_tbEUlRKiE_EESO_SS_ST_mSU_SX_bEUlT_E_NS1_11comp_targetILNS1_3genE2ELNS1_11target_archE906ELNS1_3gpuE6ELNS1_3repE0EEENS1_30default_config_static_selectorELNS0_4arch9wavefront6targetE0EEEvSR_,"axG",@progbits,_ZN7rocprim17ROCPRIM_400000_NS6detail17trampoline_kernelINS0_14default_configENS1_27lower_bound_config_selectorIiN6thrust23THRUST_200600_302600_NS6detail10any_assignEEEZNS1_14transform_implILb0ES3_S9_NS7_15normal_iteratorINS6_10device_ptrIiEEEENS6_16discard_iteratorINS6_11use_defaultEEEZNS1_13binary_searchIS3_S9_SE_SE_SH_NS1_21lower_bound_search_opENS7_16wrapped_functionINS0_4lessIvEEbEEEE10hipError_tPvRmT1_T2_T3_mmT4_T5_P12ihipStream_tbEUlRKiE_EESO_SS_ST_mSU_SX_bEUlT_E_NS1_11comp_targetILNS1_3genE2ELNS1_11target_archE906ELNS1_3gpuE6ELNS1_3repE0EEENS1_30default_config_static_selectorELNS0_4arch9wavefront6targetE0EEEvSR_,comdat
	.protected	_ZN7rocprim17ROCPRIM_400000_NS6detail17trampoline_kernelINS0_14default_configENS1_27lower_bound_config_selectorIiN6thrust23THRUST_200600_302600_NS6detail10any_assignEEEZNS1_14transform_implILb0ES3_S9_NS7_15normal_iteratorINS6_10device_ptrIiEEEENS6_16discard_iteratorINS6_11use_defaultEEEZNS1_13binary_searchIS3_S9_SE_SE_SH_NS1_21lower_bound_search_opENS7_16wrapped_functionINS0_4lessIvEEbEEEE10hipError_tPvRmT1_T2_T3_mmT4_T5_P12ihipStream_tbEUlRKiE_EESO_SS_ST_mSU_SX_bEUlT_E_NS1_11comp_targetILNS1_3genE2ELNS1_11target_archE906ELNS1_3gpuE6ELNS1_3repE0EEENS1_30default_config_static_selectorELNS0_4arch9wavefront6targetE0EEEvSR_ ; -- Begin function _ZN7rocprim17ROCPRIM_400000_NS6detail17trampoline_kernelINS0_14default_configENS1_27lower_bound_config_selectorIiN6thrust23THRUST_200600_302600_NS6detail10any_assignEEEZNS1_14transform_implILb0ES3_S9_NS7_15normal_iteratorINS6_10device_ptrIiEEEENS6_16discard_iteratorINS6_11use_defaultEEEZNS1_13binary_searchIS3_S9_SE_SE_SH_NS1_21lower_bound_search_opENS7_16wrapped_functionINS0_4lessIvEEbEEEE10hipError_tPvRmT1_T2_T3_mmT4_T5_P12ihipStream_tbEUlRKiE_EESO_SS_ST_mSU_SX_bEUlT_E_NS1_11comp_targetILNS1_3genE2ELNS1_11target_archE906ELNS1_3gpuE6ELNS1_3repE0EEENS1_30default_config_static_selectorELNS0_4arch9wavefront6targetE0EEEvSR_
	.globl	_ZN7rocprim17ROCPRIM_400000_NS6detail17trampoline_kernelINS0_14default_configENS1_27lower_bound_config_selectorIiN6thrust23THRUST_200600_302600_NS6detail10any_assignEEEZNS1_14transform_implILb0ES3_S9_NS7_15normal_iteratorINS6_10device_ptrIiEEEENS6_16discard_iteratorINS6_11use_defaultEEEZNS1_13binary_searchIS3_S9_SE_SE_SH_NS1_21lower_bound_search_opENS7_16wrapped_functionINS0_4lessIvEEbEEEE10hipError_tPvRmT1_T2_T3_mmT4_T5_P12ihipStream_tbEUlRKiE_EESO_SS_ST_mSU_SX_bEUlT_E_NS1_11comp_targetILNS1_3genE2ELNS1_11target_archE906ELNS1_3gpuE6ELNS1_3repE0EEENS1_30default_config_static_selectorELNS0_4arch9wavefront6targetE0EEEvSR_
	.p2align	8
	.type	_ZN7rocprim17ROCPRIM_400000_NS6detail17trampoline_kernelINS0_14default_configENS1_27lower_bound_config_selectorIiN6thrust23THRUST_200600_302600_NS6detail10any_assignEEEZNS1_14transform_implILb0ES3_S9_NS7_15normal_iteratorINS6_10device_ptrIiEEEENS6_16discard_iteratorINS6_11use_defaultEEEZNS1_13binary_searchIS3_S9_SE_SE_SH_NS1_21lower_bound_search_opENS7_16wrapped_functionINS0_4lessIvEEbEEEE10hipError_tPvRmT1_T2_T3_mmT4_T5_P12ihipStream_tbEUlRKiE_EESO_SS_ST_mSU_SX_bEUlT_E_NS1_11comp_targetILNS1_3genE2ELNS1_11target_archE906ELNS1_3gpuE6ELNS1_3repE0EEENS1_30default_config_static_selectorELNS0_4arch9wavefront6targetE0EEEvSR_,@function
_ZN7rocprim17ROCPRIM_400000_NS6detail17trampoline_kernelINS0_14default_configENS1_27lower_bound_config_selectorIiN6thrust23THRUST_200600_302600_NS6detail10any_assignEEEZNS1_14transform_implILb0ES3_S9_NS7_15normal_iteratorINS6_10device_ptrIiEEEENS6_16discard_iteratorINS6_11use_defaultEEEZNS1_13binary_searchIS3_S9_SE_SE_SH_NS1_21lower_bound_search_opENS7_16wrapped_functionINS0_4lessIvEEbEEEE10hipError_tPvRmT1_T2_T3_mmT4_T5_P12ihipStream_tbEUlRKiE_EESO_SS_ST_mSU_SX_bEUlT_E_NS1_11comp_targetILNS1_3genE2ELNS1_11target_archE906ELNS1_3gpuE6ELNS1_3repE0EEENS1_30default_config_static_selectorELNS0_4arch9wavefront6targetE0EEEvSR_: ; @_ZN7rocprim17ROCPRIM_400000_NS6detail17trampoline_kernelINS0_14default_configENS1_27lower_bound_config_selectorIiN6thrust23THRUST_200600_302600_NS6detail10any_assignEEEZNS1_14transform_implILb0ES3_S9_NS7_15normal_iteratorINS6_10device_ptrIiEEEENS6_16discard_iteratorINS6_11use_defaultEEEZNS1_13binary_searchIS3_S9_SE_SE_SH_NS1_21lower_bound_search_opENS7_16wrapped_functionINS0_4lessIvEEbEEEE10hipError_tPvRmT1_T2_T3_mmT4_T5_P12ihipStream_tbEUlRKiE_EESO_SS_ST_mSU_SX_bEUlT_E_NS1_11comp_targetILNS1_3genE2ELNS1_11target_archE906ELNS1_3gpuE6ELNS1_3repE0EEENS1_30default_config_static_selectorELNS0_4arch9wavefront6targetE0EEEvSR_
; %bb.0:
	.section	.rodata,"a",@progbits
	.p2align	6, 0x0
	.amdhsa_kernel _ZN7rocprim17ROCPRIM_400000_NS6detail17trampoline_kernelINS0_14default_configENS1_27lower_bound_config_selectorIiN6thrust23THRUST_200600_302600_NS6detail10any_assignEEEZNS1_14transform_implILb0ES3_S9_NS7_15normal_iteratorINS6_10device_ptrIiEEEENS6_16discard_iteratorINS6_11use_defaultEEEZNS1_13binary_searchIS3_S9_SE_SE_SH_NS1_21lower_bound_search_opENS7_16wrapped_functionINS0_4lessIvEEbEEEE10hipError_tPvRmT1_T2_T3_mmT4_T5_P12ihipStream_tbEUlRKiE_EESO_SS_ST_mSU_SX_bEUlT_E_NS1_11comp_targetILNS1_3genE2ELNS1_11target_archE906ELNS1_3gpuE6ELNS1_3repE0EEENS1_30default_config_static_selectorELNS0_4arch9wavefront6targetE0EEEvSR_
		.amdhsa_group_segment_fixed_size 0
		.amdhsa_private_segment_fixed_size 0
		.amdhsa_kernarg_size 64
		.amdhsa_user_sgpr_count 15
		.amdhsa_user_sgpr_dispatch_ptr 0
		.amdhsa_user_sgpr_queue_ptr 0
		.amdhsa_user_sgpr_kernarg_segment_ptr 1
		.amdhsa_user_sgpr_dispatch_id 0
		.amdhsa_user_sgpr_private_segment_size 0
		.amdhsa_wavefront_size32 1
		.amdhsa_uses_dynamic_stack 0
		.amdhsa_enable_private_segment 0
		.amdhsa_system_sgpr_workgroup_id_x 1
		.amdhsa_system_sgpr_workgroup_id_y 0
		.amdhsa_system_sgpr_workgroup_id_z 0
		.amdhsa_system_sgpr_workgroup_info 0
		.amdhsa_system_vgpr_workitem_id 0
		.amdhsa_next_free_vgpr 1
		.amdhsa_next_free_sgpr 1
		.amdhsa_reserve_vcc 0
		.amdhsa_float_round_mode_32 0
		.amdhsa_float_round_mode_16_64 0
		.amdhsa_float_denorm_mode_32 3
		.amdhsa_float_denorm_mode_16_64 3
		.amdhsa_dx10_clamp 1
		.amdhsa_ieee_mode 1
		.amdhsa_fp16_overflow 0
		.amdhsa_workgroup_processor_mode 1
		.amdhsa_memory_ordered 1
		.amdhsa_forward_progress 0
		.amdhsa_shared_vgpr_count 0
		.amdhsa_exception_fp_ieee_invalid_op 0
		.amdhsa_exception_fp_denorm_src 0
		.amdhsa_exception_fp_ieee_div_zero 0
		.amdhsa_exception_fp_ieee_overflow 0
		.amdhsa_exception_fp_ieee_underflow 0
		.amdhsa_exception_fp_ieee_inexact 0
		.amdhsa_exception_int_div_zero 0
	.end_amdhsa_kernel
	.section	.text._ZN7rocprim17ROCPRIM_400000_NS6detail17trampoline_kernelINS0_14default_configENS1_27lower_bound_config_selectorIiN6thrust23THRUST_200600_302600_NS6detail10any_assignEEEZNS1_14transform_implILb0ES3_S9_NS7_15normal_iteratorINS6_10device_ptrIiEEEENS6_16discard_iteratorINS6_11use_defaultEEEZNS1_13binary_searchIS3_S9_SE_SE_SH_NS1_21lower_bound_search_opENS7_16wrapped_functionINS0_4lessIvEEbEEEE10hipError_tPvRmT1_T2_T3_mmT4_T5_P12ihipStream_tbEUlRKiE_EESO_SS_ST_mSU_SX_bEUlT_E_NS1_11comp_targetILNS1_3genE2ELNS1_11target_archE906ELNS1_3gpuE6ELNS1_3repE0EEENS1_30default_config_static_selectorELNS0_4arch9wavefront6targetE0EEEvSR_,"axG",@progbits,_ZN7rocprim17ROCPRIM_400000_NS6detail17trampoline_kernelINS0_14default_configENS1_27lower_bound_config_selectorIiN6thrust23THRUST_200600_302600_NS6detail10any_assignEEEZNS1_14transform_implILb0ES3_S9_NS7_15normal_iteratorINS6_10device_ptrIiEEEENS6_16discard_iteratorINS6_11use_defaultEEEZNS1_13binary_searchIS3_S9_SE_SE_SH_NS1_21lower_bound_search_opENS7_16wrapped_functionINS0_4lessIvEEbEEEE10hipError_tPvRmT1_T2_T3_mmT4_T5_P12ihipStream_tbEUlRKiE_EESO_SS_ST_mSU_SX_bEUlT_E_NS1_11comp_targetILNS1_3genE2ELNS1_11target_archE906ELNS1_3gpuE6ELNS1_3repE0EEENS1_30default_config_static_selectorELNS0_4arch9wavefront6targetE0EEEvSR_,comdat
.Lfunc_end559:
	.size	_ZN7rocprim17ROCPRIM_400000_NS6detail17trampoline_kernelINS0_14default_configENS1_27lower_bound_config_selectorIiN6thrust23THRUST_200600_302600_NS6detail10any_assignEEEZNS1_14transform_implILb0ES3_S9_NS7_15normal_iteratorINS6_10device_ptrIiEEEENS6_16discard_iteratorINS6_11use_defaultEEEZNS1_13binary_searchIS3_S9_SE_SE_SH_NS1_21lower_bound_search_opENS7_16wrapped_functionINS0_4lessIvEEbEEEE10hipError_tPvRmT1_T2_T3_mmT4_T5_P12ihipStream_tbEUlRKiE_EESO_SS_ST_mSU_SX_bEUlT_E_NS1_11comp_targetILNS1_3genE2ELNS1_11target_archE906ELNS1_3gpuE6ELNS1_3repE0EEENS1_30default_config_static_selectorELNS0_4arch9wavefront6targetE0EEEvSR_, .Lfunc_end559-_ZN7rocprim17ROCPRIM_400000_NS6detail17trampoline_kernelINS0_14default_configENS1_27lower_bound_config_selectorIiN6thrust23THRUST_200600_302600_NS6detail10any_assignEEEZNS1_14transform_implILb0ES3_S9_NS7_15normal_iteratorINS6_10device_ptrIiEEEENS6_16discard_iteratorINS6_11use_defaultEEEZNS1_13binary_searchIS3_S9_SE_SE_SH_NS1_21lower_bound_search_opENS7_16wrapped_functionINS0_4lessIvEEbEEEE10hipError_tPvRmT1_T2_T3_mmT4_T5_P12ihipStream_tbEUlRKiE_EESO_SS_ST_mSU_SX_bEUlT_E_NS1_11comp_targetILNS1_3genE2ELNS1_11target_archE906ELNS1_3gpuE6ELNS1_3repE0EEENS1_30default_config_static_selectorELNS0_4arch9wavefront6targetE0EEEvSR_
                                        ; -- End function
	.section	.AMDGPU.csdata,"",@progbits
; Kernel info:
; codeLenInByte = 0
; NumSgprs: 0
; NumVgprs: 0
; ScratchSize: 0
; MemoryBound: 0
; FloatMode: 240
; IeeeMode: 1
; LDSByteSize: 0 bytes/workgroup (compile time only)
; SGPRBlocks: 0
; VGPRBlocks: 0
; NumSGPRsForWavesPerEU: 1
; NumVGPRsForWavesPerEU: 1
; Occupancy: 16
; WaveLimiterHint : 0
; COMPUTE_PGM_RSRC2:SCRATCH_EN: 0
; COMPUTE_PGM_RSRC2:USER_SGPR: 15
; COMPUTE_PGM_RSRC2:TRAP_HANDLER: 0
; COMPUTE_PGM_RSRC2:TGID_X_EN: 1
; COMPUTE_PGM_RSRC2:TGID_Y_EN: 0
; COMPUTE_PGM_RSRC2:TGID_Z_EN: 0
; COMPUTE_PGM_RSRC2:TIDIG_COMP_CNT: 0
	.section	.text._ZN7rocprim17ROCPRIM_400000_NS6detail17trampoline_kernelINS0_14default_configENS1_27lower_bound_config_selectorIiN6thrust23THRUST_200600_302600_NS6detail10any_assignEEEZNS1_14transform_implILb0ES3_S9_NS7_15normal_iteratorINS6_10device_ptrIiEEEENS6_16discard_iteratorINS6_11use_defaultEEEZNS1_13binary_searchIS3_S9_SE_SE_SH_NS1_21lower_bound_search_opENS7_16wrapped_functionINS0_4lessIvEEbEEEE10hipError_tPvRmT1_T2_T3_mmT4_T5_P12ihipStream_tbEUlRKiE_EESO_SS_ST_mSU_SX_bEUlT_E_NS1_11comp_targetILNS1_3genE10ELNS1_11target_archE1201ELNS1_3gpuE5ELNS1_3repE0EEENS1_30default_config_static_selectorELNS0_4arch9wavefront6targetE0EEEvSR_,"axG",@progbits,_ZN7rocprim17ROCPRIM_400000_NS6detail17trampoline_kernelINS0_14default_configENS1_27lower_bound_config_selectorIiN6thrust23THRUST_200600_302600_NS6detail10any_assignEEEZNS1_14transform_implILb0ES3_S9_NS7_15normal_iteratorINS6_10device_ptrIiEEEENS6_16discard_iteratorINS6_11use_defaultEEEZNS1_13binary_searchIS3_S9_SE_SE_SH_NS1_21lower_bound_search_opENS7_16wrapped_functionINS0_4lessIvEEbEEEE10hipError_tPvRmT1_T2_T3_mmT4_T5_P12ihipStream_tbEUlRKiE_EESO_SS_ST_mSU_SX_bEUlT_E_NS1_11comp_targetILNS1_3genE10ELNS1_11target_archE1201ELNS1_3gpuE5ELNS1_3repE0EEENS1_30default_config_static_selectorELNS0_4arch9wavefront6targetE0EEEvSR_,comdat
	.protected	_ZN7rocprim17ROCPRIM_400000_NS6detail17trampoline_kernelINS0_14default_configENS1_27lower_bound_config_selectorIiN6thrust23THRUST_200600_302600_NS6detail10any_assignEEEZNS1_14transform_implILb0ES3_S9_NS7_15normal_iteratorINS6_10device_ptrIiEEEENS6_16discard_iteratorINS6_11use_defaultEEEZNS1_13binary_searchIS3_S9_SE_SE_SH_NS1_21lower_bound_search_opENS7_16wrapped_functionINS0_4lessIvEEbEEEE10hipError_tPvRmT1_T2_T3_mmT4_T5_P12ihipStream_tbEUlRKiE_EESO_SS_ST_mSU_SX_bEUlT_E_NS1_11comp_targetILNS1_3genE10ELNS1_11target_archE1201ELNS1_3gpuE5ELNS1_3repE0EEENS1_30default_config_static_selectorELNS0_4arch9wavefront6targetE0EEEvSR_ ; -- Begin function _ZN7rocprim17ROCPRIM_400000_NS6detail17trampoline_kernelINS0_14default_configENS1_27lower_bound_config_selectorIiN6thrust23THRUST_200600_302600_NS6detail10any_assignEEEZNS1_14transform_implILb0ES3_S9_NS7_15normal_iteratorINS6_10device_ptrIiEEEENS6_16discard_iteratorINS6_11use_defaultEEEZNS1_13binary_searchIS3_S9_SE_SE_SH_NS1_21lower_bound_search_opENS7_16wrapped_functionINS0_4lessIvEEbEEEE10hipError_tPvRmT1_T2_T3_mmT4_T5_P12ihipStream_tbEUlRKiE_EESO_SS_ST_mSU_SX_bEUlT_E_NS1_11comp_targetILNS1_3genE10ELNS1_11target_archE1201ELNS1_3gpuE5ELNS1_3repE0EEENS1_30default_config_static_selectorELNS0_4arch9wavefront6targetE0EEEvSR_
	.globl	_ZN7rocprim17ROCPRIM_400000_NS6detail17trampoline_kernelINS0_14default_configENS1_27lower_bound_config_selectorIiN6thrust23THRUST_200600_302600_NS6detail10any_assignEEEZNS1_14transform_implILb0ES3_S9_NS7_15normal_iteratorINS6_10device_ptrIiEEEENS6_16discard_iteratorINS6_11use_defaultEEEZNS1_13binary_searchIS3_S9_SE_SE_SH_NS1_21lower_bound_search_opENS7_16wrapped_functionINS0_4lessIvEEbEEEE10hipError_tPvRmT1_T2_T3_mmT4_T5_P12ihipStream_tbEUlRKiE_EESO_SS_ST_mSU_SX_bEUlT_E_NS1_11comp_targetILNS1_3genE10ELNS1_11target_archE1201ELNS1_3gpuE5ELNS1_3repE0EEENS1_30default_config_static_selectorELNS0_4arch9wavefront6targetE0EEEvSR_
	.p2align	8
	.type	_ZN7rocprim17ROCPRIM_400000_NS6detail17trampoline_kernelINS0_14default_configENS1_27lower_bound_config_selectorIiN6thrust23THRUST_200600_302600_NS6detail10any_assignEEEZNS1_14transform_implILb0ES3_S9_NS7_15normal_iteratorINS6_10device_ptrIiEEEENS6_16discard_iteratorINS6_11use_defaultEEEZNS1_13binary_searchIS3_S9_SE_SE_SH_NS1_21lower_bound_search_opENS7_16wrapped_functionINS0_4lessIvEEbEEEE10hipError_tPvRmT1_T2_T3_mmT4_T5_P12ihipStream_tbEUlRKiE_EESO_SS_ST_mSU_SX_bEUlT_E_NS1_11comp_targetILNS1_3genE10ELNS1_11target_archE1201ELNS1_3gpuE5ELNS1_3repE0EEENS1_30default_config_static_selectorELNS0_4arch9wavefront6targetE0EEEvSR_,@function
_ZN7rocprim17ROCPRIM_400000_NS6detail17trampoline_kernelINS0_14default_configENS1_27lower_bound_config_selectorIiN6thrust23THRUST_200600_302600_NS6detail10any_assignEEEZNS1_14transform_implILb0ES3_S9_NS7_15normal_iteratorINS6_10device_ptrIiEEEENS6_16discard_iteratorINS6_11use_defaultEEEZNS1_13binary_searchIS3_S9_SE_SE_SH_NS1_21lower_bound_search_opENS7_16wrapped_functionINS0_4lessIvEEbEEEE10hipError_tPvRmT1_T2_T3_mmT4_T5_P12ihipStream_tbEUlRKiE_EESO_SS_ST_mSU_SX_bEUlT_E_NS1_11comp_targetILNS1_3genE10ELNS1_11target_archE1201ELNS1_3gpuE5ELNS1_3repE0EEENS1_30default_config_static_selectorELNS0_4arch9wavefront6targetE0EEEvSR_: ; @_ZN7rocprim17ROCPRIM_400000_NS6detail17trampoline_kernelINS0_14default_configENS1_27lower_bound_config_selectorIiN6thrust23THRUST_200600_302600_NS6detail10any_assignEEEZNS1_14transform_implILb0ES3_S9_NS7_15normal_iteratorINS6_10device_ptrIiEEEENS6_16discard_iteratorINS6_11use_defaultEEEZNS1_13binary_searchIS3_S9_SE_SE_SH_NS1_21lower_bound_search_opENS7_16wrapped_functionINS0_4lessIvEEbEEEE10hipError_tPvRmT1_T2_T3_mmT4_T5_P12ihipStream_tbEUlRKiE_EESO_SS_ST_mSU_SX_bEUlT_E_NS1_11comp_targetILNS1_3genE10ELNS1_11target_archE1201ELNS1_3gpuE5ELNS1_3repE0EEENS1_30default_config_static_selectorELNS0_4arch9wavefront6targetE0EEEvSR_
; %bb.0:
	.section	.rodata,"a",@progbits
	.p2align	6, 0x0
	.amdhsa_kernel _ZN7rocprim17ROCPRIM_400000_NS6detail17trampoline_kernelINS0_14default_configENS1_27lower_bound_config_selectorIiN6thrust23THRUST_200600_302600_NS6detail10any_assignEEEZNS1_14transform_implILb0ES3_S9_NS7_15normal_iteratorINS6_10device_ptrIiEEEENS6_16discard_iteratorINS6_11use_defaultEEEZNS1_13binary_searchIS3_S9_SE_SE_SH_NS1_21lower_bound_search_opENS7_16wrapped_functionINS0_4lessIvEEbEEEE10hipError_tPvRmT1_T2_T3_mmT4_T5_P12ihipStream_tbEUlRKiE_EESO_SS_ST_mSU_SX_bEUlT_E_NS1_11comp_targetILNS1_3genE10ELNS1_11target_archE1201ELNS1_3gpuE5ELNS1_3repE0EEENS1_30default_config_static_selectorELNS0_4arch9wavefront6targetE0EEEvSR_
		.amdhsa_group_segment_fixed_size 0
		.amdhsa_private_segment_fixed_size 0
		.amdhsa_kernarg_size 64
		.amdhsa_user_sgpr_count 15
		.amdhsa_user_sgpr_dispatch_ptr 0
		.amdhsa_user_sgpr_queue_ptr 0
		.amdhsa_user_sgpr_kernarg_segment_ptr 1
		.amdhsa_user_sgpr_dispatch_id 0
		.amdhsa_user_sgpr_private_segment_size 0
		.amdhsa_wavefront_size32 1
		.amdhsa_uses_dynamic_stack 0
		.amdhsa_enable_private_segment 0
		.amdhsa_system_sgpr_workgroup_id_x 1
		.amdhsa_system_sgpr_workgroup_id_y 0
		.amdhsa_system_sgpr_workgroup_id_z 0
		.amdhsa_system_sgpr_workgroup_info 0
		.amdhsa_system_vgpr_workitem_id 0
		.amdhsa_next_free_vgpr 1
		.amdhsa_next_free_sgpr 1
		.amdhsa_reserve_vcc 0
		.amdhsa_float_round_mode_32 0
		.amdhsa_float_round_mode_16_64 0
		.amdhsa_float_denorm_mode_32 3
		.amdhsa_float_denorm_mode_16_64 3
		.amdhsa_dx10_clamp 1
		.amdhsa_ieee_mode 1
		.amdhsa_fp16_overflow 0
		.amdhsa_workgroup_processor_mode 1
		.amdhsa_memory_ordered 1
		.amdhsa_forward_progress 0
		.amdhsa_shared_vgpr_count 0
		.amdhsa_exception_fp_ieee_invalid_op 0
		.amdhsa_exception_fp_denorm_src 0
		.amdhsa_exception_fp_ieee_div_zero 0
		.amdhsa_exception_fp_ieee_overflow 0
		.amdhsa_exception_fp_ieee_underflow 0
		.amdhsa_exception_fp_ieee_inexact 0
		.amdhsa_exception_int_div_zero 0
	.end_amdhsa_kernel
	.section	.text._ZN7rocprim17ROCPRIM_400000_NS6detail17trampoline_kernelINS0_14default_configENS1_27lower_bound_config_selectorIiN6thrust23THRUST_200600_302600_NS6detail10any_assignEEEZNS1_14transform_implILb0ES3_S9_NS7_15normal_iteratorINS6_10device_ptrIiEEEENS6_16discard_iteratorINS6_11use_defaultEEEZNS1_13binary_searchIS3_S9_SE_SE_SH_NS1_21lower_bound_search_opENS7_16wrapped_functionINS0_4lessIvEEbEEEE10hipError_tPvRmT1_T2_T3_mmT4_T5_P12ihipStream_tbEUlRKiE_EESO_SS_ST_mSU_SX_bEUlT_E_NS1_11comp_targetILNS1_3genE10ELNS1_11target_archE1201ELNS1_3gpuE5ELNS1_3repE0EEENS1_30default_config_static_selectorELNS0_4arch9wavefront6targetE0EEEvSR_,"axG",@progbits,_ZN7rocprim17ROCPRIM_400000_NS6detail17trampoline_kernelINS0_14default_configENS1_27lower_bound_config_selectorIiN6thrust23THRUST_200600_302600_NS6detail10any_assignEEEZNS1_14transform_implILb0ES3_S9_NS7_15normal_iteratorINS6_10device_ptrIiEEEENS6_16discard_iteratorINS6_11use_defaultEEEZNS1_13binary_searchIS3_S9_SE_SE_SH_NS1_21lower_bound_search_opENS7_16wrapped_functionINS0_4lessIvEEbEEEE10hipError_tPvRmT1_T2_T3_mmT4_T5_P12ihipStream_tbEUlRKiE_EESO_SS_ST_mSU_SX_bEUlT_E_NS1_11comp_targetILNS1_3genE10ELNS1_11target_archE1201ELNS1_3gpuE5ELNS1_3repE0EEENS1_30default_config_static_selectorELNS0_4arch9wavefront6targetE0EEEvSR_,comdat
.Lfunc_end560:
	.size	_ZN7rocprim17ROCPRIM_400000_NS6detail17trampoline_kernelINS0_14default_configENS1_27lower_bound_config_selectorIiN6thrust23THRUST_200600_302600_NS6detail10any_assignEEEZNS1_14transform_implILb0ES3_S9_NS7_15normal_iteratorINS6_10device_ptrIiEEEENS6_16discard_iteratorINS6_11use_defaultEEEZNS1_13binary_searchIS3_S9_SE_SE_SH_NS1_21lower_bound_search_opENS7_16wrapped_functionINS0_4lessIvEEbEEEE10hipError_tPvRmT1_T2_T3_mmT4_T5_P12ihipStream_tbEUlRKiE_EESO_SS_ST_mSU_SX_bEUlT_E_NS1_11comp_targetILNS1_3genE10ELNS1_11target_archE1201ELNS1_3gpuE5ELNS1_3repE0EEENS1_30default_config_static_selectorELNS0_4arch9wavefront6targetE0EEEvSR_, .Lfunc_end560-_ZN7rocprim17ROCPRIM_400000_NS6detail17trampoline_kernelINS0_14default_configENS1_27lower_bound_config_selectorIiN6thrust23THRUST_200600_302600_NS6detail10any_assignEEEZNS1_14transform_implILb0ES3_S9_NS7_15normal_iteratorINS6_10device_ptrIiEEEENS6_16discard_iteratorINS6_11use_defaultEEEZNS1_13binary_searchIS3_S9_SE_SE_SH_NS1_21lower_bound_search_opENS7_16wrapped_functionINS0_4lessIvEEbEEEE10hipError_tPvRmT1_T2_T3_mmT4_T5_P12ihipStream_tbEUlRKiE_EESO_SS_ST_mSU_SX_bEUlT_E_NS1_11comp_targetILNS1_3genE10ELNS1_11target_archE1201ELNS1_3gpuE5ELNS1_3repE0EEENS1_30default_config_static_selectorELNS0_4arch9wavefront6targetE0EEEvSR_
                                        ; -- End function
	.section	.AMDGPU.csdata,"",@progbits
; Kernel info:
; codeLenInByte = 0
; NumSgprs: 0
; NumVgprs: 0
; ScratchSize: 0
; MemoryBound: 0
; FloatMode: 240
; IeeeMode: 1
; LDSByteSize: 0 bytes/workgroup (compile time only)
; SGPRBlocks: 0
; VGPRBlocks: 0
; NumSGPRsForWavesPerEU: 1
; NumVGPRsForWavesPerEU: 1
; Occupancy: 16
; WaveLimiterHint : 0
; COMPUTE_PGM_RSRC2:SCRATCH_EN: 0
; COMPUTE_PGM_RSRC2:USER_SGPR: 15
; COMPUTE_PGM_RSRC2:TRAP_HANDLER: 0
; COMPUTE_PGM_RSRC2:TGID_X_EN: 1
; COMPUTE_PGM_RSRC2:TGID_Y_EN: 0
; COMPUTE_PGM_RSRC2:TGID_Z_EN: 0
; COMPUTE_PGM_RSRC2:TIDIG_COMP_CNT: 0
	.section	.text._ZN7rocprim17ROCPRIM_400000_NS6detail17trampoline_kernelINS0_14default_configENS1_27lower_bound_config_selectorIiN6thrust23THRUST_200600_302600_NS6detail10any_assignEEEZNS1_14transform_implILb0ES3_S9_NS7_15normal_iteratorINS6_10device_ptrIiEEEENS6_16discard_iteratorINS6_11use_defaultEEEZNS1_13binary_searchIS3_S9_SE_SE_SH_NS1_21lower_bound_search_opENS7_16wrapped_functionINS0_4lessIvEEbEEEE10hipError_tPvRmT1_T2_T3_mmT4_T5_P12ihipStream_tbEUlRKiE_EESO_SS_ST_mSU_SX_bEUlT_E_NS1_11comp_targetILNS1_3genE10ELNS1_11target_archE1200ELNS1_3gpuE4ELNS1_3repE0EEENS1_30default_config_static_selectorELNS0_4arch9wavefront6targetE0EEEvSR_,"axG",@progbits,_ZN7rocprim17ROCPRIM_400000_NS6detail17trampoline_kernelINS0_14default_configENS1_27lower_bound_config_selectorIiN6thrust23THRUST_200600_302600_NS6detail10any_assignEEEZNS1_14transform_implILb0ES3_S9_NS7_15normal_iteratorINS6_10device_ptrIiEEEENS6_16discard_iteratorINS6_11use_defaultEEEZNS1_13binary_searchIS3_S9_SE_SE_SH_NS1_21lower_bound_search_opENS7_16wrapped_functionINS0_4lessIvEEbEEEE10hipError_tPvRmT1_T2_T3_mmT4_T5_P12ihipStream_tbEUlRKiE_EESO_SS_ST_mSU_SX_bEUlT_E_NS1_11comp_targetILNS1_3genE10ELNS1_11target_archE1200ELNS1_3gpuE4ELNS1_3repE0EEENS1_30default_config_static_selectorELNS0_4arch9wavefront6targetE0EEEvSR_,comdat
	.protected	_ZN7rocprim17ROCPRIM_400000_NS6detail17trampoline_kernelINS0_14default_configENS1_27lower_bound_config_selectorIiN6thrust23THRUST_200600_302600_NS6detail10any_assignEEEZNS1_14transform_implILb0ES3_S9_NS7_15normal_iteratorINS6_10device_ptrIiEEEENS6_16discard_iteratorINS6_11use_defaultEEEZNS1_13binary_searchIS3_S9_SE_SE_SH_NS1_21lower_bound_search_opENS7_16wrapped_functionINS0_4lessIvEEbEEEE10hipError_tPvRmT1_T2_T3_mmT4_T5_P12ihipStream_tbEUlRKiE_EESO_SS_ST_mSU_SX_bEUlT_E_NS1_11comp_targetILNS1_3genE10ELNS1_11target_archE1200ELNS1_3gpuE4ELNS1_3repE0EEENS1_30default_config_static_selectorELNS0_4arch9wavefront6targetE0EEEvSR_ ; -- Begin function _ZN7rocprim17ROCPRIM_400000_NS6detail17trampoline_kernelINS0_14default_configENS1_27lower_bound_config_selectorIiN6thrust23THRUST_200600_302600_NS6detail10any_assignEEEZNS1_14transform_implILb0ES3_S9_NS7_15normal_iteratorINS6_10device_ptrIiEEEENS6_16discard_iteratorINS6_11use_defaultEEEZNS1_13binary_searchIS3_S9_SE_SE_SH_NS1_21lower_bound_search_opENS7_16wrapped_functionINS0_4lessIvEEbEEEE10hipError_tPvRmT1_T2_T3_mmT4_T5_P12ihipStream_tbEUlRKiE_EESO_SS_ST_mSU_SX_bEUlT_E_NS1_11comp_targetILNS1_3genE10ELNS1_11target_archE1200ELNS1_3gpuE4ELNS1_3repE0EEENS1_30default_config_static_selectorELNS0_4arch9wavefront6targetE0EEEvSR_
	.globl	_ZN7rocprim17ROCPRIM_400000_NS6detail17trampoline_kernelINS0_14default_configENS1_27lower_bound_config_selectorIiN6thrust23THRUST_200600_302600_NS6detail10any_assignEEEZNS1_14transform_implILb0ES3_S9_NS7_15normal_iteratorINS6_10device_ptrIiEEEENS6_16discard_iteratorINS6_11use_defaultEEEZNS1_13binary_searchIS3_S9_SE_SE_SH_NS1_21lower_bound_search_opENS7_16wrapped_functionINS0_4lessIvEEbEEEE10hipError_tPvRmT1_T2_T3_mmT4_T5_P12ihipStream_tbEUlRKiE_EESO_SS_ST_mSU_SX_bEUlT_E_NS1_11comp_targetILNS1_3genE10ELNS1_11target_archE1200ELNS1_3gpuE4ELNS1_3repE0EEENS1_30default_config_static_selectorELNS0_4arch9wavefront6targetE0EEEvSR_
	.p2align	8
	.type	_ZN7rocprim17ROCPRIM_400000_NS6detail17trampoline_kernelINS0_14default_configENS1_27lower_bound_config_selectorIiN6thrust23THRUST_200600_302600_NS6detail10any_assignEEEZNS1_14transform_implILb0ES3_S9_NS7_15normal_iteratorINS6_10device_ptrIiEEEENS6_16discard_iteratorINS6_11use_defaultEEEZNS1_13binary_searchIS3_S9_SE_SE_SH_NS1_21lower_bound_search_opENS7_16wrapped_functionINS0_4lessIvEEbEEEE10hipError_tPvRmT1_T2_T3_mmT4_T5_P12ihipStream_tbEUlRKiE_EESO_SS_ST_mSU_SX_bEUlT_E_NS1_11comp_targetILNS1_3genE10ELNS1_11target_archE1200ELNS1_3gpuE4ELNS1_3repE0EEENS1_30default_config_static_selectorELNS0_4arch9wavefront6targetE0EEEvSR_,@function
_ZN7rocprim17ROCPRIM_400000_NS6detail17trampoline_kernelINS0_14default_configENS1_27lower_bound_config_selectorIiN6thrust23THRUST_200600_302600_NS6detail10any_assignEEEZNS1_14transform_implILb0ES3_S9_NS7_15normal_iteratorINS6_10device_ptrIiEEEENS6_16discard_iteratorINS6_11use_defaultEEEZNS1_13binary_searchIS3_S9_SE_SE_SH_NS1_21lower_bound_search_opENS7_16wrapped_functionINS0_4lessIvEEbEEEE10hipError_tPvRmT1_T2_T3_mmT4_T5_P12ihipStream_tbEUlRKiE_EESO_SS_ST_mSU_SX_bEUlT_E_NS1_11comp_targetILNS1_3genE10ELNS1_11target_archE1200ELNS1_3gpuE4ELNS1_3repE0EEENS1_30default_config_static_selectorELNS0_4arch9wavefront6targetE0EEEvSR_: ; @_ZN7rocprim17ROCPRIM_400000_NS6detail17trampoline_kernelINS0_14default_configENS1_27lower_bound_config_selectorIiN6thrust23THRUST_200600_302600_NS6detail10any_assignEEEZNS1_14transform_implILb0ES3_S9_NS7_15normal_iteratorINS6_10device_ptrIiEEEENS6_16discard_iteratorINS6_11use_defaultEEEZNS1_13binary_searchIS3_S9_SE_SE_SH_NS1_21lower_bound_search_opENS7_16wrapped_functionINS0_4lessIvEEbEEEE10hipError_tPvRmT1_T2_T3_mmT4_T5_P12ihipStream_tbEUlRKiE_EESO_SS_ST_mSU_SX_bEUlT_E_NS1_11comp_targetILNS1_3genE10ELNS1_11target_archE1200ELNS1_3gpuE4ELNS1_3repE0EEENS1_30default_config_static_selectorELNS0_4arch9wavefront6targetE0EEEvSR_
; %bb.0:
	.section	.rodata,"a",@progbits
	.p2align	6, 0x0
	.amdhsa_kernel _ZN7rocprim17ROCPRIM_400000_NS6detail17trampoline_kernelINS0_14default_configENS1_27lower_bound_config_selectorIiN6thrust23THRUST_200600_302600_NS6detail10any_assignEEEZNS1_14transform_implILb0ES3_S9_NS7_15normal_iteratorINS6_10device_ptrIiEEEENS6_16discard_iteratorINS6_11use_defaultEEEZNS1_13binary_searchIS3_S9_SE_SE_SH_NS1_21lower_bound_search_opENS7_16wrapped_functionINS0_4lessIvEEbEEEE10hipError_tPvRmT1_T2_T3_mmT4_T5_P12ihipStream_tbEUlRKiE_EESO_SS_ST_mSU_SX_bEUlT_E_NS1_11comp_targetILNS1_3genE10ELNS1_11target_archE1200ELNS1_3gpuE4ELNS1_3repE0EEENS1_30default_config_static_selectorELNS0_4arch9wavefront6targetE0EEEvSR_
		.amdhsa_group_segment_fixed_size 0
		.amdhsa_private_segment_fixed_size 0
		.amdhsa_kernarg_size 64
		.amdhsa_user_sgpr_count 15
		.amdhsa_user_sgpr_dispatch_ptr 0
		.amdhsa_user_sgpr_queue_ptr 0
		.amdhsa_user_sgpr_kernarg_segment_ptr 1
		.amdhsa_user_sgpr_dispatch_id 0
		.amdhsa_user_sgpr_private_segment_size 0
		.amdhsa_wavefront_size32 1
		.amdhsa_uses_dynamic_stack 0
		.amdhsa_enable_private_segment 0
		.amdhsa_system_sgpr_workgroup_id_x 1
		.amdhsa_system_sgpr_workgroup_id_y 0
		.amdhsa_system_sgpr_workgroup_id_z 0
		.amdhsa_system_sgpr_workgroup_info 0
		.amdhsa_system_vgpr_workitem_id 0
		.amdhsa_next_free_vgpr 1
		.amdhsa_next_free_sgpr 1
		.amdhsa_reserve_vcc 0
		.amdhsa_float_round_mode_32 0
		.amdhsa_float_round_mode_16_64 0
		.amdhsa_float_denorm_mode_32 3
		.amdhsa_float_denorm_mode_16_64 3
		.amdhsa_dx10_clamp 1
		.amdhsa_ieee_mode 1
		.amdhsa_fp16_overflow 0
		.amdhsa_workgroup_processor_mode 1
		.amdhsa_memory_ordered 1
		.amdhsa_forward_progress 0
		.amdhsa_shared_vgpr_count 0
		.amdhsa_exception_fp_ieee_invalid_op 0
		.amdhsa_exception_fp_denorm_src 0
		.amdhsa_exception_fp_ieee_div_zero 0
		.amdhsa_exception_fp_ieee_overflow 0
		.amdhsa_exception_fp_ieee_underflow 0
		.amdhsa_exception_fp_ieee_inexact 0
		.amdhsa_exception_int_div_zero 0
	.end_amdhsa_kernel
	.section	.text._ZN7rocprim17ROCPRIM_400000_NS6detail17trampoline_kernelINS0_14default_configENS1_27lower_bound_config_selectorIiN6thrust23THRUST_200600_302600_NS6detail10any_assignEEEZNS1_14transform_implILb0ES3_S9_NS7_15normal_iteratorINS6_10device_ptrIiEEEENS6_16discard_iteratorINS6_11use_defaultEEEZNS1_13binary_searchIS3_S9_SE_SE_SH_NS1_21lower_bound_search_opENS7_16wrapped_functionINS0_4lessIvEEbEEEE10hipError_tPvRmT1_T2_T3_mmT4_T5_P12ihipStream_tbEUlRKiE_EESO_SS_ST_mSU_SX_bEUlT_E_NS1_11comp_targetILNS1_3genE10ELNS1_11target_archE1200ELNS1_3gpuE4ELNS1_3repE0EEENS1_30default_config_static_selectorELNS0_4arch9wavefront6targetE0EEEvSR_,"axG",@progbits,_ZN7rocprim17ROCPRIM_400000_NS6detail17trampoline_kernelINS0_14default_configENS1_27lower_bound_config_selectorIiN6thrust23THRUST_200600_302600_NS6detail10any_assignEEEZNS1_14transform_implILb0ES3_S9_NS7_15normal_iteratorINS6_10device_ptrIiEEEENS6_16discard_iteratorINS6_11use_defaultEEEZNS1_13binary_searchIS3_S9_SE_SE_SH_NS1_21lower_bound_search_opENS7_16wrapped_functionINS0_4lessIvEEbEEEE10hipError_tPvRmT1_T2_T3_mmT4_T5_P12ihipStream_tbEUlRKiE_EESO_SS_ST_mSU_SX_bEUlT_E_NS1_11comp_targetILNS1_3genE10ELNS1_11target_archE1200ELNS1_3gpuE4ELNS1_3repE0EEENS1_30default_config_static_selectorELNS0_4arch9wavefront6targetE0EEEvSR_,comdat
.Lfunc_end561:
	.size	_ZN7rocprim17ROCPRIM_400000_NS6detail17trampoline_kernelINS0_14default_configENS1_27lower_bound_config_selectorIiN6thrust23THRUST_200600_302600_NS6detail10any_assignEEEZNS1_14transform_implILb0ES3_S9_NS7_15normal_iteratorINS6_10device_ptrIiEEEENS6_16discard_iteratorINS6_11use_defaultEEEZNS1_13binary_searchIS3_S9_SE_SE_SH_NS1_21lower_bound_search_opENS7_16wrapped_functionINS0_4lessIvEEbEEEE10hipError_tPvRmT1_T2_T3_mmT4_T5_P12ihipStream_tbEUlRKiE_EESO_SS_ST_mSU_SX_bEUlT_E_NS1_11comp_targetILNS1_3genE10ELNS1_11target_archE1200ELNS1_3gpuE4ELNS1_3repE0EEENS1_30default_config_static_selectorELNS0_4arch9wavefront6targetE0EEEvSR_, .Lfunc_end561-_ZN7rocprim17ROCPRIM_400000_NS6detail17trampoline_kernelINS0_14default_configENS1_27lower_bound_config_selectorIiN6thrust23THRUST_200600_302600_NS6detail10any_assignEEEZNS1_14transform_implILb0ES3_S9_NS7_15normal_iteratorINS6_10device_ptrIiEEEENS6_16discard_iteratorINS6_11use_defaultEEEZNS1_13binary_searchIS3_S9_SE_SE_SH_NS1_21lower_bound_search_opENS7_16wrapped_functionINS0_4lessIvEEbEEEE10hipError_tPvRmT1_T2_T3_mmT4_T5_P12ihipStream_tbEUlRKiE_EESO_SS_ST_mSU_SX_bEUlT_E_NS1_11comp_targetILNS1_3genE10ELNS1_11target_archE1200ELNS1_3gpuE4ELNS1_3repE0EEENS1_30default_config_static_selectorELNS0_4arch9wavefront6targetE0EEEvSR_
                                        ; -- End function
	.section	.AMDGPU.csdata,"",@progbits
; Kernel info:
; codeLenInByte = 0
; NumSgprs: 0
; NumVgprs: 0
; ScratchSize: 0
; MemoryBound: 0
; FloatMode: 240
; IeeeMode: 1
; LDSByteSize: 0 bytes/workgroup (compile time only)
; SGPRBlocks: 0
; VGPRBlocks: 0
; NumSGPRsForWavesPerEU: 1
; NumVGPRsForWavesPerEU: 1
; Occupancy: 16
; WaveLimiterHint : 0
; COMPUTE_PGM_RSRC2:SCRATCH_EN: 0
; COMPUTE_PGM_RSRC2:USER_SGPR: 15
; COMPUTE_PGM_RSRC2:TRAP_HANDLER: 0
; COMPUTE_PGM_RSRC2:TGID_X_EN: 1
; COMPUTE_PGM_RSRC2:TGID_Y_EN: 0
; COMPUTE_PGM_RSRC2:TGID_Z_EN: 0
; COMPUTE_PGM_RSRC2:TIDIG_COMP_CNT: 0
	.section	.text._ZN7rocprim17ROCPRIM_400000_NS6detail17trampoline_kernelINS0_14default_configENS1_27lower_bound_config_selectorIiN6thrust23THRUST_200600_302600_NS6detail10any_assignEEEZNS1_14transform_implILb0ES3_S9_NS7_15normal_iteratorINS6_10device_ptrIiEEEENS6_16discard_iteratorINS6_11use_defaultEEEZNS1_13binary_searchIS3_S9_SE_SE_SH_NS1_21lower_bound_search_opENS7_16wrapped_functionINS0_4lessIvEEbEEEE10hipError_tPvRmT1_T2_T3_mmT4_T5_P12ihipStream_tbEUlRKiE_EESO_SS_ST_mSU_SX_bEUlT_E_NS1_11comp_targetILNS1_3genE9ELNS1_11target_archE1100ELNS1_3gpuE3ELNS1_3repE0EEENS1_30default_config_static_selectorELNS0_4arch9wavefront6targetE0EEEvSR_,"axG",@progbits,_ZN7rocprim17ROCPRIM_400000_NS6detail17trampoline_kernelINS0_14default_configENS1_27lower_bound_config_selectorIiN6thrust23THRUST_200600_302600_NS6detail10any_assignEEEZNS1_14transform_implILb0ES3_S9_NS7_15normal_iteratorINS6_10device_ptrIiEEEENS6_16discard_iteratorINS6_11use_defaultEEEZNS1_13binary_searchIS3_S9_SE_SE_SH_NS1_21lower_bound_search_opENS7_16wrapped_functionINS0_4lessIvEEbEEEE10hipError_tPvRmT1_T2_T3_mmT4_T5_P12ihipStream_tbEUlRKiE_EESO_SS_ST_mSU_SX_bEUlT_E_NS1_11comp_targetILNS1_3genE9ELNS1_11target_archE1100ELNS1_3gpuE3ELNS1_3repE0EEENS1_30default_config_static_selectorELNS0_4arch9wavefront6targetE0EEEvSR_,comdat
	.protected	_ZN7rocprim17ROCPRIM_400000_NS6detail17trampoline_kernelINS0_14default_configENS1_27lower_bound_config_selectorIiN6thrust23THRUST_200600_302600_NS6detail10any_assignEEEZNS1_14transform_implILb0ES3_S9_NS7_15normal_iteratorINS6_10device_ptrIiEEEENS6_16discard_iteratorINS6_11use_defaultEEEZNS1_13binary_searchIS3_S9_SE_SE_SH_NS1_21lower_bound_search_opENS7_16wrapped_functionINS0_4lessIvEEbEEEE10hipError_tPvRmT1_T2_T3_mmT4_T5_P12ihipStream_tbEUlRKiE_EESO_SS_ST_mSU_SX_bEUlT_E_NS1_11comp_targetILNS1_3genE9ELNS1_11target_archE1100ELNS1_3gpuE3ELNS1_3repE0EEENS1_30default_config_static_selectorELNS0_4arch9wavefront6targetE0EEEvSR_ ; -- Begin function _ZN7rocprim17ROCPRIM_400000_NS6detail17trampoline_kernelINS0_14default_configENS1_27lower_bound_config_selectorIiN6thrust23THRUST_200600_302600_NS6detail10any_assignEEEZNS1_14transform_implILb0ES3_S9_NS7_15normal_iteratorINS6_10device_ptrIiEEEENS6_16discard_iteratorINS6_11use_defaultEEEZNS1_13binary_searchIS3_S9_SE_SE_SH_NS1_21lower_bound_search_opENS7_16wrapped_functionINS0_4lessIvEEbEEEE10hipError_tPvRmT1_T2_T3_mmT4_T5_P12ihipStream_tbEUlRKiE_EESO_SS_ST_mSU_SX_bEUlT_E_NS1_11comp_targetILNS1_3genE9ELNS1_11target_archE1100ELNS1_3gpuE3ELNS1_3repE0EEENS1_30default_config_static_selectorELNS0_4arch9wavefront6targetE0EEEvSR_
	.globl	_ZN7rocprim17ROCPRIM_400000_NS6detail17trampoline_kernelINS0_14default_configENS1_27lower_bound_config_selectorIiN6thrust23THRUST_200600_302600_NS6detail10any_assignEEEZNS1_14transform_implILb0ES3_S9_NS7_15normal_iteratorINS6_10device_ptrIiEEEENS6_16discard_iteratorINS6_11use_defaultEEEZNS1_13binary_searchIS3_S9_SE_SE_SH_NS1_21lower_bound_search_opENS7_16wrapped_functionINS0_4lessIvEEbEEEE10hipError_tPvRmT1_T2_T3_mmT4_T5_P12ihipStream_tbEUlRKiE_EESO_SS_ST_mSU_SX_bEUlT_E_NS1_11comp_targetILNS1_3genE9ELNS1_11target_archE1100ELNS1_3gpuE3ELNS1_3repE0EEENS1_30default_config_static_selectorELNS0_4arch9wavefront6targetE0EEEvSR_
	.p2align	8
	.type	_ZN7rocprim17ROCPRIM_400000_NS6detail17trampoline_kernelINS0_14default_configENS1_27lower_bound_config_selectorIiN6thrust23THRUST_200600_302600_NS6detail10any_assignEEEZNS1_14transform_implILb0ES3_S9_NS7_15normal_iteratorINS6_10device_ptrIiEEEENS6_16discard_iteratorINS6_11use_defaultEEEZNS1_13binary_searchIS3_S9_SE_SE_SH_NS1_21lower_bound_search_opENS7_16wrapped_functionINS0_4lessIvEEbEEEE10hipError_tPvRmT1_T2_T3_mmT4_T5_P12ihipStream_tbEUlRKiE_EESO_SS_ST_mSU_SX_bEUlT_E_NS1_11comp_targetILNS1_3genE9ELNS1_11target_archE1100ELNS1_3gpuE3ELNS1_3repE0EEENS1_30default_config_static_selectorELNS0_4arch9wavefront6targetE0EEEvSR_,@function
_ZN7rocprim17ROCPRIM_400000_NS6detail17trampoline_kernelINS0_14default_configENS1_27lower_bound_config_selectorIiN6thrust23THRUST_200600_302600_NS6detail10any_assignEEEZNS1_14transform_implILb0ES3_S9_NS7_15normal_iteratorINS6_10device_ptrIiEEEENS6_16discard_iteratorINS6_11use_defaultEEEZNS1_13binary_searchIS3_S9_SE_SE_SH_NS1_21lower_bound_search_opENS7_16wrapped_functionINS0_4lessIvEEbEEEE10hipError_tPvRmT1_T2_T3_mmT4_T5_P12ihipStream_tbEUlRKiE_EESO_SS_ST_mSU_SX_bEUlT_E_NS1_11comp_targetILNS1_3genE9ELNS1_11target_archE1100ELNS1_3gpuE3ELNS1_3repE0EEENS1_30default_config_static_selectorELNS0_4arch9wavefront6targetE0EEEvSR_: ; @_ZN7rocprim17ROCPRIM_400000_NS6detail17trampoline_kernelINS0_14default_configENS1_27lower_bound_config_selectorIiN6thrust23THRUST_200600_302600_NS6detail10any_assignEEEZNS1_14transform_implILb0ES3_S9_NS7_15normal_iteratorINS6_10device_ptrIiEEEENS6_16discard_iteratorINS6_11use_defaultEEEZNS1_13binary_searchIS3_S9_SE_SE_SH_NS1_21lower_bound_search_opENS7_16wrapped_functionINS0_4lessIvEEbEEEE10hipError_tPvRmT1_T2_T3_mmT4_T5_P12ihipStream_tbEUlRKiE_EESO_SS_ST_mSU_SX_bEUlT_E_NS1_11comp_targetILNS1_3genE9ELNS1_11target_archE1100ELNS1_3gpuE3ELNS1_3repE0EEENS1_30default_config_static_selectorELNS0_4arch9wavefront6targetE0EEEvSR_
; %bb.0:
	s_endpgm
	.section	.rodata,"a",@progbits
	.p2align	6, 0x0
	.amdhsa_kernel _ZN7rocprim17ROCPRIM_400000_NS6detail17trampoline_kernelINS0_14default_configENS1_27lower_bound_config_selectorIiN6thrust23THRUST_200600_302600_NS6detail10any_assignEEEZNS1_14transform_implILb0ES3_S9_NS7_15normal_iteratorINS6_10device_ptrIiEEEENS6_16discard_iteratorINS6_11use_defaultEEEZNS1_13binary_searchIS3_S9_SE_SE_SH_NS1_21lower_bound_search_opENS7_16wrapped_functionINS0_4lessIvEEbEEEE10hipError_tPvRmT1_T2_T3_mmT4_T5_P12ihipStream_tbEUlRKiE_EESO_SS_ST_mSU_SX_bEUlT_E_NS1_11comp_targetILNS1_3genE9ELNS1_11target_archE1100ELNS1_3gpuE3ELNS1_3repE0EEENS1_30default_config_static_selectorELNS0_4arch9wavefront6targetE0EEEvSR_
		.amdhsa_group_segment_fixed_size 0
		.amdhsa_private_segment_fixed_size 0
		.amdhsa_kernarg_size 64
		.amdhsa_user_sgpr_count 15
		.amdhsa_user_sgpr_dispatch_ptr 0
		.amdhsa_user_sgpr_queue_ptr 0
		.amdhsa_user_sgpr_kernarg_segment_ptr 1
		.amdhsa_user_sgpr_dispatch_id 0
		.amdhsa_user_sgpr_private_segment_size 0
		.amdhsa_wavefront_size32 1
		.amdhsa_uses_dynamic_stack 0
		.amdhsa_enable_private_segment 0
		.amdhsa_system_sgpr_workgroup_id_x 1
		.amdhsa_system_sgpr_workgroup_id_y 0
		.amdhsa_system_sgpr_workgroup_id_z 0
		.amdhsa_system_sgpr_workgroup_info 0
		.amdhsa_system_vgpr_workitem_id 0
		.amdhsa_next_free_vgpr 1
		.amdhsa_next_free_sgpr 1
		.amdhsa_reserve_vcc 0
		.amdhsa_float_round_mode_32 0
		.amdhsa_float_round_mode_16_64 0
		.amdhsa_float_denorm_mode_32 3
		.amdhsa_float_denorm_mode_16_64 3
		.amdhsa_dx10_clamp 1
		.amdhsa_ieee_mode 1
		.amdhsa_fp16_overflow 0
		.amdhsa_workgroup_processor_mode 1
		.amdhsa_memory_ordered 1
		.amdhsa_forward_progress 0
		.amdhsa_shared_vgpr_count 0
		.amdhsa_exception_fp_ieee_invalid_op 0
		.amdhsa_exception_fp_denorm_src 0
		.amdhsa_exception_fp_ieee_div_zero 0
		.amdhsa_exception_fp_ieee_overflow 0
		.amdhsa_exception_fp_ieee_underflow 0
		.amdhsa_exception_fp_ieee_inexact 0
		.amdhsa_exception_int_div_zero 0
	.end_amdhsa_kernel
	.section	.text._ZN7rocprim17ROCPRIM_400000_NS6detail17trampoline_kernelINS0_14default_configENS1_27lower_bound_config_selectorIiN6thrust23THRUST_200600_302600_NS6detail10any_assignEEEZNS1_14transform_implILb0ES3_S9_NS7_15normal_iteratorINS6_10device_ptrIiEEEENS6_16discard_iteratorINS6_11use_defaultEEEZNS1_13binary_searchIS3_S9_SE_SE_SH_NS1_21lower_bound_search_opENS7_16wrapped_functionINS0_4lessIvEEbEEEE10hipError_tPvRmT1_T2_T3_mmT4_T5_P12ihipStream_tbEUlRKiE_EESO_SS_ST_mSU_SX_bEUlT_E_NS1_11comp_targetILNS1_3genE9ELNS1_11target_archE1100ELNS1_3gpuE3ELNS1_3repE0EEENS1_30default_config_static_selectorELNS0_4arch9wavefront6targetE0EEEvSR_,"axG",@progbits,_ZN7rocprim17ROCPRIM_400000_NS6detail17trampoline_kernelINS0_14default_configENS1_27lower_bound_config_selectorIiN6thrust23THRUST_200600_302600_NS6detail10any_assignEEEZNS1_14transform_implILb0ES3_S9_NS7_15normal_iteratorINS6_10device_ptrIiEEEENS6_16discard_iteratorINS6_11use_defaultEEEZNS1_13binary_searchIS3_S9_SE_SE_SH_NS1_21lower_bound_search_opENS7_16wrapped_functionINS0_4lessIvEEbEEEE10hipError_tPvRmT1_T2_T3_mmT4_T5_P12ihipStream_tbEUlRKiE_EESO_SS_ST_mSU_SX_bEUlT_E_NS1_11comp_targetILNS1_3genE9ELNS1_11target_archE1100ELNS1_3gpuE3ELNS1_3repE0EEENS1_30default_config_static_selectorELNS0_4arch9wavefront6targetE0EEEvSR_,comdat
.Lfunc_end562:
	.size	_ZN7rocprim17ROCPRIM_400000_NS6detail17trampoline_kernelINS0_14default_configENS1_27lower_bound_config_selectorIiN6thrust23THRUST_200600_302600_NS6detail10any_assignEEEZNS1_14transform_implILb0ES3_S9_NS7_15normal_iteratorINS6_10device_ptrIiEEEENS6_16discard_iteratorINS6_11use_defaultEEEZNS1_13binary_searchIS3_S9_SE_SE_SH_NS1_21lower_bound_search_opENS7_16wrapped_functionINS0_4lessIvEEbEEEE10hipError_tPvRmT1_T2_T3_mmT4_T5_P12ihipStream_tbEUlRKiE_EESO_SS_ST_mSU_SX_bEUlT_E_NS1_11comp_targetILNS1_3genE9ELNS1_11target_archE1100ELNS1_3gpuE3ELNS1_3repE0EEENS1_30default_config_static_selectorELNS0_4arch9wavefront6targetE0EEEvSR_, .Lfunc_end562-_ZN7rocprim17ROCPRIM_400000_NS6detail17trampoline_kernelINS0_14default_configENS1_27lower_bound_config_selectorIiN6thrust23THRUST_200600_302600_NS6detail10any_assignEEEZNS1_14transform_implILb0ES3_S9_NS7_15normal_iteratorINS6_10device_ptrIiEEEENS6_16discard_iteratorINS6_11use_defaultEEEZNS1_13binary_searchIS3_S9_SE_SE_SH_NS1_21lower_bound_search_opENS7_16wrapped_functionINS0_4lessIvEEbEEEE10hipError_tPvRmT1_T2_T3_mmT4_T5_P12ihipStream_tbEUlRKiE_EESO_SS_ST_mSU_SX_bEUlT_E_NS1_11comp_targetILNS1_3genE9ELNS1_11target_archE1100ELNS1_3gpuE3ELNS1_3repE0EEENS1_30default_config_static_selectorELNS0_4arch9wavefront6targetE0EEEvSR_
                                        ; -- End function
	.section	.AMDGPU.csdata,"",@progbits
; Kernel info:
; codeLenInByte = 4
; NumSgprs: 0
; NumVgprs: 0
; ScratchSize: 0
; MemoryBound: 0
; FloatMode: 240
; IeeeMode: 1
; LDSByteSize: 0 bytes/workgroup (compile time only)
; SGPRBlocks: 0
; VGPRBlocks: 0
; NumSGPRsForWavesPerEU: 1
; NumVGPRsForWavesPerEU: 1
; Occupancy: 16
; WaveLimiterHint : 0
; COMPUTE_PGM_RSRC2:SCRATCH_EN: 0
; COMPUTE_PGM_RSRC2:USER_SGPR: 15
; COMPUTE_PGM_RSRC2:TRAP_HANDLER: 0
; COMPUTE_PGM_RSRC2:TGID_X_EN: 1
; COMPUTE_PGM_RSRC2:TGID_Y_EN: 0
; COMPUTE_PGM_RSRC2:TGID_Z_EN: 0
; COMPUTE_PGM_RSRC2:TIDIG_COMP_CNT: 0
	.section	.text._ZN7rocprim17ROCPRIM_400000_NS6detail17trampoline_kernelINS0_14default_configENS1_27lower_bound_config_selectorIiN6thrust23THRUST_200600_302600_NS6detail10any_assignEEEZNS1_14transform_implILb0ES3_S9_NS7_15normal_iteratorINS6_10device_ptrIiEEEENS6_16discard_iteratorINS6_11use_defaultEEEZNS1_13binary_searchIS3_S9_SE_SE_SH_NS1_21lower_bound_search_opENS7_16wrapped_functionINS0_4lessIvEEbEEEE10hipError_tPvRmT1_T2_T3_mmT4_T5_P12ihipStream_tbEUlRKiE_EESO_SS_ST_mSU_SX_bEUlT_E_NS1_11comp_targetILNS1_3genE8ELNS1_11target_archE1030ELNS1_3gpuE2ELNS1_3repE0EEENS1_30default_config_static_selectorELNS0_4arch9wavefront6targetE0EEEvSR_,"axG",@progbits,_ZN7rocprim17ROCPRIM_400000_NS6detail17trampoline_kernelINS0_14default_configENS1_27lower_bound_config_selectorIiN6thrust23THRUST_200600_302600_NS6detail10any_assignEEEZNS1_14transform_implILb0ES3_S9_NS7_15normal_iteratorINS6_10device_ptrIiEEEENS6_16discard_iteratorINS6_11use_defaultEEEZNS1_13binary_searchIS3_S9_SE_SE_SH_NS1_21lower_bound_search_opENS7_16wrapped_functionINS0_4lessIvEEbEEEE10hipError_tPvRmT1_T2_T3_mmT4_T5_P12ihipStream_tbEUlRKiE_EESO_SS_ST_mSU_SX_bEUlT_E_NS1_11comp_targetILNS1_3genE8ELNS1_11target_archE1030ELNS1_3gpuE2ELNS1_3repE0EEENS1_30default_config_static_selectorELNS0_4arch9wavefront6targetE0EEEvSR_,comdat
	.protected	_ZN7rocprim17ROCPRIM_400000_NS6detail17trampoline_kernelINS0_14default_configENS1_27lower_bound_config_selectorIiN6thrust23THRUST_200600_302600_NS6detail10any_assignEEEZNS1_14transform_implILb0ES3_S9_NS7_15normal_iteratorINS6_10device_ptrIiEEEENS6_16discard_iteratorINS6_11use_defaultEEEZNS1_13binary_searchIS3_S9_SE_SE_SH_NS1_21lower_bound_search_opENS7_16wrapped_functionINS0_4lessIvEEbEEEE10hipError_tPvRmT1_T2_T3_mmT4_T5_P12ihipStream_tbEUlRKiE_EESO_SS_ST_mSU_SX_bEUlT_E_NS1_11comp_targetILNS1_3genE8ELNS1_11target_archE1030ELNS1_3gpuE2ELNS1_3repE0EEENS1_30default_config_static_selectorELNS0_4arch9wavefront6targetE0EEEvSR_ ; -- Begin function _ZN7rocprim17ROCPRIM_400000_NS6detail17trampoline_kernelINS0_14default_configENS1_27lower_bound_config_selectorIiN6thrust23THRUST_200600_302600_NS6detail10any_assignEEEZNS1_14transform_implILb0ES3_S9_NS7_15normal_iteratorINS6_10device_ptrIiEEEENS6_16discard_iteratorINS6_11use_defaultEEEZNS1_13binary_searchIS3_S9_SE_SE_SH_NS1_21lower_bound_search_opENS7_16wrapped_functionINS0_4lessIvEEbEEEE10hipError_tPvRmT1_T2_T3_mmT4_T5_P12ihipStream_tbEUlRKiE_EESO_SS_ST_mSU_SX_bEUlT_E_NS1_11comp_targetILNS1_3genE8ELNS1_11target_archE1030ELNS1_3gpuE2ELNS1_3repE0EEENS1_30default_config_static_selectorELNS0_4arch9wavefront6targetE0EEEvSR_
	.globl	_ZN7rocprim17ROCPRIM_400000_NS6detail17trampoline_kernelINS0_14default_configENS1_27lower_bound_config_selectorIiN6thrust23THRUST_200600_302600_NS6detail10any_assignEEEZNS1_14transform_implILb0ES3_S9_NS7_15normal_iteratorINS6_10device_ptrIiEEEENS6_16discard_iteratorINS6_11use_defaultEEEZNS1_13binary_searchIS3_S9_SE_SE_SH_NS1_21lower_bound_search_opENS7_16wrapped_functionINS0_4lessIvEEbEEEE10hipError_tPvRmT1_T2_T3_mmT4_T5_P12ihipStream_tbEUlRKiE_EESO_SS_ST_mSU_SX_bEUlT_E_NS1_11comp_targetILNS1_3genE8ELNS1_11target_archE1030ELNS1_3gpuE2ELNS1_3repE0EEENS1_30default_config_static_selectorELNS0_4arch9wavefront6targetE0EEEvSR_
	.p2align	8
	.type	_ZN7rocprim17ROCPRIM_400000_NS6detail17trampoline_kernelINS0_14default_configENS1_27lower_bound_config_selectorIiN6thrust23THRUST_200600_302600_NS6detail10any_assignEEEZNS1_14transform_implILb0ES3_S9_NS7_15normal_iteratorINS6_10device_ptrIiEEEENS6_16discard_iteratorINS6_11use_defaultEEEZNS1_13binary_searchIS3_S9_SE_SE_SH_NS1_21lower_bound_search_opENS7_16wrapped_functionINS0_4lessIvEEbEEEE10hipError_tPvRmT1_T2_T3_mmT4_T5_P12ihipStream_tbEUlRKiE_EESO_SS_ST_mSU_SX_bEUlT_E_NS1_11comp_targetILNS1_3genE8ELNS1_11target_archE1030ELNS1_3gpuE2ELNS1_3repE0EEENS1_30default_config_static_selectorELNS0_4arch9wavefront6targetE0EEEvSR_,@function
_ZN7rocprim17ROCPRIM_400000_NS6detail17trampoline_kernelINS0_14default_configENS1_27lower_bound_config_selectorIiN6thrust23THRUST_200600_302600_NS6detail10any_assignEEEZNS1_14transform_implILb0ES3_S9_NS7_15normal_iteratorINS6_10device_ptrIiEEEENS6_16discard_iteratorINS6_11use_defaultEEEZNS1_13binary_searchIS3_S9_SE_SE_SH_NS1_21lower_bound_search_opENS7_16wrapped_functionINS0_4lessIvEEbEEEE10hipError_tPvRmT1_T2_T3_mmT4_T5_P12ihipStream_tbEUlRKiE_EESO_SS_ST_mSU_SX_bEUlT_E_NS1_11comp_targetILNS1_3genE8ELNS1_11target_archE1030ELNS1_3gpuE2ELNS1_3repE0EEENS1_30default_config_static_selectorELNS0_4arch9wavefront6targetE0EEEvSR_: ; @_ZN7rocprim17ROCPRIM_400000_NS6detail17trampoline_kernelINS0_14default_configENS1_27lower_bound_config_selectorIiN6thrust23THRUST_200600_302600_NS6detail10any_assignEEEZNS1_14transform_implILb0ES3_S9_NS7_15normal_iteratorINS6_10device_ptrIiEEEENS6_16discard_iteratorINS6_11use_defaultEEEZNS1_13binary_searchIS3_S9_SE_SE_SH_NS1_21lower_bound_search_opENS7_16wrapped_functionINS0_4lessIvEEbEEEE10hipError_tPvRmT1_T2_T3_mmT4_T5_P12ihipStream_tbEUlRKiE_EESO_SS_ST_mSU_SX_bEUlT_E_NS1_11comp_targetILNS1_3genE8ELNS1_11target_archE1030ELNS1_3gpuE2ELNS1_3repE0EEENS1_30default_config_static_selectorELNS0_4arch9wavefront6targetE0EEEvSR_
; %bb.0:
	.section	.rodata,"a",@progbits
	.p2align	6, 0x0
	.amdhsa_kernel _ZN7rocprim17ROCPRIM_400000_NS6detail17trampoline_kernelINS0_14default_configENS1_27lower_bound_config_selectorIiN6thrust23THRUST_200600_302600_NS6detail10any_assignEEEZNS1_14transform_implILb0ES3_S9_NS7_15normal_iteratorINS6_10device_ptrIiEEEENS6_16discard_iteratorINS6_11use_defaultEEEZNS1_13binary_searchIS3_S9_SE_SE_SH_NS1_21lower_bound_search_opENS7_16wrapped_functionINS0_4lessIvEEbEEEE10hipError_tPvRmT1_T2_T3_mmT4_T5_P12ihipStream_tbEUlRKiE_EESO_SS_ST_mSU_SX_bEUlT_E_NS1_11comp_targetILNS1_3genE8ELNS1_11target_archE1030ELNS1_3gpuE2ELNS1_3repE0EEENS1_30default_config_static_selectorELNS0_4arch9wavefront6targetE0EEEvSR_
		.amdhsa_group_segment_fixed_size 0
		.amdhsa_private_segment_fixed_size 0
		.amdhsa_kernarg_size 64
		.amdhsa_user_sgpr_count 15
		.amdhsa_user_sgpr_dispatch_ptr 0
		.amdhsa_user_sgpr_queue_ptr 0
		.amdhsa_user_sgpr_kernarg_segment_ptr 1
		.amdhsa_user_sgpr_dispatch_id 0
		.amdhsa_user_sgpr_private_segment_size 0
		.amdhsa_wavefront_size32 1
		.amdhsa_uses_dynamic_stack 0
		.amdhsa_enable_private_segment 0
		.amdhsa_system_sgpr_workgroup_id_x 1
		.amdhsa_system_sgpr_workgroup_id_y 0
		.amdhsa_system_sgpr_workgroup_id_z 0
		.amdhsa_system_sgpr_workgroup_info 0
		.amdhsa_system_vgpr_workitem_id 0
		.amdhsa_next_free_vgpr 1
		.amdhsa_next_free_sgpr 1
		.amdhsa_reserve_vcc 0
		.amdhsa_float_round_mode_32 0
		.amdhsa_float_round_mode_16_64 0
		.amdhsa_float_denorm_mode_32 3
		.amdhsa_float_denorm_mode_16_64 3
		.amdhsa_dx10_clamp 1
		.amdhsa_ieee_mode 1
		.amdhsa_fp16_overflow 0
		.amdhsa_workgroup_processor_mode 1
		.amdhsa_memory_ordered 1
		.amdhsa_forward_progress 0
		.amdhsa_shared_vgpr_count 0
		.amdhsa_exception_fp_ieee_invalid_op 0
		.amdhsa_exception_fp_denorm_src 0
		.amdhsa_exception_fp_ieee_div_zero 0
		.amdhsa_exception_fp_ieee_overflow 0
		.amdhsa_exception_fp_ieee_underflow 0
		.amdhsa_exception_fp_ieee_inexact 0
		.amdhsa_exception_int_div_zero 0
	.end_amdhsa_kernel
	.section	.text._ZN7rocprim17ROCPRIM_400000_NS6detail17trampoline_kernelINS0_14default_configENS1_27lower_bound_config_selectorIiN6thrust23THRUST_200600_302600_NS6detail10any_assignEEEZNS1_14transform_implILb0ES3_S9_NS7_15normal_iteratorINS6_10device_ptrIiEEEENS6_16discard_iteratorINS6_11use_defaultEEEZNS1_13binary_searchIS3_S9_SE_SE_SH_NS1_21lower_bound_search_opENS7_16wrapped_functionINS0_4lessIvEEbEEEE10hipError_tPvRmT1_T2_T3_mmT4_T5_P12ihipStream_tbEUlRKiE_EESO_SS_ST_mSU_SX_bEUlT_E_NS1_11comp_targetILNS1_3genE8ELNS1_11target_archE1030ELNS1_3gpuE2ELNS1_3repE0EEENS1_30default_config_static_selectorELNS0_4arch9wavefront6targetE0EEEvSR_,"axG",@progbits,_ZN7rocprim17ROCPRIM_400000_NS6detail17trampoline_kernelINS0_14default_configENS1_27lower_bound_config_selectorIiN6thrust23THRUST_200600_302600_NS6detail10any_assignEEEZNS1_14transform_implILb0ES3_S9_NS7_15normal_iteratorINS6_10device_ptrIiEEEENS6_16discard_iteratorINS6_11use_defaultEEEZNS1_13binary_searchIS3_S9_SE_SE_SH_NS1_21lower_bound_search_opENS7_16wrapped_functionINS0_4lessIvEEbEEEE10hipError_tPvRmT1_T2_T3_mmT4_T5_P12ihipStream_tbEUlRKiE_EESO_SS_ST_mSU_SX_bEUlT_E_NS1_11comp_targetILNS1_3genE8ELNS1_11target_archE1030ELNS1_3gpuE2ELNS1_3repE0EEENS1_30default_config_static_selectorELNS0_4arch9wavefront6targetE0EEEvSR_,comdat
.Lfunc_end563:
	.size	_ZN7rocprim17ROCPRIM_400000_NS6detail17trampoline_kernelINS0_14default_configENS1_27lower_bound_config_selectorIiN6thrust23THRUST_200600_302600_NS6detail10any_assignEEEZNS1_14transform_implILb0ES3_S9_NS7_15normal_iteratorINS6_10device_ptrIiEEEENS6_16discard_iteratorINS6_11use_defaultEEEZNS1_13binary_searchIS3_S9_SE_SE_SH_NS1_21lower_bound_search_opENS7_16wrapped_functionINS0_4lessIvEEbEEEE10hipError_tPvRmT1_T2_T3_mmT4_T5_P12ihipStream_tbEUlRKiE_EESO_SS_ST_mSU_SX_bEUlT_E_NS1_11comp_targetILNS1_3genE8ELNS1_11target_archE1030ELNS1_3gpuE2ELNS1_3repE0EEENS1_30default_config_static_selectorELNS0_4arch9wavefront6targetE0EEEvSR_, .Lfunc_end563-_ZN7rocprim17ROCPRIM_400000_NS6detail17trampoline_kernelINS0_14default_configENS1_27lower_bound_config_selectorIiN6thrust23THRUST_200600_302600_NS6detail10any_assignEEEZNS1_14transform_implILb0ES3_S9_NS7_15normal_iteratorINS6_10device_ptrIiEEEENS6_16discard_iteratorINS6_11use_defaultEEEZNS1_13binary_searchIS3_S9_SE_SE_SH_NS1_21lower_bound_search_opENS7_16wrapped_functionINS0_4lessIvEEbEEEE10hipError_tPvRmT1_T2_T3_mmT4_T5_P12ihipStream_tbEUlRKiE_EESO_SS_ST_mSU_SX_bEUlT_E_NS1_11comp_targetILNS1_3genE8ELNS1_11target_archE1030ELNS1_3gpuE2ELNS1_3repE0EEENS1_30default_config_static_selectorELNS0_4arch9wavefront6targetE0EEEvSR_
                                        ; -- End function
	.section	.AMDGPU.csdata,"",@progbits
; Kernel info:
; codeLenInByte = 0
; NumSgprs: 0
; NumVgprs: 0
; ScratchSize: 0
; MemoryBound: 0
; FloatMode: 240
; IeeeMode: 1
; LDSByteSize: 0 bytes/workgroup (compile time only)
; SGPRBlocks: 0
; VGPRBlocks: 0
; NumSGPRsForWavesPerEU: 1
; NumVGPRsForWavesPerEU: 1
; Occupancy: 16
; WaveLimiterHint : 0
; COMPUTE_PGM_RSRC2:SCRATCH_EN: 0
; COMPUTE_PGM_RSRC2:USER_SGPR: 15
; COMPUTE_PGM_RSRC2:TRAP_HANDLER: 0
; COMPUTE_PGM_RSRC2:TGID_X_EN: 1
; COMPUTE_PGM_RSRC2:TGID_Y_EN: 0
; COMPUTE_PGM_RSRC2:TGID_Z_EN: 0
; COMPUTE_PGM_RSRC2:TIDIG_COMP_CNT: 0
	.section	.text._ZN7rocprim17ROCPRIM_400000_NS6detail17trampoline_kernelINS0_14default_configENS1_27lower_bound_config_selectorIsN6thrust23THRUST_200600_302600_NS6detail10any_assignEEEZNS1_14transform_implILb0ES3_S9_NS7_15normal_iteratorINS6_10device_ptrIsEEEENS6_16discard_iteratorINS6_11use_defaultEEEZNS1_13binary_searchIS3_S9_SE_SE_SH_NS1_21lower_bound_search_opENS7_16wrapped_functionINS0_4lessIvEEbEEEE10hipError_tPvRmT1_T2_T3_mmT4_T5_P12ihipStream_tbEUlRKsE_EESO_SS_ST_mSU_SX_bEUlT_E_NS1_11comp_targetILNS1_3genE0ELNS1_11target_archE4294967295ELNS1_3gpuE0ELNS1_3repE0EEENS1_30default_config_static_selectorELNS0_4arch9wavefront6targetE0EEEvSR_,"axG",@progbits,_ZN7rocprim17ROCPRIM_400000_NS6detail17trampoline_kernelINS0_14default_configENS1_27lower_bound_config_selectorIsN6thrust23THRUST_200600_302600_NS6detail10any_assignEEEZNS1_14transform_implILb0ES3_S9_NS7_15normal_iteratorINS6_10device_ptrIsEEEENS6_16discard_iteratorINS6_11use_defaultEEEZNS1_13binary_searchIS3_S9_SE_SE_SH_NS1_21lower_bound_search_opENS7_16wrapped_functionINS0_4lessIvEEbEEEE10hipError_tPvRmT1_T2_T3_mmT4_T5_P12ihipStream_tbEUlRKsE_EESO_SS_ST_mSU_SX_bEUlT_E_NS1_11comp_targetILNS1_3genE0ELNS1_11target_archE4294967295ELNS1_3gpuE0ELNS1_3repE0EEENS1_30default_config_static_selectorELNS0_4arch9wavefront6targetE0EEEvSR_,comdat
	.protected	_ZN7rocprim17ROCPRIM_400000_NS6detail17trampoline_kernelINS0_14default_configENS1_27lower_bound_config_selectorIsN6thrust23THRUST_200600_302600_NS6detail10any_assignEEEZNS1_14transform_implILb0ES3_S9_NS7_15normal_iteratorINS6_10device_ptrIsEEEENS6_16discard_iteratorINS6_11use_defaultEEEZNS1_13binary_searchIS3_S9_SE_SE_SH_NS1_21lower_bound_search_opENS7_16wrapped_functionINS0_4lessIvEEbEEEE10hipError_tPvRmT1_T2_T3_mmT4_T5_P12ihipStream_tbEUlRKsE_EESO_SS_ST_mSU_SX_bEUlT_E_NS1_11comp_targetILNS1_3genE0ELNS1_11target_archE4294967295ELNS1_3gpuE0ELNS1_3repE0EEENS1_30default_config_static_selectorELNS0_4arch9wavefront6targetE0EEEvSR_ ; -- Begin function _ZN7rocprim17ROCPRIM_400000_NS6detail17trampoline_kernelINS0_14default_configENS1_27lower_bound_config_selectorIsN6thrust23THRUST_200600_302600_NS6detail10any_assignEEEZNS1_14transform_implILb0ES3_S9_NS7_15normal_iteratorINS6_10device_ptrIsEEEENS6_16discard_iteratorINS6_11use_defaultEEEZNS1_13binary_searchIS3_S9_SE_SE_SH_NS1_21lower_bound_search_opENS7_16wrapped_functionINS0_4lessIvEEbEEEE10hipError_tPvRmT1_T2_T3_mmT4_T5_P12ihipStream_tbEUlRKsE_EESO_SS_ST_mSU_SX_bEUlT_E_NS1_11comp_targetILNS1_3genE0ELNS1_11target_archE4294967295ELNS1_3gpuE0ELNS1_3repE0EEENS1_30default_config_static_selectorELNS0_4arch9wavefront6targetE0EEEvSR_
	.globl	_ZN7rocprim17ROCPRIM_400000_NS6detail17trampoline_kernelINS0_14default_configENS1_27lower_bound_config_selectorIsN6thrust23THRUST_200600_302600_NS6detail10any_assignEEEZNS1_14transform_implILb0ES3_S9_NS7_15normal_iteratorINS6_10device_ptrIsEEEENS6_16discard_iteratorINS6_11use_defaultEEEZNS1_13binary_searchIS3_S9_SE_SE_SH_NS1_21lower_bound_search_opENS7_16wrapped_functionINS0_4lessIvEEbEEEE10hipError_tPvRmT1_T2_T3_mmT4_T5_P12ihipStream_tbEUlRKsE_EESO_SS_ST_mSU_SX_bEUlT_E_NS1_11comp_targetILNS1_3genE0ELNS1_11target_archE4294967295ELNS1_3gpuE0ELNS1_3repE0EEENS1_30default_config_static_selectorELNS0_4arch9wavefront6targetE0EEEvSR_
	.p2align	8
	.type	_ZN7rocprim17ROCPRIM_400000_NS6detail17trampoline_kernelINS0_14default_configENS1_27lower_bound_config_selectorIsN6thrust23THRUST_200600_302600_NS6detail10any_assignEEEZNS1_14transform_implILb0ES3_S9_NS7_15normal_iteratorINS6_10device_ptrIsEEEENS6_16discard_iteratorINS6_11use_defaultEEEZNS1_13binary_searchIS3_S9_SE_SE_SH_NS1_21lower_bound_search_opENS7_16wrapped_functionINS0_4lessIvEEbEEEE10hipError_tPvRmT1_T2_T3_mmT4_T5_P12ihipStream_tbEUlRKsE_EESO_SS_ST_mSU_SX_bEUlT_E_NS1_11comp_targetILNS1_3genE0ELNS1_11target_archE4294967295ELNS1_3gpuE0ELNS1_3repE0EEENS1_30default_config_static_selectorELNS0_4arch9wavefront6targetE0EEEvSR_,@function
_ZN7rocprim17ROCPRIM_400000_NS6detail17trampoline_kernelINS0_14default_configENS1_27lower_bound_config_selectorIsN6thrust23THRUST_200600_302600_NS6detail10any_assignEEEZNS1_14transform_implILb0ES3_S9_NS7_15normal_iteratorINS6_10device_ptrIsEEEENS6_16discard_iteratorINS6_11use_defaultEEEZNS1_13binary_searchIS3_S9_SE_SE_SH_NS1_21lower_bound_search_opENS7_16wrapped_functionINS0_4lessIvEEbEEEE10hipError_tPvRmT1_T2_T3_mmT4_T5_P12ihipStream_tbEUlRKsE_EESO_SS_ST_mSU_SX_bEUlT_E_NS1_11comp_targetILNS1_3genE0ELNS1_11target_archE4294967295ELNS1_3gpuE0ELNS1_3repE0EEENS1_30default_config_static_selectorELNS0_4arch9wavefront6targetE0EEEvSR_: ; @_ZN7rocprim17ROCPRIM_400000_NS6detail17trampoline_kernelINS0_14default_configENS1_27lower_bound_config_selectorIsN6thrust23THRUST_200600_302600_NS6detail10any_assignEEEZNS1_14transform_implILb0ES3_S9_NS7_15normal_iteratorINS6_10device_ptrIsEEEENS6_16discard_iteratorINS6_11use_defaultEEEZNS1_13binary_searchIS3_S9_SE_SE_SH_NS1_21lower_bound_search_opENS7_16wrapped_functionINS0_4lessIvEEbEEEE10hipError_tPvRmT1_T2_T3_mmT4_T5_P12ihipStream_tbEUlRKsE_EESO_SS_ST_mSU_SX_bEUlT_E_NS1_11comp_targetILNS1_3genE0ELNS1_11target_archE4294967295ELNS1_3gpuE0ELNS1_3repE0EEENS1_30default_config_static_selectorELNS0_4arch9wavefront6targetE0EEEvSR_
; %bb.0:
	.section	.rodata,"a",@progbits
	.p2align	6, 0x0
	.amdhsa_kernel _ZN7rocprim17ROCPRIM_400000_NS6detail17trampoline_kernelINS0_14default_configENS1_27lower_bound_config_selectorIsN6thrust23THRUST_200600_302600_NS6detail10any_assignEEEZNS1_14transform_implILb0ES3_S9_NS7_15normal_iteratorINS6_10device_ptrIsEEEENS6_16discard_iteratorINS6_11use_defaultEEEZNS1_13binary_searchIS3_S9_SE_SE_SH_NS1_21lower_bound_search_opENS7_16wrapped_functionINS0_4lessIvEEbEEEE10hipError_tPvRmT1_T2_T3_mmT4_T5_P12ihipStream_tbEUlRKsE_EESO_SS_ST_mSU_SX_bEUlT_E_NS1_11comp_targetILNS1_3genE0ELNS1_11target_archE4294967295ELNS1_3gpuE0ELNS1_3repE0EEENS1_30default_config_static_selectorELNS0_4arch9wavefront6targetE0EEEvSR_
		.amdhsa_group_segment_fixed_size 0
		.amdhsa_private_segment_fixed_size 0
		.amdhsa_kernarg_size 64
		.amdhsa_user_sgpr_count 15
		.amdhsa_user_sgpr_dispatch_ptr 0
		.amdhsa_user_sgpr_queue_ptr 0
		.amdhsa_user_sgpr_kernarg_segment_ptr 1
		.amdhsa_user_sgpr_dispatch_id 0
		.amdhsa_user_sgpr_private_segment_size 0
		.amdhsa_wavefront_size32 1
		.amdhsa_uses_dynamic_stack 0
		.amdhsa_enable_private_segment 0
		.amdhsa_system_sgpr_workgroup_id_x 1
		.amdhsa_system_sgpr_workgroup_id_y 0
		.amdhsa_system_sgpr_workgroup_id_z 0
		.amdhsa_system_sgpr_workgroup_info 0
		.amdhsa_system_vgpr_workitem_id 0
		.amdhsa_next_free_vgpr 1
		.amdhsa_next_free_sgpr 1
		.amdhsa_reserve_vcc 0
		.amdhsa_float_round_mode_32 0
		.amdhsa_float_round_mode_16_64 0
		.amdhsa_float_denorm_mode_32 3
		.amdhsa_float_denorm_mode_16_64 3
		.amdhsa_dx10_clamp 1
		.amdhsa_ieee_mode 1
		.amdhsa_fp16_overflow 0
		.amdhsa_workgroup_processor_mode 1
		.amdhsa_memory_ordered 1
		.amdhsa_forward_progress 0
		.amdhsa_shared_vgpr_count 0
		.amdhsa_exception_fp_ieee_invalid_op 0
		.amdhsa_exception_fp_denorm_src 0
		.amdhsa_exception_fp_ieee_div_zero 0
		.amdhsa_exception_fp_ieee_overflow 0
		.amdhsa_exception_fp_ieee_underflow 0
		.amdhsa_exception_fp_ieee_inexact 0
		.amdhsa_exception_int_div_zero 0
	.end_amdhsa_kernel
	.section	.text._ZN7rocprim17ROCPRIM_400000_NS6detail17trampoline_kernelINS0_14default_configENS1_27lower_bound_config_selectorIsN6thrust23THRUST_200600_302600_NS6detail10any_assignEEEZNS1_14transform_implILb0ES3_S9_NS7_15normal_iteratorINS6_10device_ptrIsEEEENS6_16discard_iteratorINS6_11use_defaultEEEZNS1_13binary_searchIS3_S9_SE_SE_SH_NS1_21lower_bound_search_opENS7_16wrapped_functionINS0_4lessIvEEbEEEE10hipError_tPvRmT1_T2_T3_mmT4_T5_P12ihipStream_tbEUlRKsE_EESO_SS_ST_mSU_SX_bEUlT_E_NS1_11comp_targetILNS1_3genE0ELNS1_11target_archE4294967295ELNS1_3gpuE0ELNS1_3repE0EEENS1_30default_config_static_selectorELNS0_4arch9wavefront6targetE0EEEvSR_,"axG",@progbits,_ZN7rocprim17ROCPRIM_400000_NS6detail17trampoline_kernelINS0_14default_configENS1_27lower_bound_config_selectorIsN6thrust23THRUST_200600_302600_NS6detail10any_assignEEEZNS1_14transform_implILb0ES3_S9_NS7_15normal_iteratorINS6_10device_ptrIsEEEENS6_16discard_iteratorINS6_11use_defaultEEEZNS1_13binary_searchIS3_S9_SE_SE_SH_NS1_21lower_bound_search_opENS7_16wrapped_functionINS0_4lessIvEEbEEEE10hipError_tPvRmT1_T2_T3_mmT4_T5_P12ihipStream_tbEUlRKsE_EESO_SS_ST_mSU_SX_bEUlT_E_NS1_11comp_targetILNS1_3genE0ELNS1_11target_archE4294967295ELNS1_3gpuE0ELNS1_3repE0EEENS1_30default_config_static_selectorELNS0_4arch9wavefront6targetE0EEEvSR_,comdat
.Lfunc_end564:
	.size	_ZN7rocprim17ROCPRIM_400000_NS6detail17trampoline_kernelINS0_14default_configENS1_27lower_bound_config_selectorIsN6thrust23THRUST_200600_302600_NS6detail10any_assignEEEZNS1_14transform_implILb0ES3_S9_NS7_15normal_iteratorINS6_10device_ptrIsEEEENS6_16discard_iteratorINS6_11use_defaultEEEZNS1_13binary_searchIS3_S9_SE_SE_SH_NS1_21lower_bound_search_opENS7_16wrapped_functionINS0_4lessIvEEbEEEE10hipError_tPvRmT1_T2_T3_mmT4_T5_P12ihipStream_tbEUlRKsE_EESO_SS_ST_mSU_SX_bEUlT_E_NS1_11comp_targetILNS1_3genE0ELNS1_11target_archE4294967295ELNS1_3gpuE0ELNS1_3repE0EEENS1_30default_config_static_selectorELNS0_4arch9wavefront6targetE0EEEvSR_, .Lfunc_end564-_ZN7rocprim17ROCPRIM_400000_NS6detail17trampoline_kernelINS0_14default_configENS1_27lower_bound_config_selectorIsN6thrust23THRUST_200600_302600_NS6detail10any_assignEEEZNS1_14transform_implILb0ES3_S9_NS7_15normal_iteratorINS6_10device_ptrIsEEEENS6_16discard_iteratorINS6_11use_defaultEEEZNS1_13binary_searchIS3_S9_SE_SE_SH_NS1_21lower_bound_search_opENS7_16wrapped_functionINS0_4lessIvEEbEEEE10hipError_tPvRmT1_T2_T3_mmT4_T5_P12ihipStream_tbEUlRKsE_EESO_SS_ST_mSU_SX_bEUlT_E_NS1_11comp_targetILNS1_3genE0ELNS1_11target_archE4294967295ELNS1_3gpuE0ELNS1_3repE0EEENS1_30default_config_static_selectorELNS0_4arch9wavefront6targetE0EEEvSR_
                                        ; -- End function
	.section	.AMDGPU.csdata,"",@progbits
; Kernel info:
; codeLenInByte = 0
; NumSgprs: 0
; NumVgprs: 0
; ScratchSize: 0
; MemoryBound: 0
; FloatMode: 240
; IeeeMode: 1
; LDSByteSize: 0 bytes/workgroup (compile time only)
; SGPRBlocks: 0
; VGPRBlocks: 0
; NumSGPRsForWavesPerEU: 1
; NumVGPRsForWavesPerEU: 1
; Occupancy: 16
; WaveLimiterHint : 0
; COMPUTE_PGM_RSRC2:SCRATCH_EN: 0
; COMPUTE_PGM_RSRC2:USER_SGPR: 15
; COMPUTE_PGM_RSRC2:TRAP_HANDLER: 0
; COMPUTE_PGM_RSRC2:TGID_X_EN: 1
; COMPUTE_PGM_RSRC2:TGID_Y_EN: 0
; COMPUTE_PGM_RSRC2:TGID_Z_EN: 0
; COMPUTE_PGM_RSRC2:TIDIG_COMP_CNT: 0
	.section	.text._ZN7rocprim17ROCPRIM_400000_NS6detail17trampoline_kernelINS0_14default_configENS1_27lower_bound_config_selectorIsN6thrust23THRUST_200600_302600_NS6detail10any_assignEEEZNS1_14transform_implILb0ES3_S9_NS7_15normal_iteratorINS6_10device_ptrIsEEEENS6_16discard_iteratorINS6_11use_defaultEEEZNS1_13binary_searchIS3_S9_SE_SE_SH_NS1_21lower_bound_search_opENS7_16wrapped_functionINS0_4lessIvEEbEEEE10hipError_tPvRmT1_T2_T3_mmT4_T5_P12ihipStream_tbEUlRKsE_EESO_SS_ST_mSU_SX_bEUlT_E_NS1_11comp_targetILNS1_3genE5ELNS1_11target_archE942ELNS1_3gpuE9ELNS1_3repE0EEENS1_30default_config_static_selectorELNS0_4arch9wavefront6targetE0EEEvSR_,"axG",@progbits,_ZN7rocprim17ROCPRIM_400000_NS6detail17trampoline_kernelINS0_14default_configENS1_27lower_bound_config_selectorIsN6thrust23THRUST_200600_302600_NS6detail10any_assignEEEZNS1_14transform_implILb0ES3_S9_NS7_15normal_iteratorINS6_10device_ptrIsEEEENS6_16discard_iteratorINS6_11use_defaultEEEZNS1_13binary_searchIS3_S9_SE_SE_SH_NS1_21lower_bound_search_opENS7_16wrapped_functionINS0_4lessIvEEbEEEE10hipError_tPvRmT1_T2_T3_mmT4_T5_P12ihipStream_tbEUlRKsE_EESO_SS_ST_mSU_SX_bEUlT_E_NS1_11comp_targetILNS1_3genE5ELNS1_11target_archE942ELNS1_3gpuE9ELNS1_3repE0EEENS1_30default_config_static_selectorELNS0_4arch9wavefront6targetE0EEEvSR_,comdat
	.protected	_ZN7rocprim17ROCPRIM_400000_NS6detail17trampoline_kernelINS0_14default_configENS1_27lower_bound_config_selectorIsN6thrust23THRUST_200600_302600_NS6detail10any_assignEEEZNS1_14transform_implILb0ES3_S9_NS7_15normal_iteratorINS6_10device_ptrIsEEEENS6_16discard_iteratorINS6_11use_defaultEEEZNS1_13binary_searchIS3_S9_SE_SE_SH_NS1_21lower_bound_search_opENS7_16wrapped_functionINS0_4lessIvEEbEEEE10hipError_tPvRmT1_T2_T3_mmT4_T5_P12ihipStream_tbEUlRKsE_EESO_SS_ST_mSU_SX_bEUlT_E_NS1_11comp_targetILNS1_3genE5ELNS1_11target_archE942ELNS1_3gpuE9ELNS1_3repE0EEENS1_30default_config_static_selectorELNS0_4arch9wavefront6targetE0EEEvSR_ ; -- Begin function _ZN7rocprim17ROCPRIM_400000_NS6detail17trampoline_kernelINS0_14default_configENS1_27lower_bound_config_selectorIsN6thrust23THRUST_200600_302600_NS6detail10any_assignEEEZNS1_14transform_implILb0ES3_S9_NS7_15normal_iteratorINS6_10device_ptrIsEEEENS6_16discard_iteratorINS6_11use_defaultEEEZNS1_13binary_searchIS3_S9_SE_SE_SH_NS1_21lower_bound_search_opENS7_16wrapped_functionINS0_4lessIvEEbEEEE10hipError_tPvRmT1_T2_T3_mmT4_T5_P12ihipStream_tbEUlRKsE_EESO_SS_ST_mSU_SX_bEUlT_E_NS1_11comp_targetILNS1_3genE5ELNS1_11target_archE942ELNS1_3gpuE9ELNS1_3repE0EEENS1_30default_config_static_selectorELNS0_4arch9wavefront6targetE0EEEvSR_
	.globl	_ZN7rocprim17ROCPRIM_400000_NS6detail17trampoline_kernelINS0_14default_configENS1_27lower_bound_config_selectorIsN6thrust23THRUST_200600_302600_NS6detail10any_assignEEEZNS1_14transform_implILb0ES3_S9_NS7_15normal_iteratorINS6_10device_ptrIsEEEENS6_16discard_iteratorINS6_11use_defaultEEEZNS1_13binary_searchIS3_S9_SE_SE_SH_NS1_21lower_bound_search_opENS7_16wrapped_functionINS0_4lessIvEEbEEEE10hipError_tPvRmT1_T2_T3_mmT4_T5_P12ihipStream_tbEUlRKsE_EESO_SS_ST_mSU_SX_bEUlT_E_NS1_11comp_targetILNS1_3genE5ELNS1_11target_archE942ELNS1_3gpuE9ELNS1_3repE0EEENS1_30default_config_static_selectorELNS0_4arch9wavefront6targetE0EEEvSR_
	.p2align	8
	.type	_ZN7rocprim17ROCPRIM_400000_NS6detail17trampoline_kernelINS0_14default_configENS1_27lower_bound_config_selectorIsN6thrust23THRUST_200600_302600_NS6detail10any_assignEEEZNS1_14transform_implILb0ES3_S9_NS7_15normal_iteratorINS6_10device_ptrIsEEEENS6_16discard_iteratorINS6_11use_defaultEEEZNS1_13binary_searchIS3_S9_SE_SE_SH_NS1_21lower_bound_search_opENS7_16wrapped_functionINS0_4lessIvEEbEEEE10hipError_tPvRmT1_T2_T3_mmT4_T5_P12ihipStream_tbEUlRKsE_EESO_SS_ST_mSU_SX_bEUlT_E_NS1_11comp_targetILNS1_3genE5ELNS1_11target_archE942ELNS1_3gpuE9ELNS1_3repE0EEENS1_30default_config_static_selectorELNS0_4arch9wavefront6targetE0EEEvSR_,@function
_ZN7rocprim17ROCPRIM_400000_NS6detail17trampoline_kernelINS0_14default_configENS1_27lower_bound_config_selectorIsN6thrust23THRUST_200600_302600_NS6detail10any_assignEEEZNS1_14transform_implILb0ES3_S9_NS7_15normal_iteratorINS6_10device_ptrIsEEEENS6_16discard_iteratorINS6_11use_defaultEEEZNS1_13binary_searchIS3_S9_SE_SE_SH_NS1_21lower_bound_search_opENS7_16wrapped_functionINS0_4lessIvEEbEEEE10hipError_tPvRmT1_T2_T3_mmT4_T5_P12ihipStream_tbEUlRKsE_EESO_SS_ST_mSU_SX_bEUlT_E_NS1_11comp_targetILNS1_3genE5ELNS1_11target_archE942ELNS1_3gpuE9ELNS1_3repE0EEENS1_30default_config_static_selectorELNS0_4arch9wavefront6targetE0EEEvSR_: ; @_ZN7rocprim17ROCPRIM_400000_NS6detail17trampoline_kernelINS0_14default_configENS1_27lower_bound_config_selectorIsN6thrust23THRUST_200600_302600_NS6detail10any_assignEEEZNS1_14transform_implILb0ES3_S9_NS7_15normal_iteratorINS6_10device_ptrIsEEEENS6_16discard_iteratorINS6_11use_defaultEEEZNS1_13binary_searchIS3_S9_SE_SE_SH_NS1_21lower_bound_search_opENS7_16wrapped_functionINS0_4lessIvEEbEEEE10hipError_tPvRmT1_T2_T3_mmT4_T5_P12ihipStream_tbEUlRKsE_EESO_SS_ST_mSU_SX_bEUlT_E_NS1_11comp_targetILNS1_3genE5ELNS1_11target_archE942ELNS1_3gpuE9ELNS1_3repE0EEENS1_30default_config_static_selectorELNS0_4arch9wavefront6targetE0EEEvSR_
; %bb.0:
	.section	.rodata,"a",@progbits
	.p2align	6, 0x0
	.amdhsa_kernel _ZN7rocprim17ROCPRIM_400000_NS6detail17trampoline_kernelINS0_14default_configENS1_27lower_bound_config_selectorIsN6thrust23THRUST_200600_302600_NS6detail10any_assignEEEZNS1_14transform_implILb0ES3_S9_NS7_15normal_iteratorINS6_10device_ptrIsEEEENS6_16discard_iteratorINS6_11use_defaultEEEZNS1_13binary_searchIS3_S9_SE_SE_SH_NS1_21lower_bound_search_opENS7_16wrapped_functionINS0_4lessIvEEbEEEE10hipError_tPvRmT1_T2_T3_mmT4_T5_P12ihipStream_tbEUlRKsE_EESO_SS_ST_mSU_SX_bEUlT_E_NS1_11comp_targetILNS1_3genE5ELNS1_11target_archE942ELNS1_3gpuE9ELNS1_3repE0EEENS1_30default_config_static_selectorELNS0_4arch9wavefront6targetE0EEEvSR_
		.amdhsa_group_segment_fixed_size 0
		.amdhsa_private_segment_fixed_size 0
		.amdhsa_kernarg_size 64
		.amdhsa_user_sgpr_count 15
		.amdhsa_user_sgpr_dispatch_ptr 0
		.amdhsa_user_sgpr_queue_ptr 0
		.amdhsa_user_sgpr_kernarg_segment_ptr 1
		.amdhsa_user_sgpr_dispatch_id 0
		.amdhsa_user_sgpr_private_segment_size 0
		.amdhsa_wavefront_size32 1
		.amdhsa_uses_dynamic_stack 0
		.amdhsa_enable_private_segment 0
		.amdhsa_system_sgpr_workgroup_id_x 1
		.amdhsa_system_sgpr_workgroup_id_y 0
		.amdhsa_system_sgpr_workgroup_id_z 0
		.amdhsa_system_sgpr_workgroup_info 0
		.amdhsa_system_vgpr_workitem_id 0
		.amdhsa_next_free_vgpr 1
		.amdhsa_next_free_sgpr 1
		.amdhsa_reserve_vcc 0
		.amdhsa_float_round_mode_32 0
		.amdhsa_float_round_mode_16_64 0
		.amdhsa_float_denorm_mode_32 3
		.amdhsa_float_denorm_mode_16_64 3
		.amdhsa_dx10_clamp 1
		.amdhsa_ieee_mode 1
		.amdhsa_fp16_overflow 0
		.amdhsa_workgroup_processor_mode 1
		.amdhsa_memory_ordered 1
		.amdhsa_forward_progress 0
		.amdhsa_shared_vgpr_count 0
		.amdhsa_exception_fp_ieee_invalid_op 0
		.amdhsa_exception_fp_denorm_src 0
		.amdhsa_exception_fp_ieee_div_zero 0
		.amdhsa_exception_fp_ieee_overflow 0
		.amdhsa_exception_fp_ieee_underflow 0
		.amdhsa_exception_fp_ieee_inexact 0
		.amdhsa_exception_int_div_zero 0
	.end_amdhsa_kernel
	.section	.text._ZN7rocprim17ROCPRIM_400000_NS6detail17trampoline_kernelINS0_14default_configENS1_27lower_bound_config_selectorIsN6thrust23THRUST_200600_302600_NS6detail10any_assignEEEZNS1_14transform_implILb0ES3_S9_NS7_15normal_iteratorINS6_10device_ptrIsEEEENS6_16discard_iteratorINS6_11use_defaultEEEZNS1_13binary_searchIS3_S9_SE_SE_SH_NS1_21lower_bound_search_opENS7_16wrapped_functionINS0_4lessIvEEbEEEE10hipError_tPvRmT1_T2_T3_mmT4_T5_P12ihipStream_tbEUlRKsE_EESO_SS_ST_mSU_SX_bEUlT_E_NS1_11comp_targetILNS1_3genE5ELNS1_11target_archE942ELNS1_3gpuE9ELNS1_3repE0EEENS1_30default_config_static_selectorELNS0_4arch9wavefront6targetE0EEEvSR_,"axG",@progbits,_ZN7rocprim17ROCPRIM_400000_NS6detail17trampoline_kernelINS0_14default_configENS1_27lower_bound_config_selectorIsN6thrust23THRUST_200600_302600_NS6detail10any_assignEEEZNS1_14transform_implILb0ES3_S9_NS7_15normal_iteratorINS6_10device_ptrIsEEEENS6_16discard_iteratorINS6_11use_defaultEEEZNS1_13binary_searchIS3_S9_SE_SE_SH_NS1_21lower_bound_search_opENS7_16wrapped_functionINS0_4lessIvEEbEEEE10hipError_tPvRmT1_T2_T3_mmT4_T5_P12ihipStream_tbEUlRKsE_EESO_SS_ST_mSU_SX_bEUlT_E_NS1_11comp_targetILNS1_3genE5ELNS1_11target_archE942ELNS1_3gpuE9ELNS1_3repE0EEENS1_30default_config_static_selectorELNS0_4arch9wavefront6targetE0EEEvSR_,comdat
.Lfunc_end565:
	.size	_ZN7rocprim17ROCPRIM_400000_NS6detail17trampoline_kernelINS0_14default_configENS1_27lower_bound_config_selectorIsN6thrust23THRUST_200600_302600_NS6detail10any_assignEEEZNS1_14transform_implILb0ES3_S9_NS7_15normal_iteratorINS6_10device_ptrIsEEEENS6_16discard_iteratorINS6_11use_defaultEEEZNS1_13binary_searchIS3_S9_SE_SE_SH_NS1_21lower_bound_search_opENS7_16wrapped_functionINS0_4lessIvEEbEEEE10hipError_tPvRmT1_T2_T3_mmT4_T5_P12ihipStream_tbEUlRKsE_EESO_SS_ST_mSU_SX_bEUlT_E_NS1_11comp_targetILNS1_3genE5ELNS1_11target_archE942ELNS1_3gpuE9ELNS1_3repE0EEENS1_30default_config_static_selectorELNS0_4arch9wavefront6targetE0EEEvSR_, .Lfunc_end565-_ZN7rocprim17ROCPRIM_400000_NS6detail17trampoline_kernelINS0_14default_configENS1_27lower_bound_config_selectorIsN6thrust23THRUST_200600_302600_NS6detail10any_assignEEEZNS1_14transform_implILb0ES3_S9_NS7_15normal_iteratorINS6_10device_ptrIsEEEENS6_16discard_iteratorINS6_11use_defaultEEEZNS1_13binary_searchIS3_S9_SE_SE_SH_NS1_21lower_bound_search_opENS7_16wrapped_functionINS0_4lessIvEEbEEEE10hipError_tPvRmT1_T2_T3_mmT4_T5_P12ihipStream_tbEUlRKsE_EESO_SS_ST_mSU_SX_bEUlT_E_NS1_11comp_targetILNS1_3genE5ELNS1_11target_archE942ELNS1_3gpuE9ELNS1_3repE0EEENS1_30default_config_static_selectorELNS0_4arch9wavefront6targetE0EEEvSR_
                                        ; -- End function
	.section	.AMDGPU.csdata,"",@progbits
; Kernel info:
; codeLenInByte = 0
; NumSgprs: 0
; NumVgprs: 0
; ScratchSize: 0
; MemoryBound: 0
; FloatMode: 240
; IeeeMode: 1
; LDSByteSize: 0 bytes/workgroup (compile time only)
; SGPRBlocks: 0
; VGPRBlocks: 0
; NumSGPRsForWavesPerEU: 1
; NumVGPRsForWavesPerEU: 1
; Occupancy: 16
; WaveLimiterHint : 0
; COMPUTE_PGM_RSRC2:SCRATCH_EN: 0
; COMPUTE_PGM_RSRC2:USER_SGPR: 15
; COMPUTE_PGM_RSRC2:TRAP_HANDLER: 0
; COMPUTE_PGM_RSRC2:TGID_X_EN: 1
; COMPUTE_PGM_RSRC2:TGID_Y_EN: 0
; COMPUTE_PGM_RSRC2:TGID_Z_EN: 0
; COMPUTE_PGM_RSRC2:TIDIG_COMP_CNT: 0
	.section	.text._ZN7rocprim17ROCPRIM_400000_NS6detail17trampoline_kernelINS0_14default_configENS1_27lower_bound_config_selectorIsN6thrust23THRUST_200600_302600_NS6detail10any_assignEEEZNS1_14transform_implILb0ES3_S9_NS7_15normal_iteratorINS6_10device_ptrIsEEEENS6_16discard_iteratorINS6_11use_defaultEEEZNS1_13binary_searchIS3_S9_SE_SE_SH_NS1_21lower_bound_search_opENS7_16wrapped_functionINS0_4lessIvEEbEEEE10hipError_tPvRmT1_T2_T3_mmT4_T5_P12ihipStream_tbEUlRKsE_EESO_SS_ST_mSU_SX_bEUlT_E_NS1_11comp_targetILNS1_3genE4ELNS1_11target_archE910ELNS1_3gpuE8ELNS1_3repE0EEENS1_30default_config_static_selectorELNS0_4arch9wavefront6targetE0EEEvSR_,"axG",@progbits,_ZN7rocprim17ROCPRIM_400000_NS6detail17trampoline_kernelINS0_14default_configENS1_27lower_bound_config_selectorIsN6thrust23THRUST_200600_302600_NS6detail10any_assignEEEZNS1_14transform_implILb0ES3_S9_NS7_15normal_iteratorINS6_10device_ptrIsEEEENS6_16discard_iteratorINS6_11use_defaultEEEZNS1_13binary_searchIS3_S9_SE_SE_SH_NS1_21lower_bound_search_opENS7_16wrapped_functionINS0_4lessIvEEbEEEE10hipError_tPvRmT1_T2_T3_mmT4_T5_P12ihipStream_tbEUlRKsE_EESO_SS_ST_mSU_SX_bEUlT_E_NS1_11comp_targetILNS1_3genE4ELNS1_11target_archE910ELNS1_3gpuE8ELNS1_3repE0EEENS1_30default_config_static_selectorELNS0_4arch9wavefront6targetE0EEEvSR_,comdat
	.protected	_ZN7rocprim17ROCPRIM_400000_NS6detail17trampoline_kernelINS0_14default_configENS1_27lower_bound_config_selectorIsN6thrust23THRUST_200600_302600_NS6detail10any_assignEEEZNS1_14transform_implILb0ES3_S9_NS7_15normal_iteratorINS6_10device_ptrIsEEEENS6_16discard_iteratorINS6_11use_defaultEEEZNS1_13binary_searchIS3_S9_SE_SE_SH_NS1_21lower_bound_search_opENS7_16wrapped_functionINS0_4lessIvEEbEEEE10hipError_tPvRmT1_T2_T3_mmT4_T5_P12ihipStream_tbEUlRKsE_EESO_SS_ST_mSU_SX_bEUlT_E_NS1_11comp_targetILNS1_3genE4ELNS1_11target_archE910ELNS1_3gpuE8ELNS1_3repE0EEENS1_30default_config_static_selectorELNS0_4arch9wavefront6targetE0EEEvSR_ ; -- Begin function _ZN7rocprim17ROCPRIM_400000_NS6detail17trampoline_kernelINS0_14default_configENS1_27lower_bound_config_selectorIsN6thrust23THRUST_200600_302600_NS6detail10any_assignEEEZNS1_14transform_implILb0ES3_S9_NS7_15normal_iteratorINS6_10device_ptrIsEEEENS6_16discard_iteratorINS6_11use_defaultEEEZNS1_13binary_searchIS3_S9_SE_SE_SH_NS1_21lower_bound_search_opENS7_16wrapped_functionINS0_4lessIvEEbEEEE10hipError_tPvRmT1_T2_T3_mmT4_T5_P12ihipStream_tbEUlRKsE_EESO_SS_ST_mSU_SX_bEUlT_E_NS1_11comp_targetILNS1_3genE4ELNS1_11target_archE910ELNS1_3gpuE8ELNS1_3repE0EEENS1_30default_config_static_selectorELNS0_4arch9wavefront6targetE0EEEvSR_
	.globl	_ZN7rocprim17ROCPRIM_400000_NS6detail17trampoline_kernelINS0_14default_configENS1_27lower_bound_config_selectorIsN6thrust23THRUST_200600_302600_NS6detail10any_assignEEEZNS1_14transform_implILb0ES3_S9_NS7_15normal_iteratorINS6_10device_ptrIsEEEENS6_16discard_iteratorINS6_11use_defaultEEEZNS1_13binary_searchIS3_S9_SE_SE_SH_NS1_21lower_bound_search_opENS7_16wrapped_functionINS0_4lessIvEEbEEEE10hipError_tPvRmT1_T2_T3_mmT4_T5_P12ihipStream_tbEUlRKsE_EESO_SS_ST_mSU_SX_bEUlT_E_NS1_11comp_targetILNS1_3genE4ELNS1_11target_archE910ELNS1_3gpuE8ELNS1_3repE0EEENS1_30default_config_static_selectorELNS0_4arch9wavefront6targetE0EEEvSR_
	.p2align	8
	.type	_ZN7rocprim17ROCPRIM_400000_NS6detail17trampoline_kernelINS0_14default_configENS1_27lower_bound_config_selectorIsN6thrust23THRUST_200600_302600_NS6detail10any_assignEEEZNS1_14transform_implILb0ES3_S9_NS7_15normal_iteratorINS6_10device_ptrIsEEEENS6_16discard_iteratorINS6_11use_defaultEEEZNS1_13binary_searchIS3_S9_SE_SE_SH_NS1_21lower_bound_search_opENS7_16wrapped_functionINS0_4lessIvEEbEEEE10hipError_tPvRmT1_T2_T3_mmT4_T5_P12ihipStream_tbEUlRKsE_EESO_SS_ST_mSU_SX_bEUlT_E_NS1_11comp_targetILNS1_3genE4ELNS1_11target_archE910ELNS1_3gpuE8ELNS1_3repE0EEENS1_30default_config_static_selectorELNS0_4arch9wavefront6targetE0EEEvSR_,@function
_ZN7rocprim17ROCPRIM_400000_NS6detail17trampoline_kernelINS0_14default_configENS1_27lower_bound_config_selectorIsN6thrust23THRUST_200600_302600_NS6detail10any_assignEEEZNS1_14transform_implILb0ES3_S9_NS7_15normal_iteratorINS6_10device_ptrIsEEEENS6_16discard_iteratorINS6_11use_defaultEEEZNS1_13binary_searchIS3_S9_SE_SE_SH_NS1_21lower_bound_search_opENS7_16wrapped_functionINS0_4lessIvEEbEEEE10hipError_tPvRmT1_T2_T3_mmT4_T5_P12ihipStream_tbEUlRKsE_EESO_SS_ST_mSU_SX_bEUlT_E_NS1_11comp_targetILNS1_3genE4ELNS1_11target_archE910ELNS1_3gpuE8ELNS1_3repE0EEENS1_30default_config_static_selectorELNS0_4arch9wavefront6targetE0EEEvSR_: ; @_ZN7rocprim17ROCPRIM_400000_NS6detail17trampoline_kernelINS0_14default_configENS1_27lower_bound_config_selectorIsN6thrust23THRUST_200600_302600_NS6detail10any_assignEEEZNS1_14transform_implILb0ES3_S9_NS7_15normal_iteratorINS6_10device_ptrIsEEEENS6_16discard_iteratorINS6_11use_defaultEEEZNS1_13binary_searchIS3_S9_SE_SE_SH_NS1_21lower_bound_search_opENS7_16wrapped_functionINS0_4lessIvEEbEEEE10hipError_tPvRmT1_T2_T3_mmT4_T5_P12ihipStream_tbEUlRKsE_EESO_SS_ST_mSU_SX_bEUlT_E_NS1_11comp_targetILNS1_3genE4ELNS1_11target_archE910ELNS1_3gpuE8ELNS1_3repE0EEENS1_30default_config_static_selectorELNS0_4arch9wavefront6targetE0EEEvSR_
; %bb.0:
	.section	.rodata,"a",@progbits
	.p2align	6, 0x0
	.amdhsa_kernel _ZN7rocprim17ROCPRIM_400000_NS6detail17trampoline_kernelINS0_14default_configENS1_27lower_bound_config_selectorIsN6thrust23THRUST_200600_302600_NS6detail10any_assignEEEZNS1_14transform_implILb0ES3_S9_NS7_15normal_iteratorINS6_10device_ptrIsEEEENS6_16discard_iteratorINS6_11use_defaultEEEZNS1_13binary_searchIS3_S9_SE_SE_SH_NS1_21lower_bound_search_opENS7_16wrapped_functionINS0_4lessIvEEbEEEE10hipError_tPvRmT1_T2_T3_mmT4_T5_P12ihipStream_tbEUlRKsE_EESO_SS_ST_mSU_SX_bEUlT_E_NS1_11comp_targetILNS1_3genE4ELNS1_11target_archE910ELNS1_3gpuE8ELNS1_3repE0EEENS1_30default_config_static_selectorELNS0_4arch9wavefront6targetE0EEEvSR_
		.amdhsa_group_segment_fixed_size 0
		.amdhsa_private_segment_fixed_size 0
		.amdhsa_kernarg_size 64
		.amdhsa_user_sgpr_count 15
		.amdhsa_user_sgpr_dispatch_ptr 0
		.amdhsa_user_sgpr_queue_ptr 0
		.amdhsa_user_sgpr_kernarg_segment_ptr 1
		.amdhsa_user_sgpr_dispatch_id 0
		.amdhsa_user_sgpr_private_segment_size 0
		.amdhsa_wavefront_size32 1
		.amdhsa_uses_dynamic_stack 0
		.amdhsa_enable_private_segment 0
		.amdhsa_system_sgpr_workgroup_id_x 1
		.amdhsa_system_sgpr_workgroup_id_y 0
		.amdhsa_system_sgpr_workgroup_id_z 0
		.amdhsa_system_sgpr_workgroup_info 0
		.amdhsa_system_vgpr_workitem_id 0
		.amdhsa_next_free_vgpr 1
		.amdhsa_next_free_sgpr 1
		.amdhsa_reserve_vcc 0
		.amdhsa_float_round_mode_32 0
		.amdhsa_float_round_mode_16_64 0
		.amdhsa_float_denorm_mode_32 3
		.amdhsa_float_denorm_mode_16_64 3
		.amdhsa_dx10_clamp 1
		.amdhsa_ieee_mode 1
		.amdhsa_fp16_overflow 0
		.amdhsa_workgroup_processor_mode 1
		.amdhsa_memory_ordered 1
		.amdhsa_forward_progress 0
		.amdhsa_shared_vgpr_count 0
		.amdhsa_exception_fp_ieee_invalid_op 0
		.amdhsa_exception_fp_denorm_src 0
		.amdhsa_exception_fp_ieee_div_zero 0
		.amdhsa_exception_fp_ieee_overflow 0
		.amdhsa_exception_fp_ieee_underflow 0
		.amdhsa_exception_fp_ieee_inexact 0
		.amdhsa_exception_int_div_zero 0
	.end_amdhsa_kernel
	.section	.text._ZN7rocprim17ROCPRIM_400000_NS6detail17trampoline_kernelINS0_14default_configENS1_27lower_bound_config_selectorIsN6thrust23THRUST_200600_302600_NS6detail10any_assignEEEZNS1_14transform_implILb0ES3_S9_NS7_15normal_iteratorINS6_10device_ptrIsEEEENS6_16discard_iteratorINS6_11use_defaultEEEZNS1_13binary_searchIS3_S9_SE_SE_SH_NS1_21lower_bound_search_opENS7_16wrapped_functionINS0_4lessIvEEbEEEE10hipError_tPvRmT1_T2_T3_mmT4_T5_P12ihipStream_tbEUlRKsE_EESO_SS_ST_mSU_SX_bEUlT_E_NS1_11comp_targetILNS1_3genE4ELNS1_11target_archE910ELNS1_3gpuE8ELNS1_3repE0EEENS1_30default_config_static_selectorELNS0_4arch9wavefront6targetE0EEEvSR_,"axG",@progbits,_ZN7rocprim17ROCPRIM_400000_NS6detail17trampoline_kernelINS0_14default_configENS1_27lower_bound_config_selectorIsN6thrust23THRUST_200600_302600_NS6detail10any_assignEEEZNS1_14transform_implILb0ES3_S9_NS7_15normal_iteratorINS6_10device_ptrIsEEEENS6_16discard_iteratorINS6_11use_defaultEEEZNS1_13binary_searchIS3_S9_SE_SE_SH_NS1_21lower_bound_search_opENS7_16wrapped_functionINS0_4lessIvEEbEEEE10hipError_tPvRmT1_T2_T3_mmT4_T5_P12ihipStream_tbEUlRKsE_EESO_SS_ST_mSU_SX_bEUlT_E_NS1_11comp_targetILNS1_3genE4ELNS1_11target_archE910ELNS1_3gpuE8ELNS1_3repE0EEENS1_30default_config_static_selectorELNS0_4arch9wavefront6targetE0EEEvSR_,comdat
.Lfunc_end566:
	.size	_ZN7rocprim17ROCPRIM_400000_NS6detail17trampoline_kernelINS0_14default_configENS1_27lower_bound_config_selectorIsN6thrust23THRUST_200600_302600_NS6detail10any_assignEEEZNS1_14transform_implILb0ES3_S9_NS7_15normal_iteratorINS6_10device_ptrIsEEEENS6_16discard_iteratorINS6_11use_defaultEEEZNS1_13binary_searchIS3_S9_SE_SE_SH_NS1_21lower_bound_search_opENS7_16wrapped_functionINS0_4lessIvEEbEEEE10hipError_tPvRmT1_T2_T3_mmT4_T5_P12ihipStream_tbEUlRKsE_EESO_SS_ST_mSU_SX_bEUlT_E_NS1_11comp_targetILNS1_3genE4ELNS1_11target_archE910ELNS1_3gpuE8ELNS1_3repE0EEENS1_30default_config_static_selectorELNS0_4arch9wavefront6targetE0EEEvSR_, .Lfunc_end566-_ZN7rocprim17ROCPRIM_400000_NS6detail17trampoline_kernelINS0_14default_configENS1_27lower_bound_config_selectorIsN6thrust23THRUST_200600_302600_NS6detail10any_assignEEEZNS1_14transform_implILb0ES3_S9_NS7_15normal_iteratorINS6_10device_ptrIsEEEENS6_16discard_iteratorINS6_11use_defaultEEEZNS1_13binary_searchIS3_S9_SE_SE_SH_NS1_21lower_bound_search_opENS7_16wrapped_functionINS0_4lessIvEEbEEEE10hipError_tPvRmT1_T2_T3_mmT4_T5_P12ihipStream_tbEUlRKsE_EESO_SS_ST_mSU_SX_bEUlT_E_NS1_11comp_targetILNS1_3genE4ELNS1_11target_archE910ELNS1_3gpuE8ELNS1_3repE0EEENS1_30default_config_static_selectorELNS0_4arch9wavefront6targetE0EEEvSR_
                                        ; -- End function
	.section	.AMDGPU.csdata,"",@progbits
; Kernel info:
; codeLenInByte = 0
; NumSgprs: 0
; NumVgprs: 0
; ScratchSize: 0
; MemoryBound: 0
; FloatMode: 240
; IeeeMode: 1
; LDSByteSize: 0 bytes/workgroup (compile time only)
; SGPRBlocks: 0
; VGPRBlocks: 0
; NumSGPRsForWavesPerEU: 1
; NumVGPRsForWavesPerEU: 1
; Occupancy: 16
; WaveLimiterHint : 0
; COMPUTE_PGM_RSRC2:SCRATCH_EN: 0
; COMPUTE_PGM_RSRC2:USER_SGPR: 15
; COMPUTE_PGM_RSRC2:TRAP_HANDLER: 0
; COMPUTE_PGM_RSRC2:TGID_X_EN: 1
; COMPUTE_PGM_RSRC2:TGID_Y_EN: 0
; COMPUTE_PGM_RSRC2:TGID_Z_EN: 0
; COMPUTE_PGM_RSRC2:TIDIG_COMP_CNT: 0
	.section	.text._ZN7rocprim17ROCPRIM_400000_NS6detail17trampoline_kernelINS0_14default_configENS1_27lower_bound_config_selectorIsN6thrust23THRUST_200600_302600_NS6detail10any_assignEEEZNS1_14transform_implILb0ES3_S9_NS7_15normal_iteratorINS6_10device_ptrIsEEEENS6_16discard_iteratorINS6_11use_defaultEEEZNS1_13binary_searchIS3_S9_SE_SE_SH_NS1_21lower_bound_search_opENS7_16wrapped_functionINS0_4lessIvEEbEEEE10hipError_tPvRmT1_T2_T3_mmT4_T5_P12ihipStream_tbEUlRKsE_EESO_SS_ST_mSU_SX_bEUlT_E_NS1_11comp_targetILNS1_3genE3ELNS1_11target_archE908ELNS1_3gpuE7ELNS1_3repE0EEENS1_30default_config_static_selectorELNS0_4arch9wavefront6targetE0EEEvSR_,"axG",@progbits,_ZN7rocprim17ROCPRIM_400000_NS6detail17trampoline_kernelINS0_14default_configENS1_27lower_bound_config_selectorIsN6thrust23THRUST_200600_302600_NS6detail10any_assignEEEZNS1_14transform_implILb0ES3_S9_NS7_15normal_iteratorINS6_10device_ptrIsEEEENS6_16discard_iteratorINS6_11use_defaultEEEZNS1_13binary_searchIS3_S9_SE_SE_SH_NS1_21lower_bound_search_opENS7_16wrapped_functionINS0_4lessIvEEbEEEE10hipError_tPvRmT1_T2_T3_mmT4_T5_P12ihipStream_tbEUlRKsE_EESO_SS_ST_mSU_SX_bEUlT_E_NS1_11comp_targetILNS1_3genE3ELNS1_11target_archE908ELNS1_3gpuE7ELNS1_3repE0EEENS1_30default_config_static_selectorELNS0_4arch9wavefront6targetE0EEEvSR_,comdat
	.protected	_ZN7rocprim17ROCPRIM_400000_NS6detail17trampoline_kernelINS0_14default_configENS1_27lower_bound_config_selectorIsN6thrust23THRUST_200600_302600_NS6detail10any_assignEEEZNS1_14transform_implILb0ES3_S9_NS7_15normal_iteratorINS6_10device_ptrIsEEEENS6_16discard_iteratorINS6_11use_defaultEEEZNS1_13binary_searchIS3_S9_SE_SE_SH_NS1_21lower_bound_search_opENS7_16wrapped_functionINS0_4lessIvEEbEEEE10hipError_tPvRmT1_T2_T3_mmT4_T5_P12ihipStream_tbEUlRKsE_EESO_SS_ST_mSU_SX_bEUlT_E_NS1_11comp_targetILNS1_3genE3ELNS1_11target_archE908ELNS1_3gpuE7ELNS1_3repE0EEENS1_30default_config_static_selectorELNS0_4arch9wavefront6targetE0EEEvSR_ ; -- Begin function _ZN7rocprim17ROCPRIM_400000_NS6detail17trampoline_kernelINS0_14default_configENS1_27lower_bound_config_selectorIsN6thrust23THRUST_200600_302600_NS6detail10any_assignEEEZNS1_14transform_implILb0ES3_S9_NS7_15normal_iteratorINS6_10device_ptrIsEEEENS6_16discard_iteratorINS6_11use_defaultEEEZNS1_13binary_searchIS3_S9_SE_SE_SH_NS1_21lower_bound_search_opENS7_16wrapped_functionINS0_4lessIvEEbEEEE10hipError_tPvRmT1_T2_T3_mmT4_T5_P12ihipStream_tbEUlRKsE_EESO_SS_ST_mSU_SX_bEUlT_E_NS1_11comp_targetILNS1_3genE3ELNS1_11target_archE908ELNS1_3gpuE7ELNS1_3repE0EEENS1_30default_config_static_selectorELNS0_4arch9wavefront6targetE0EEEvSR_
	.globl	_ZN7rocprim17ROCPRIM_400000_NS6detail17trampoline_kernelINS0_14default_configENS1_27lower_bound_config_selectorIsN6thrust23THRUST_200600_302600_NS6detail10any_assignEEEZNS1_14transform_implILb0ES3_S9_NS7_15normal_iteratorINS6_10device_ptrIsEEEENS6_16discard_iteratorINS6_11use_defaultEEEZNS1_13binary_searchIS3_S9_SE_SE_SH_NS1_21lower_bound_search_opENS7_16wrapped_functionINS0_4lessIvEEbEEEE10hipError_tPvRmT1_T2_T3_mmT4_T5_P12ihipStream_tbEUlRKsE_EESO_SS_ST_mSU_SX_bEUlT_E_NS1_11comp_targetILNS1_3genE3ELNS1_11target_archE908ELNS1_3gpuE7ELNS1_3repE0EEENS1_30default_config_static_selectorELNS0_4arch9wavefront6targetE0EEEvSR_
	.p2align	8
	.type	_ZN7rocprim17ROCPRIM_400000_NS6detail17trampoline_kernelINS0_14default_configENS1_27lower_bound_config_selectorIsN6thrust23THRUST_200600_302600_NS6detail10any_assignEEEZNS1_14transform_implILb0ES3_S9_NS7_15normal_iteratorINS6_10device_ptrIsEEEENS6_16discard_iteratorINS6_11use_defaultEEEZNS1_13binary_searchIS3_S9_SE_SE_SH_NS1_21lower_bound_search_opENS7_16wrapped_functionINS0_4lessIvEEbEEEE10hipError_tPvRmT1_T2_T3_mmT4_T5_P12ihipStream_tbEUlRKsE_EESO_SS_ST_mSU_SX_bEUlT_E_NS1_11comp_targetILNS1_3genE3ELNS1_11target_archE908ELNS1_3gpuE7ELNS1_3repE0EEENS1_30default_config_static_selectorELNS0_4arch9wavefront6targetE0EEEvSR_,@function
_ZN7rocprim17ROCPRIM_400000_NS6detail17trampoline_kernelINS0_14default_configENS1_27lower_bound_config_selectorIsN6thrust23THRUST_200600_302600_NS6detail10any_assignEEEZNS1_14transform_implILb0ES3_S9_NS7_15normal_iteratorINS6_10device_ptrIsEEEENS6_16discard_iteratorINS6_11use_defaultEEEZNS1_13binary_searchIS3_S9_SE_SE_SH_NS1_21lower_bound_search_opENS7_16wrapped_functionINS0_4lessIvEEbEEEE10hipError_tPvRmT1_T2_T3_mmT4_T5_P12ihipStream_tbEUlRKsE_EESO_SS_ST_mSU_SX_bEUlT_E_NS1_11comp_targetILNS1_3genE3ELNS1_11target_archE908ELNS1_3gpuE7ELNS1_3repE0EEENS1_30default_config_static_selectorELNS0_4arch9wavefront6targetE0EEEvSR_: ; @_ZN7rocprim17ROCPRIM_400000_NS6detail17trampoline_kernelINS0_14default_configENS1_27lower_bound_config_selectorIsN6thrust23THRUST_200600_302600_NS6detail10any_assignEEEZNS1_14transform_implILb0ES3_S9_NS7_15normal_iteratorINS6_10device_ptrIsEEEENS6_16discard_iteratorINS6_11use_defaultEEEZNS1_13binary_searchIS3_S9_SE_SE_SH_NS1_21lower_bound_search_opENS7_16wrapped_functionINS0_4lessIvEEbEEEE10hipError_tPvRmT1_T2_T3_mmT4_T5_P12ihipStream_tbEUlRKsE_EESO_SS_ST_mSU_SX_bEUlT_E_NS1_11comp_targetILNS1_3genE3ELNS1_11target_archE908ELNS1_3gpuE7ELNS1_3repE0EEENS1_30default_config_static_selectorELNS0_4arch9wavefront6targetE0EEEvSR_
; %bb.0:
	.section	.rodata,"a",@progbits
	.p2align	6, 0x0
	.amdhsa_kernel _ZN7rocprim17ROCPRIM_400000_NS6detail17trampoline_kernelINS0_14default_configENS1_27lower_bound_config_selectorIsN6thrust23THRUST_200600_302600_NS6detail10any_assignEEEZNS1_14transform_implILb0ES3_S9_NS7_15normal_iteratorINS6_10device_ptrIsEEEENS6_16discard_iteratorINS6_11use_defaultEEEZNS1_13binary_searchIS3_S9_SE_SE_SH_NS1_21lower_bound_search_opENS7_16wrapped_functionINS0_4lessIvEEbEEEE10hipError_tPvRmT1_T2_T3_mmT4_T5_P12ihipStream_tbEUlRKsE_EESO_SS_ST_mSU_SX_bEUlT_E_NS1_11comp_targetILNS1_3genE3ELNS1_11target_archE908ELNS1_3gpuE7ELNS1_3repE0EEENS1_30default_config_static_selectorELNS0_4arch9wavefront6targetE0EEEvSR_
		.amdhsa_group_segment_fixed_size 0
		.amdhsa_private_segment_fixed_size 0
		.amdhsa_kernarg_size 64
		.amdhsa_user_sgpr_count 15
		.amdhsa_user_sgpr_dispatch_ptr 0
		.amdhsa_user_sgpr_queue_ptr 0
		.amdhsa_user_sgpr_kernarg_segment_ptr 1
		.amdhsa_user_sgpr_dispatch_id 0
		.amdhsa_user_sgpr_private_segment_size 0
		.amdhsa_wavefront_size32 1
		.amdhsa_uses_dynamic_stack 0
		.amdhsa_enable_private_segment 0
		.amdhsa_system_sgpr_workgroup_id_x 1
		.amdhsa_system_sgpr_workgroup_id_y 0
		.amdhsa_system_sgpr_workgroup_id_z 0
		.amdhsa_system_sgpr_workgroup_info 0
		.amdhsa_system_vgpr_workitem_id 0
		.amdhsa_next_free_vgpr 1
		.amdhsa_next_free_sgpr 1
		.amdhsa_reserve_vcc 0
		.amdhsa_float_round_mode_32 0
		.amdhsa_float_round_mode_16_64 0
		.amdhsa_float_denorm_mode_32 3
		.amdhsa_float_denorm_mode_16_64 3
		.amdhsa_dx10_clamp 1
		.amdhsa_ieee_mode 1
		.amdhsa_fp16_overflow 0
		.amdhsa_workgroup_processor_mode 1
		.amdhsa_memory_ordered 1
		.amdhsa_forward_progress 0
		.amdhsa_shared_vgpr_count 0
		.amdhsa_exception_fp_ieee_invalid_op 0
		.amdhsa_exception_fp_denorm_src 0
		.amdhsa_exception_fp_ieee_div_zero 0
		.amdhsa_exception_fp_ieee_overflow 0
		.amdhsa_exception_fp_ieee_underflow 0
		.amdhsa_exception_fp_ieee_inexact 0
		.amdhsa_exception_int_div_zero 0
	.end_amdhsa_kernel
	.section	.text._ZN7rocprim17ROCPRIM_400000_NS6detail17trampoline_kernelINS0_14default_configENS1_27lower_bound_config_selectorIsN6thrust23THRUST_200600_302600_NS6detail10any_assignEEEZNS1_14transform_implILb0ES3_S9_NS7_15normal_iteratorINS6_10device_ptrIsEEEENS6_16discard_iteratorINS6_11use_defaultEEEZNS1_13binary_searchIS3_S9_SE_SE_SH_NS1_21lower_bound_search_opENS7_16wrapped_functionINS0_4lessIvEEbEEEE10hipError_tPvRmT1_T2_T3_mmT4_T5_P12ihipStream_tbEUlRKsE_EESO_SS_ST_mSU_SX_bEUlT_E_NS1_11comp_targetILNS1_3genE3ELNS1_11target_archE908ELNS1_3gpuE7ELNS1_3repE0EEENS1_30default_config_static_selectorELNS0_4arch9wavefront6targetE0EEEvSR_,"axG",@progbits,_ZN7rocprim17ROCPRIM_400000_NS6detail17trampoline_kernelINS0_14default_configENS1_27lower_bound_config_selectorIsN6thrust23THRUST_200600_302600_NS6detail10any_assignEEEZNS1_14transform_implILb0ES3_S9_NS7_15normal_iteratorINS6_10device_ptrIsEEEENS6_16discard_iteratorINS6_11use_defaultEEEZNS1_13binary_searchIS3_S9_SE_SE_SH_NS1_21lower_bound_search_opENS7_16wrapped_functionINS0_4lessIvEEbEEEE10hipError_tPvRmT1_T2_T3_mmT4_T5_P12ihipStream_tbEUlRKsE_EESO_SS_ST_mSU_SX_bEUlT_E_NS1_11comp_targetILNS1_3genE3ELNS1_11target_archE908ELNS1_3gpuE7ELNS1_3repE0EEENS1_30default_config_static_selectorELNS0_4arch9wavefront6targetE0EEEvSR_,comdat
.Lfunc_end567:
	.size	_ZN7rocprim17ROCPRIM_400000_NS6detail17trampoline_kernelINS0_14default_configENS1_27lower_bound_config_selectorIsN6thrust23THRUST_200600_302600_NS6detail10any_assignEEEZNS1_14transform_implILb0ES3_S9_NS7_15normal_iteratorINS6_10device_ptrIsEEEENS6_16discard_iteratorINS6_11use_defaultEEEZNS1_13binary_searchIS3_S9_SE_SE_SH_NS1_21lower_bound_search_opENS7_16wrapped_functionINS0_4lessIvEEbEEEE10hipError_tPvRmT1_T2_T3_mmT4_T5_P12ihipStream_tbEUlRKsE_EESO_SS_ST_mSU_SX_bEUlT_E_NS1_11comp_targetILNS1_3genE3ELNS1_11target_archE908ELNS1_3gpuE7ELNS1_3repE0EEENS1_30default_config_static_selectorELNS0_4arch9wavefront6targetE0EEEvSR_, .Lfunc_end567-_ZN7rocprim17ROCPRIM_400000_NS6detail17trampoline_kernelINS0_14default_configENS1_27lower_bound_config_selectorIsN6thrust23THRUST_200600_302600_NS6detail10any_assignEEEZNS1_14transform_implILb0ES3_S9_NS7_15normal_iteratorINS6_10device_ptrIsEEEENS6_16discard_iteratorINS6_11use_defaultEEEZNS1_13binary_searchIS3_S9_SE_SE_SH_NS1_21lower_bound_search_opENS7_16wrapped_functionINS0_4lessIvEEbEEEE10hipError_tPvRmT1_T2_T3_mmT4_T5_P12ihipStream_tbEUlRKsE_EESO_SS_ST_mSU_SX_bEUlT_E_NS1_11comp_targetILNS1_3genE3ELNS1_11target_archE908ELNS1_3gpuE7ELNS1_3repE0EEENS1_30default_config_static_selectorELNS0_4arch9wavefront6targetE0EEEvSR_
                                        ; -- End function
	.section	.AMDGPU.csdata,"",@progbits
; Kernel info:
; codeLenInByte = 0
; NumSgprs: 0
; NumVgprs: 0
; ScratchSize: 0
; MemoryBound: 0
; FloatMode: 240
; IeeeMode: 1
; LDSByteSize: 0 bytes/workgroup (compile time only)
; SGPRBlocks: 0
; VGPRBlocks: 0
; NumSGPRsForWavesPerEU: 1
; NumVGPRsForWavesPerEU: 1
; Occupancy: 16
; WaveLimiterHint : 0
; COMPUTE_PGM_RSRC2:SCRATCH_EN: 0
; COMPUTE_PGM_RSRC2:USER_SGPR: 15
; COMPUTE_PGM_RSRC2:TRAP_HANDLER: 0
; COMPUTE_PGM_RSRC2:TGID_X_EN: 1
; COMPUTE_PGM_RSRC2:TGID_Y_EN: 0
; COMPUTE_PGM_RSRC2:TGID_Z_EN: 0
; COMPUTE_PGM_RSRC2:TIDIG_COMP_CNT: 0
	.section	.text._ZN7rocprim17ROCPRIM_400000_NS6detail17trampoline_kernelINS0_14default_configENS1_27lower_bound_config_selectorIsN6thrust23THRUST_200600_302600_NS6detail10any_assignEEEZNS1_14transform_implILb0ES3_S9_NS7_15normal_iteratorINS6_10device_ptrIsEEEENS6_16discard_iteratorINS6_11use_defaultEEEZNS1_13binary_searchIS3_S9_SE_SE_SH_NS1_21lower_bound_search_opENS7_16wrapped_functionINS0_4lessIvEEbEEEE10hipError_tPvRmT1_T2_T3_mmT4_T5_P12ihipStream_tbEUlRKsE_EESO_SS_ST_mSU_SX_bEUlT_E_NS1_11comp_targetILNS1_3genE2ELNS1_11target_archE906ELNS1_3gpuE6ELNS1_3repE0EEENS1_30default_config_static_selectorELNS0_4arch9wavefront6targetE0EEEvSR_,"axG",@progbits,_ZN7rocprim17ROCPRIM_400000_NS6detail17trampoline_kernelINS0_14default_configENS1_27lower_bound_config_selectorIsN6thrust23THRUST_200600_302600_NS6detail10any_assignEEEZNS1_14transform_implILb0ES3_S9_NS7_15normal_iteratorINS6_10device_ptrIsEEEENS6_16discard_iteratorINS6_11use_defaultEEEZNS1_13binary_searchIS3_S9_SE_SE_SH_NS1_21lower_bound_search_opENS7_16wrapped_functionINS0_4lessIvEEbEEEE10hipError_tPvRmT1_T2_T3_mmT4_T5_P12ihipStream_tbEUlRKsE_EESO_SS_ST_mSU_SX_bEUlT_E_NS1_11comp_targetILNS1_3genE2ELNS1_11target_archE906ELNS1_3gpuE6ELNS1_3repE0EEENS1_30default_config_static_selectorELNS0_4arch9wavefront6targetE0EEEvSR_,comdat
	.protected	_ZN7rocprim17ROCPRIM_400000_NS6detail17trampoline_kernelINS0_14default_configENS1_27lower_bound_config_selectorIsN6thrust23THRUST_200600_302600_NS6detail10any_assignEEEZNS1_14transform_implILb0ES3_S9_NS7_15normal_iteratorINS6_10device_ptrIsEEEENS6_16discard_iteratorINS6_11use_defaultEEEZNS1_13binary_searchIS3_S9_SE_SE_SH_NS1_21lower_bound_search_opENS7_16wrapped_functionINS0_4lessIvEEbEEEE10hipError_tPvRmT1_T2_T3_mmT4_T5_P12ihipStream_tbEUlRKsE_EESO_SS_ST_mSU_SX_bEUlT_E_NS1_11comp_targetILNS1_3genE2ELNS1_11target_archE906ELNS1_3gpuE6ELNS1_3repE0EEENS1_30default_config_static_selectorELNS0_4arch9wavefront6targetE0EEEvSR_ ; -- Begin function _ZN7rocprim17ROCPRIM_400000_NS6detail17trampoline_kernelINS0_14default_configENS1_27lower_bound_config_selectorIsN6thrust23THRUST_200600_302600_NS6detail10any_assignEEEZNS1_14transform_implILb0ES3_S9_NS7_15normal_iteratorINS6_10device_ptrIsEEEENS6_16discard_iteratorINS6_11use_defaultEEEZNS1_13binary_searchIS3_S9_SE_SE_SH_NS1_21lower_bound_search_opENS7_16wrapped_functionINS0_4lessIvEEbEEEE10hipError_tPvRmT1_T2_T3_mmT4_T5_P12ihipStream_tbEUlRKsE_EESO_SS_ST_mSU_SX_bEUlT_E_NS1_11comp_targetILNS1_3genE2ELNS1_11target_archE906ELNS1_3gpuE6ELNS1_3repE0EEENS1_30default_config_static_selectorELNS0_4arch9wavefront6targetE0EEEvSR_
	.globl	_ZN7rocprim17ROCPRIM_400000_NS6detail17trampoline_kernelINS0_14default_configENS1_27lower_bound_config_selectorIsN6thrust23THRUST_200600_302600_NS6detail10any_assignEEEZNS1_14transform_implILb0ES3_S9_NS7_15normal_iteratorINS6_10device_ptrIsEEEENS6_16discard_iteratorINS6_11use_defaultEEEZNS1_13binary_searchIS3_S9_SE_SE_SH_NS1_21lower_bound_search_opENS7_16wrapped_functionINS0_4lessIvEEbEEEE10hipError_tPvRmT1_T2_T3_mmT4_T5_P12ihipStream_tbEUlRKsE_EESO_SS_ST_mSU_SX_bEUlT_E_NS1_11comp_targetILNS1_3genE2ELNS1_11target_archE906ELNS1_3gpuE6ELNS1_3repE0EEENS1_30default_config_static_selectorELNS0_4arch9wavefront6targetE0EEEvSR_
	.p2align	8
	.type	_ZN7rocprim17ROCPRIM_400000_NS6detail17trampoline_kernelINS0_14default_configENS1_27lower_bound_config_selectorIsN6thrust23THRUST_200600_302600_NS6detail10any_assignEEEZNS1_14transform_implILb0ES3_S9_NS7_15normal_iteratorINS6_10device_ptrIsEEEENS6_16discard_iteratorINS6_11use_defaultEEEZNS1_13binary_searchIS3_S9_SE_SE_SH_NS1_21lower_bound_search_opENS7_16wrapped_functionINS0_4lessIvEEbEEEE10hipError_tPvRmT1_T2_T3_mmT4_T5_P12ihipStream_tbEUlRKsE_EESO_SS_ST_mSU_SX_bEUlT_E_NS1_11comp_targetILNS1_3genE2ELNS1_11target_archE906ELNS1_3gpuE6ELNS1_3repE0EEENS1_30default_config_static_selectorELNS0_4arch9wavefront6targetE0EEEvSR_,@function
_ZN7rocprim17ROCPRIM_400000_NS6detail17trampoline_kernelINS0_14default_configENS1_27lower_bound_config_selectorIsN6thrust23THRUST_200600_302600_NS6detail10any_assignEEEZNS1_14transform_implILb0ES3_S9_NS7_15normal_iteratorINS6_10device_ptrIsEEEENS6_16discard_iteratorINS6_11use_defaultEEEZNS1_13binary_searchIS3_S9_SE_SE_SH_NS1_21lower_bound_search_opENS7_16wrapped_functionINS0_4lessIvEEbEEEE10hipError_tPvRmT1_T2_T3_mmT4_T5_P12ihipStream_tbEUlRKsE_EESO_SS_ST_mSU_SX_bEUlT_E_NS1_11comp_targetILNS1_3genE2ELNS1_11target_archE906ELNS1_3gpuE6ELNS1_3repE0EEENS1_30default_config_static_selectorELNS0_4arch9wavefront6targetE0EEEvSR_: ; @_ZN7rocprim17ROCPRIM_400000_NS6detail17trampoline_kernelINS0_14default_configENS1_27lower_bound_config_selectorIsN6thrust23THRUST_200600_302600_NS6detail10any_assignEEEZNS1_14transform_implILb0ES3_S9_NS7_15normal_iteratorINS6_10device_ptrIsEEEENS6_16discard_iteratorINS6_11use_defaultEEEZNS1_13binary_searchIS3_S9_SE_SE_SH_NS1_21lower_bound_search_opENS7_16wrapped_functionINS0_4lessIvEEbEEEE10hipError_tPvRmT1_T2_T3_mmT4_T5_P12ihipStream_tbEUlRKsE_EESO_SS_ST_mSU_SX_bEUlT_E_NS1_11comp_targetILNS1_3genE2ELNS1_11target_archE906ELNS1_3gpuE6ELNS1_3repE0EEENS1_30default_config_static_selectorELNS0_4arch9wavefront6targetE0EEEvSR_
; %bb.0:
	.section	.rodata,"a",@progbits
	.p2align	6, 0x0
	.amdhsa_kernel _ZN7rocprim17ROCPRIM_400000_NS6detail17trampoline_kernelINS0_14default_configENS1_27lower_bound_config_selectorIsN6thrust23THRUST_200600_302600_NS6detail10any_assignEEEZNS1_14transform_implILb0ES3_S9_NS7_15normal_iteratorINS6_10device_ptrIsEEEENS6_16discard_iteratorINS6_11use_defaultEEEZNS1_13binary_searchIS3_S9_SE_SE_SH_NS1_21lower_bound_search_opENS7_16wrapped_functionINS0_4lessIvEEbEEEE10hipError_tPvRmT1_T2_T3_mmT4_T5_P12ihipStream_tbEUlRKsE_EESO_SS_ST_mSU_SX_bEUlT_E_NS1_11comp_targetILNS1_3genE2ELNS1_11target_archE906ELNS1_3gpuE6ELNS1_3repE0EEENS1_30default_config_static_selectorELNS0_4arch9wavefront6targetE0EEEvSR_
		.amdhsa_group_segment_fixed_size 0
		.amdhsa_private_segment_fixed_size 0
		.amdhsa_kernarg_size 64
		.amdhsa_user_sgpr_count 15
		.amdhsa_user_sgpr_dispatch_ptr 0
		.amdhsa_user_sgpr_queue_ptr 0
		.amdhsa_user_sgpr_kernarg_segment_ptr 1
		.amdhsa_user_sgpr_dispatch_id 0
		.amdhsa_user_sgpr_private_segment_size 0
		.amdhsa_wavefront_size32 1
		.amdhsa_uses_dynamic_stack 0
		.amdhsa_enable_private_segment 0
		.amdhsa_system_sgpr_workgroup_id_x 1
		.amdhsa_system_sgpr_workgroup_id_y 0
		.amdhsa_system_sgpr_workgroup_id_z 0
		.amdhsa_system_sgpr_workgroup_info 0
		.amdhsa_system_vgpr_workitem_id 0
		.amdhsa_next_free_vgpr 1
		.amdhsa_next_free_sgpr 1
		.amdhsa_reserve_vcc 0
		.amdhsa_float_round_mode_32 0
		.amdhsa_float_round_mode_16_64 0
		.amdhsa_float_denorm_mode_32 3
		.amdhsa_float_denorm_mode_16_64 3
		.amdhsa_dx10_clamp 1
		.amdhsa_ieee_mode 1
		.amdhsa_fp16_overflow 0
		.amdhsa_workgroup_processor_mode 1
		.amdhsa_memory_ordered 1
		.amdhsa_forward_progress 0
		.amdhsa_shared_vgpr_count 0
		.amdhsa_exception_fp_ieee_invalid_op 0
		.amdhsa_exception_fp_denorm_src 0
		.amdhsa_exception_fp_ieee_div_zero 0
		.amdhsa_exception_fp_ieee_overflow 0
		.amdhsa_exception_fp_ieee_underflow 0
		.amdhsa_exception_fp_ieee_inexact 0
		.amdhsa_exception_int_div_zero 0
	.end_amdhsa_kernel
	.section	.text._ZN7rocprim17ROCPRIM_400000_NS6detail17trampoline_kernelINS0_14default_configENS1_27lower_bound_config_selectorIsN6thrust23THRUST_200600_302600_NS6detail10any_assignEEEZNS1_14transform_implILb0ES3_S9_NS7_15normal_iteratorINS6_10device_ptrIsEEEENS6_16discard_iteratorINS6_11use_defaultEEEZNS1_13binary_searchIS3_S9_SE_SE_SH_NS1_21lower_bound_search_opENS7_16wrapped_functionINS0_4lessIvEEbEEEE10hipError_tPvRmT1_T2_T3_mmT4_T5_P12ihipStream_tbEUlRKsE_EESO_SS_ST_mSU_SX_bEUlT_E_NS1_11comp_targetILNS1_3genE2ELNS1_11target_archE906ELNS1_3gpuE6ELNS1_3repE0EEENS1_30default_config_static_selectorELNS0_4arch9wavefront6targetE0EEEvSR_,"axG",@progbits,_ZN7rocprim17ROCPRIM_400000_NS6detail17trampoline_kernelINS0_14default_configENS1_27lower_bound_config_selectorIsN6thrust23THRUST_200600_302600_NS6detail10any_assignEEEZNS1_14transform_implILb0ES3_S9_NS7_15normal_iteratorINS6_10device_ptrIsEEEENS6_16discard_iteratorINS6_11use_defaultEEEZNS1_13binary_searchIS3_S9_SE_SE_SH_NS1_21lower_bound_search_opENS7_16wrapped_functionINS0_4lessIvEEbEEEE10hipError_tPvRmT1_T2_T3_mmT4_T5_P12ihipStream_tbEUlRKsE_EESO_SS_ST_mSU_SX_bEUlT_E_NS1_11comp_targetILNS1_3genE2ELNS1_11target_archE906ELNS1_3gpuE6ELNS1_3repE0EEENS1_30default_config_static_selectorELNS0_4arch9wavefront6targetE0EEEvSR_,comdat
.Lfunc_end568:
	.size	_ZN7rocprim17ROCPRIM_400000_NS6detail17trampoline_kernelINS0_14default_configENS1_27lower_bound_config_selectorIsN6thrust23THRUST_200600_302600_NS6detail10any_assignEEEZNS1_14transform_implILb0ES3_S9_NS7_15normal_iteratorINS6_10device_ptrIsEEEENS6_16discard_iteratorINS6_11use_defaultEEEZNS1_13binary_searchIS3_S9_SE_SE_SH_NS1_21lower_bound_search_opENS7_16wrapped_functionINS0_4lessIvEEbEEEE10hipError_tPvRmT1_T2_T3_mmT4_T5_P12ihipStream_tbEUlRKsE_EESO_SS_ST_mSU_SX_bEUlT_E_NS1_11comp_targetILNS1_3genE2ELNS1_11target_archE906ELNS1_3gpuE6ELNS1_3repE0EEENS1_30default_config_static_selectorELNS0_4arch9wavefront6targetE0EEEvSR_, .Lfunc_end568-_ZN7rocprim17ROCPRIM_400000_NS6detail17trampoline_kernelINS0_14default_configENS1_27lower_bound_config_selectorIsN6thrust23THRUST_200600_302600_NS6detail10any_assignEEEZNS1_14transform_implILb0ES3_S9_NS7_15normal_iteratorINS6_10device_ptrIsEEEENS6_16discard_iteratorINS6_11use_defaultEEEZNS1_13binary_searchIS3_S9_SE_SE_SH_NS1_21lower_bound_search_opENS7_16wrapped_functionINS0_4lessIvEEbEEEE10hipError_tPvRmT1_T2_T3_mmT4_T5_P12ihipStream_tbEUlRKsE_EESO_SS_ST_mSU_SX_bEUlT_E_NS1_11comp_targetILNS1_3genE2ELNS1_11target_archE906ELNS1_3gpuE6ELNS1_3repE0EEENS1_30default_config_static_selectorELNS0_4arch9wavefront6targetE0EEEvSR_
                                        ; -- End function
	.section	.AMDGPU.csdata,"",@progbits
; Kernel info:
; codeLenInByte = 0
; NumSgprs: 0
; NumVgprs: 0
; ScratchSize: 0
; MemoryBound: 0
; FloatMode: 240
; IeeeMode: 1
; LDSByteSize: 0 bytes/workgroup (compile time only)
; SGPRBlocks: 0
; VGPRBlocks: 0
; NumSGPRsForWavesPerEU: 1
; NumVGPRsForWavesPerEU: 1
; Occupancy: 16
; WaveLimiterHint : 0
; COMPUTE_PGM_RSRC2:SCRATCH_EN: 0
; COMPUTE_PGM_RSRC2:USER_SGPR: 15
; COMPUTE_PGM_RSRC2:TRAP_HANDLER: 0
; COMPUTE_PGM_RSRC2:TGID_X_EN: 1
; COMPUTE_PGM_RSRC2:TGID_Y_EN: 0
; COMPUTE_PGM_RSRC2:TGID_Z_EN: 0
; COMPUTE_PGM_RSRC2:TIDIG_COMP_CNT: 0
	.section	.text._ZN7rocprim17ROCPRIM_400000_NS6detail17trampoline_kernelINS0_14default_configENS1_27lower_bound_config_selectorIsN6thrust23THRUST_200600_302600_NS6detail10any_assignEEEZNS1_14transform_implILb0ES3_S9_NS7_15normal_iteratorINS6_10device_ptrIsEEEENS6_16discard_iteratorINS6_11use_defaultEEEZNS1_13binary_searchIS3_S9_SE_SE_SH_NS1_21lower_bound_search_opENS7_16wrapped_functionINS0_4lessIvEEbEEEE10hipError_tPvRmT1_T2_T3_mmT4_T5_P12ihipStream_tbEUlRKsE_EESO_SS_ST_mSU_SX_bEUlT_E_NS1_11comp_targetILNS1_3genE10ELNS1_11target_archE1201ELNS1_3gpuE5ELNS1_3repE0EEENS1_30default_config_static_selectorELNS0_4arch9wavefront6targetE0EEEvSR_,"axG",@progbits,_ZN7rocprim17ROCPRIM_400000_NS6detail17trampoline_kernelINS0_14default_configENS1_27lower_bound_config_selectorIsN6thrust23THRUST_200600_302600_NS6detail10any_assignEEEZNS1_14transform_implILb0ES3_S9_NS7_15normal_iteratorINS6_10device_ptrIsEEEENS6_16discard_iteratorINS6_11use_defaultEEEZNS1_13binary_searchIS3_S9_SE_SE_SH_NS1_21lower_bound_search_opENS7_16wrapped_functionINS0_4lessIvEEbEEEE10hipError_tPvRmT1_T2_T3_mmT4_T5_P12ihipStream_tbEUlRKsE_EESO_SS_ST_mSU_SX_bEUlT_E_NS1_11comp_targetILNS1_3genE10ELNS1_11target_archE1201ELNS1_3gpuE5ELNS1_3repE0EEENS1_30default_config_static_selectorELNS0_4arch9wavefront6targetE0EEEvSR_,comdat
	.protected	_ZN7rocprim17ROCPRIM_400000_NS6detail17trampoline_kernelINS0_14default_configENS1_27lower_bound_config_selectorIsN6thrust23THRUST_200600_302600_NS6detail10any_assignEEEZNS1_14transform_implILb0ES3_S9_NS7_15normal_iteratorINS6_10device_ptrIsEEEENS6_16discard_iteratorINS6_11use_defaultEEEZNS1_13binary_searchIS3_S9_SE_SE_SH_NS1_21lower_bound_search_opENS7_16wrapped_functionINS0_4lessIvEEbEEEE10hipError_tPvRmT1_T2_T3_mmT4_T5_P12ihipStream_tbEUlRKsE_EESO_SS_ST_mSU_SX_bEUlT_E_NS1_11comp_targetILNS1_3genE10ELNS1_11target_archE1201ELNS1_3gpuE5ELNS1_3repE0EEENS1_30default_config_static_selectorELNS0_4arch9wavefront6targetE0EEEvSR_ ; -- Begin function _ZN7rocprim17ROCPRIM_400000_NS6detail17trampoline_kernelINS0_14default_configENS1_27lower_bound_config_selectorIsN6thrust23THRUST_200600_302600_NS6detail10any_assignEEEZNS1_14transform_implILb0ES3_S9_NS7_15normal_iteratorINS6_10device_ptrIsEEEENS6_16discard_iteratorINS6_11use_defaultEEEZNS1_13binary_searchIS3_S9_SE_SE_SH_NS1_21lower_bound_search_opENS7_16wrapped_functionINS0_4lessIvEEbEEEE10hipError_tPvRmT1_T2_T3_mmT4_T5_P12ihipStream_tbEUlRKsE_EESO_SS_ST_mSU_SX_bEUlT_E_NS1_11comp_targetILNS1_3genE10ELNS1_11target_archE1201ELNS1_3gpuE5ELNS1_3repE0EEENS1_30default_config_static_selectorELNS0_4arch9wavefront6targetE0EEEvSR_
	.globl	_ZN7rocprim17ROCPRIM_400000_NS6detail17trampoline_kernelINS0_14default_configENS1_27lower_bound_config_selectorIsN6thrust23THRUST_200600_302600_NS6detail10any_assignEEEZNS1_14transform_implILb0ES3_S9_NS7_15normal_iteratorINS6_10device_ptrIsEEEENS6_16discard_iteratorINS6_11use_defaultEEEZNS1_13binary_searchIS3_S9_SE_SE_SH_NS1_21lower_bound_search_opENS7_16wrapped_functionINS0_4lessIvEEbEEEE10hipError_tPvRmT1_T2_T3_mmT4_T5_P12ihipStream_tbEUlRKsE_EESO_SS_ST_mSU_SX_bEUlT_E_NS1_11comp_targetILNS1_3genE10ELNS1_11target_archE1201ELNS1_3gpuE5ELNS1_3repE0EEENS1_30default_config_static_selectorELNS0_4arch9wavefront6targetE0EEEvSR_
	.p2align	8
	.type	_ZN7rocprim17ROCPRIM_400000_NS6detail17trampoline_kernelINS0_14default_configENS1_27lower_bound_config_selectorIsN6thrust23THRUST_200600_302600_NS6detail10any_assignEEEZNS1_14transform_implILb0ES3_S9_NS7_15normal_iteratorINS6_10device_ptrIsEEEENS6_16discard_iteratorINS6_11use_defaultEEEZNS1_13binary_searchIS3_S9_SE_SE_SH_NS1_21lower_bound_search_opENS7_16wrapped_functionINS0_4lessIvEEbEEEE10hipError_tPvRmT1_T2_T3_mmT4_T5_P12ihipStream_tbEUlRKsE_EESO_SS_ST_mSU_SX_bEUlT_E_NS1_11comp_targetILNS1_3genE10ELNS1_11target_archE1201ELNS1_3gpuE5ELNS1_3repE0EEENS1_30default_config_static_selectorELNS0_4arch9wavefront6targetE0EEEvSR_,@function
_ZN7rocprim17ROCPRIM_400000_NS6detail17trampoline_kernelINS0_14default_configENS1_27lower_bound_config_selectorIsN6thrust23THRUST_200600_302600_NS6detail10any_assignEEEZNS1_14transform_implILb0ES3_S9_NS7_15normal_iteratorINS6_10device_ptrIsEEEENS6_16discard_iteratorINS6_11use_defaultEEEZNS1_13binary_searchIS3_S9_SE_SE_SH_NS1_21lower_bound_search_opENS7_16wrapped_functionINS0_4lessIvEEbEEEE10hipError_tPvRmT1_T2_T3_mmT4_T5_P12ihipStream_tbEUlRKsE_EESO_SS_ST_mSU_SX_bEUlT_E_NS1_11comp_targetILNS1_3genE10ELNS1_11target_archE1201ELNS1_3gpuE5ELNS1_3repE0EEENS1_30default_config_static_selectorELNS0_4arch9wavefront6targetE0EEEvSR_: ; @_ZN7rocprim17ROCPRIM_400000_NS6detail17trampoline_kernelINS0_14default_configENS1_27lower_bound_config_selectorIsN6thrust23THRUST_200600_302600_NS6detail10any_assignEEEZNS1_14transform_implILb0ES3_S9_NS7_15normal_iteratorINS6_10device_ptrIsEEEENS6_16discard_iteratorINS6_11use_defaultEEEZNS1_13binary_searchIS3_S9_SE_SE_SH_NS1_21lower_bound_search_opENS7_16wrapped_functionINS0_4lessIvEEbEEEE10hipError_tPvRmT1_T2_T3_mmT4_T5_P12ihipStream_tbEUlRKsE_EESO_SS_ST_mSU_SX_bEUlT_E_NS1_11comp_targetILNS1_3genE10ELNS1_11target_archE1201ELNS1_3gpuE5ELNS1_3repE0EEENS1_30default_config_static_selectorELNS0_4arch9wavefront6targetE0EEEvSR_
; %bb.0:
	.section	.rodata,"a",@progbits
	.p2align	6, 0x0
	.amdhsa_kernel _ZN7rocprim17ROCPRIM_400000_NS6detail17trampoline_kernelINS0_14default_configENS1_27lower_bound_config_selectorIsN6thrust23THRUST_200600_302600_NS6detail10any_assignEEEZNS1_14transform_implILb0ES3_S9_NS7_15normal_iteratorINS6_10device_ptrIsEEEENS6_16discard_iteratorINS6_11use_defaultEEEZNS1_13binary_searchIS3_S9_SE_SE_SH_NS1_21lower_bound_search_opENS7_16wrapped_functionINS0_4lessIvEEbEEEE10hipError_tPvRmT1_T2_T3_mmT4_T5_P12ihipStream_tbEUlRKsE_EESO_SS_ST_mSU_SX_bEUlT_E_NS1_11comp_targetILNS1_3genE10ELNS1_11target_archE1201ELNS1_3gpuE5ELNS1_3repE0EEENS1_30default_config_static_selectorELNS0_4arch9wavefront6targetE0EEEvSR_
		.amdhsa_group_segment_fixed_size 0
		.amdhsa_private_segment_fixed_size 0
		.amdhsa_kernarg_size 64
		.amdhsa_user_sgpr_count 15
		.amdhsa_user_sgpr_dispatch_ptr 0
		.amdhsa_user_sgpr_queue_ptr 0
		.amdhsa_user_sgpr_kernarg_segment_ptr 1
		.amdhsa_user_sgpr_dispatch_id 0
		.amdhsa_user_sgpr_private_segment_size 0
		.amdhsa_wavefront_size32 1
		.amdhsa_uses_dynamic_stack 0
		.amdhsa_enable_private_segment 0
		.amdhsa_system_sgpr_workgroup_id_x 1
		.amdhsa_system_sgpr_workgroup_id_y 0
		.amdhsa_system_sgpr_workgroup_id_z 0
		.amdhsa_system_sgpr_workgroup_info 0
		.amdhsa_system_vgpr_workitem_id 0
		.amdhsa_next_free_vgpr 1
		.amdhsa_next_free_sgpr 1
		.amdhsa_reserve_vcc 0
		.amdhsa_float_round_mode_32 0
		.amdhsa_float_round_mode_16_64 0
		.amdhsa_float_denorm_mode_32 3
		.amdhsa_float_denorm_mode_16_64 3
		.amdhsa_dx10_clamp 1
		.amdhsa_ieee_mode 1
		.amdhsa_fp16_overflow 0
		.amdhsa_workgroup_processor_mode 1
		.amdhsa_memory_ordered 1
		.amdhsa_forward_progress 0
		.amdhsa_shared_vgpr_count 0
		.amdhsa_exception_fp_ieee_invalid_op 0
		.amdhsa_exception_fp_denorm_src 0
		.amdhsa_exception_fp_ieee_div_zero 0
		.amdhsa_exception_fp_ieee_overflow 0
		.amdhsa_exception_fp_ieee_underflow 0
		.amdhsa_exception_fp_ieee_inexact 0
		.amdhsa_exception_int_div_zero 0
	.end_amdhsa_kernel
	.section	.text._ZN7rocprim17ROCPRIM_400000_NS6detail17trampoline_kernelINS0_14default_configENS1_27lower_bound_config_selectorIsN6thrust23THRUST_200600_302600_NS6detail10any_assignEEEZNS1_14transform_implILb0ES3_S9_NS7_15normal_iteratorINS6_10device_ptrIsEEEENS6_16discard_iteratorINS6_11use_defaultEEEZNS1_13binary_searchIS3_S9_SE_SE_SH_NS1_21lower_bound_search_opENS7_16wrapped_functionINS0_4lessIvEEbEEEE10hipError_tPvRmT1_T2_T3_mmT4_T5_P12ihipStream_tbEUlRKsE_EESO_SS_ST_mSU_SX_bEUlT_E_NS1_11comp_targetILNS1_3genE10ELNS1_11target_archE1201ELNS1_3gpuE5ELNS1_3repE0EEENS1_30default_config_static_selectorELNS0_4arch9wavefront6targetE0EEEvSR_,"axG",@progbits,_ZN7rocprim17ROCPRIM_400000_NS6detail17trampoline_kernelINS0_14default_configENS1_27lower_bound_config_selectorIsN6thrust23THRUST_200600_302600_NS6detail10any_assignEEEZNS1_14transform_implILb0ES3_S9_NS7_15normal_iteratorINS6_10device_ptrIsEEEENS6_16discard_iteratorINS6_11use_defaultEEEZNS1_13binary_searchIS3_S9_SE_SE_SH_NS1_21lower_bound_search_opENS7_16wrapped_functionINS0_4lessIvEEbEEEE10hipError_tPvRmT1_T2_T3_mmT4_T5_P12ihipStream_tbEUlRKsE_EESO_SS_ST_mSU_SX_bEUlT_E_NS1_11comp_targetILNS1_3genE10ELNS1_11target_archE1201ELNS1_3gpuE5ELNS1_3repE0EEENS1_30default_config_static_selectorELNS0_4arch9wavefront6targetE0EEEvSR_,comdat
.Lfunc_end569:
	.size	_ZN7rocprim17ROCPRIM_400000_NS6detail17trampoline_kernelINS0_14default_configENS1_27lower_bound_config_selectorIsN6thrust23THRUST_200600_302600_NS6detail10any_assignEEEZNS1_14transform_implILb0ES3_S9_NS7_15normal_iteratorINS6_10device_ptrIsEEEENS6_16discard_iteratorINS6_11use_defaultEEEZNS1_13binary_searchIS3_S9_SE_SE_SH_NS1_21lower_bound_search_opENS7_16wrapped_functionINS0_4lessIvEEbEEEE10hipError_tPvRmT1_T2_T3_mmT4_T5_P12ihipStream_tbEUlRKsE_EESO_SS_ST_mSU_SX_bEUlT_E_NS1_11comp_targetILNS1_3genE10ELNS1_11target_archE1201ELNS1_3gpuE5ELNS1_3repE0EEENS1_30default_config_static_selectorELNS0_4arch9wavefront6targetE0EEEvSR_, .Lfunc_end569-_ZN7rocprim17ROCPRIM_400000_NS6detail17trampoline_kernelINS0_14default_configENS1_27lower_bound_config_selectorIsN6thrust23THRUST_200600_302600_NS6detail10any_assignEEEZNS1_14transform_implILb0ES3_S9_NS7_15normal_iteratorINS6_10device_ptrIsEEEENS6_16discard_iteratorINS6_11use_defaultEEEZNS1_13binary_searchIS3_S9_SE_SE_SH_NS1_21lower_bound_search_opENS7_16wrapped_functionINS0_4lessIvEEbEEEE10hipError_tPvRmT1_T2_T3_mmT4_T5_P12ihipStream_tbEUlRKsE_EESO_SS_ST_mSU_SX_bEUlT_E_NS1_11comp_targetILNS1_3genE10ELNS1_11target_archE1201ELNS1_3gpuE5ELNS1_3repE0EEENS1_30default_config_static_selectorELNS0_4arch9wavefront6targetE0EEEvSR_
                                        ; -- End function
	.section	.AMDGPU.csdata,"",@progbits
; Kernel info:
; codeLenInByte = 0
; NumSgprs: 0
; NumVgprs: 0
; ScratchSize: 0
; MemoryBound: 0
; FloatMode: 240
; IeeeMode: 1
; LDSByteSize: 0 bytes/workgroup (compile time only)
; SGPRBlocks: 0
; VGPRBlocks: 0
; NumSGPRsForWavesPerEU: 1
; NumVGPRsForWavesPerEU: 1
; Occupancy: 16
; WaveLimiterHint : 0
; COMPUTE_PGM_RSRC2:SCRATCH_EN: 0
; COMPUTE_PGM_RSRC2:USER_SGPR: 15
; COMPUTE_PGM_RSRC2:TRAP_HANDLER: 0
; COMPUTE_PGM_RSRC2:TGID_X_EN: 1
; COMPUTE_PGM_RSRC2:TGID_Y_EN: 0
; COMPUTE_PGM_RSRC2:TGID_Z_EN: 0
; COMPUTE_PGM_RSRC2:TIDIG_COMP_CNT: 0
	.section	.text._ZN7rocprim17ROCPRIM_400000_NS6detail17trampoline_kernelINS0_14default_configENS1_27lower_bound_config_selectorIsN6thrust23THRUST_200600_302600_NS6detail10any_assignEEEZNS1_14transform_implILb0ES3_S9_NS7_15normal_iteratorINS6_10device_ptrIsEEEENS6_16discard_iteratorINS6_11use_defaultEEEZNS1_13binary_searchIS3_S9_SE_SE_SH_NS1_21lower_bound_search_opENS7_16wrapped_functionINS0_4lessIvEEbEEEE10hipError_tPvRmT1_T2_T3_mmT4_T5_P12ihipStream_tbEUlRKsE_EESO_SS_ST_mSU_SX_bEUlT_E_NS1_11comp_targetILNS1_3genE10ELNS1_11target_archE1200ELNS1_3gpuE4ELNS1_3repE0EEENS1_30default_config_static_selectorELNS0_4arch9wavefront6targetE0EEEvSR_,"axG",@progbits,_ZN7rocprim17ROCPRIM_400000_NS6detail17trampoline_kernelINS0_14default_configENS1_27lower_bound_config_selectorIsN6thrust23THRUST_200600_302600_NS6detail10any_assignEEEZNS1_14transform_implILb0ES3_S9_NS7_15normal_iteratorINS6_10device_ptrIsEEEENS6_16discard_iteratorINS6_11use_defaultEEEZNS1_13binary_searchIS3_S9_SE_SE_SH_NS1_21lower_bound_search_opENS7_16wrapped_functionINS0_4lessIvEEbEEEE10hipError_tPvRmT1_T2_T3_mmT4_T5_P12ihipStream_tbEUlRKsE_EESO_SS_ST_mSU_SX_bEUlT_E_NS1_11comp_targetILNS1_3genE10ELNS1_11target_archE1200ELNS1_3gpuE4ELNS1_3repE0EEENS1_30default_config_static_selectorELNS0_4arch9wavefront6targetE0EEEvSR_,comdat
	.protected	_ZN7rocprim17ROCPRIM_400000_NS6detail17trampoline_kernelINS0_14default_configENS1_27lower_bound_config_selectorIsN6thrust23THRUST_200600_302600_NS6detail10any_assignEEEZNS1_14transform_implILb0ES3_S9_NS7_15normal_iteratorINS6_10device_ptrIsEEEENS6_16discard_iteratorINS6_11use_defaultEEEZNS1_13binary_searchIS3_S9_SE_SE_SH_NS1_21lower_bound_search_opENS7_16wrapped_functionINS0_4lessIvEEbEEEE10hipError_tPvRmT1_T2_T3_mmT4_T5_P12ihipStream_tbEUlRKsE_EESO_SS_ST_mSU_SX_bEUlT_E_NS1_11comp_targetILNS1_3genE10ELNS1_11target_archE1200ELNS1_3gpuE4ELNS1_3repE0EEENS1_30default_config_static_selectorELNS0_4arch9wavefront6targetE0EEEvSR_ ; -- Begin function _ZN7rocprim17ROCPRIM_400000_NS6detail17trampoline_kernelINS0_14default_configENS1_27lower_bound_config_selectorIsN6thrust23THRUST_200600_302600_NS6detail10any_assignEEEZNS1_14transform_implILb0ES3_S9_NS7_15normal_iteratorINS6_10device_ptrIsEEEENS6_16discard_iteratorINS6_11use_defaultEEEZNS1_13binary_searchIS3_S9_SE_SE_SH_NS1_21lower_bound_search_opENS7_16wrapped_functionINS0_4lessIvEEbEEEE10hipError_tPvRmT1_T2_T3_mmT4_T5_P12ihipStream_tbEUlRKsE_EESO_SS_ST_mSU_SX_bEUlT_E_NS1_11comp_targetILNS1_3genE10ELNS1_11target_archE1200ELNS1_3gpuE4ELNS1_3repE0EEENS1_30default_config_static_selectorELNS0_4arch9wavefront6targetE0EEEvSR_
	.globl	_ZN7rocprim17ROCPRIM_400000_NS6detail17trampoline_kernelINS0_14default_configENS1_27lower_bound_config_selectorIsN6thrust23THRUST_200600_302600_NS6detail10any_assignEEEZNS1_14transform_implILb0ES3_S9_NS7_15normal_iteratorINS6_10device_ptrIsEEEENS6_16discard_iteratorINS6_11use_defaultEEEZNS1_13binary_searchIS3_S9_SE_SE_SH_NS1_21lower_bound_search_opENS7_16wrapped_functionINS0_4lessIvEEbEEEE10hipError_tPvRmT1_T2_T3_mmT4_T5_P12ihipStream_tbEUlRKsE_EESO_SS_ST_mSU_SX_bEUlT_E_NS1_11comp_targetILNS1_3genE10ELNS1_11target_archE1200ELNS1_3gpuE4ELNS1_3repE0EEENS1_30default_config_static_selectorELNS0_4arch9wavefront6targetE0EEEvSR_
	.p2align	8
	.type	_ZN7rocprim17ROCPRIM_400000_NS6detail17trampoline_kernelINS0_14default_configENS1_27lower_bound_config_selectorIsN6thrust23THRUST_200600_302600_NS6detail10any_assignEEEZNS1_14transform_implILb0ES3_S9_NS7_15normal_iteratorINS6_10device_ptrIsEEEENS6_16discard_iteratorINS6_11use_defaultEEEZNS1_13binary_searchIS3_S9_SE_SE_SH_NS1_21lower_bound_search_opENS7_16wrapped_functionINS0_4lessIvEEbEEEE10hipError_tPvRmT1_T2_T3_mmT4_T5_P12ihipStream_tbEUlRKsE_EESO_SS_ST_mSU_SX_bEUlT_E_NS1_11comp_targetILNS1_3genE10ELNS1_11target_archE1200ELNS1_3gpuE4ELNS1_3repE0EEENS1_30default_config_static_selectorELNS0_4arch9wavefront6targetE0EEEvSR_,@function
_ZN7rocprim17ROCPRIM_400000_NS6detail17trampoline_kernelINS0_14default_configENS1_27lower_bound_config_selectorIsN6thrust23THRUST_200600_302600_NS6detail10any_assignEEEZNS1_14transform_implILb0ES3_S9_NS7_15normal_iteratorINS6_10device_ptrIsEEEENS6_16discard_iteratorINS6_11use_defaultEEEZNS1_13binary_searchIS3_S9_SE_SE_SH_NS1_21lower_bound_search_opENS7_16wrapped_functionINS0_4lessIvEEbEEEE10hipError_tPvRmT1_T2_T3_mmT4_T5_P12ihipStream_tbEUlRKsE_EESO_SS_ST_mSU_SX_bEUlT_E_NS1_11comp_targetILNS1_3genE10ELNS1_11target_archE1200ELNS1_3gpuE4ELNS1_3repE0EEENS1_30default_config_static_selectorELNS0_4arch9wavefront6targetE0EEEvSR_: ; @_ZN7rocprim17ROCPRIM_400000_NS6detail17trampoline_kernelINS0_14default_configENS1_27lower_bound_config_selectorIsN6thrust23THRUST_200600_302600_NS6detail10any_assignEEEZNS1_14transform_implILb0ES3_S9_NS7_15normal_iteratorINS6_10device_ptrIsEEEENS6_16discard_iteratorINS6_11use_defaultEEEZNS1_13binary_searchIS3_S9_SE_SE_SH_NS1_21lower_bound_search_opENS7_16wrapped_functionINS0_4lessIvEEbEEEE10hipError_tPvRmT1_T2_T3_mmT4_T5_P12ihipStream_tbEUlRKsE_EESO_SS_ST_mSU_SX_bEUlT_E_NS1_11comp_targetILNS1_3genE10ELNS1_11target_archE1200ELNS1_3gpuE4ELNS1_3repE0EEENS1_30default_config_static_selectorELNS0_4arch9wavefront6targetE0EEEvSR_
; %bb.0:
	.section	.rodata,"a",@progbits
	.p2align	6, 0x0
	.amdhsa_kernel _ZN7rocprim17ROCPRIM_400000_NS6detail17trampoline_kernelINS0_14default_configENS1_27lower_bound_config_selectorIsN6thrust23THRUST_200600_302600_NS6detail10any_assignEEEZNS1_14transform_implILb0ES3_S9_NS7_15normal_iteratorINS6_10device_ptrIsEEEENS6_16discard_iteratorINS6_11use_defaultEEEZNS1_13binary_searchIS3_S9_SE_SE_SH_NS1_21lower_bound_search_opENS7_16wrapped_functionINS0_4lessIvEEbEEEE10hipError_tPvRmT1_T2_T3_mmT4_T5_P12ihipStream_tbEUlRKsE_EESO_SS_ST_mSU_SX_bEUlT_E_NS1_11comp_targetILNS1_3genE10ELNS1_11target_archE1200ELNS1_3gpuE4ELNS1_3repE0EEENS1_30default_config_static_selectorELNS0_4arch9wavefront6targetE0EEEvSR_
		.amdhsa_group_segment_fixed_size 0
		.amdhsa_private_segment_fixed_size 0
		.amdhsa_kernarg_size 64
		.amdhsa_user_sgpr_count 15
		.amdhsa_user_sgpr_dispatch_ptr 0
		.amdhsa_user_sgpr_queue_ptr 0
		.amdhsa_user_sgpr_kernarg_segment_ptr 1
		.amdhsa_user_sgpr_dispatch_id 0
		.amdhsa_user_sgpr_private_segment_size 0
		.amdhsa_wavefront_size32 1
		.amdhsa_uses_dynamic_stack 0
		.amdhsa_enable_private_segment 0
		.amdhsa_system_sgpr_workgroup_id_x 1
		.amdhsa_system_sgpr_workgroup_id_y 0
		.amdhsa_system_sgpr_workgroup_id_z 0
		.amdhsa_system_sgpr_workgroup_info 0
		.amdhsa_system_vgpr_workitem_id 0
		.amdhsa_next_free_vgpr 1
		.amdhsa_next_free_sgpr 1
		.amdhsa_reserve_vcc 0
		.amdhsa_float_round_mode_32 0
		.amdhsa_float_round_mode_16_64 0
		.amdhsa_float_denorm_mode_32 3
		.amdhsa_float_denorm_mode_16_64 3
		.amdhsa_dx10_clamp 1
		.amdhsa_ieee_mode 1
		.amdhsa_fp16_overflow 0
		.amdhsa_workgroup_processor_mode 1
		.amdhsa_memory_ordered 1
		.amdhsa_forward_progress 0
		.amdhsa_shared_vgpr_count 0
		.amdhsa_exception_fp_ieee_invalid_op 0
		.amdhsa_exception_fp_denorm_src 0
		.amdhsa_exception_fp_ieee_div_zero 0
		.amdhsa_exception_fp_ieee_overflow 0
		.amdhsa_exception_fp_ieee_underflow 0
		.amdhsa_exception_fp_ieee_inexact 0
		.amdhsa_exception_int_div_zero 0
	.end_amdhsa_kernel
	.section	.text._ZN7rocprim17ROCPRIM_400000_NS6detail17trampoline_kernelINS0_14default_configENS1_27lower_bound_config_selectorIsN6thrust23THRUST_200600_302600_NS6detail10any_assignEEEZNS1_14transform_implILb0ES3_S9_NS7_15normal_iteratorINS6_10device_ptrIsEEEENS6_16discard_iteratorINS6_11use_defaultEEEZNS1_13binary_searchIS3_S9_SE_SE_SH_NS1_21lower_bound_search_opENS7_16wrapped_functionINS0_4lessIvEEbEEEE10hipError_tPvRmT1_T2_T3_mmT4_T5_P12ihipStream_tbEUlRKsE_EESO_SS_ST_mSU_SX_bEUlT_E_NS1_11comp_targetILNS1_3genE10ELNS1_11target_archE1200ELNS1_3gpuE4ELNS1_3repE0EEENS1_30default_config_static_selectorELNS0_4arch9wavefront6targetE0EEEvSR_,"axG",@progbits,_ZN7rocprim17ROCPRIM_400000_NS6detail17trampoline_kernelINS0_14default_configENS1_27lower_bound_config_selectorIsN6thrust23THRUST_200600_302600_NS6detail10any_assignEEEZNS1_14transform_implILb0ES3_S9_NS7_15normal_iteratorINS6_10device_ptrIsEEEENS6_16discard_iteratorINS6_11use_defaultEEEZNS1_13binary_searchIS3_S9_SE_SE_SH_NS1_21lower_bound_search_opENS7_16wrapped_functionINS0_4lessIvEEbEEEE10hipError_tPvRmT1_T2_T3_mmT4_T5_P12ihipStream_tbEUlRKsE_EESO_SS_ST_mSU_SX_bEUlT_E_NS1_11comp_targetILNS1_3genE10ELNS1_11target_archE1200ELNS1_3gpuE4ELNS1_3repE0EEENS1_30default_config_static_selectorELNS0_4arch9wavefront6targetE0EEEvSR_,comdat
.Lfunc_end570:
	.size	_ZN7rocprim17ROCPRIM_400000_NS6detail17trampoline_kernelINS0_14default_configENS1_27lower_bound_config_selectorIsN6thrust23THRUST_200600_302600_NS6detail10any_assignEEEZNS1_14transform_implILb0ES3_S9_NS7_15normal_iteratorINS6_10device_ptrIsEEEENS6_16discard_iteratorINS6_11use_defaultEEEZNS1_13binary_searchIS3_S9_SE_SE_SH_NS1_21lower_bound_search_opENS7_16wrapped_functionINS0_4lessIvEEbEEEE10hipError_tPvRmT1_T2_T3_mmT4_T5_P12ihipStream_tbEUlRKsE_EESO_SS_ST_mSU_SX_bEUlT_E_NS1_11comp_targetILNS1_3genE10ELNS1_11target_archE1200ELNS1_3gpuE4ELNS1_3repE0EEENS1_30default_config_static_selectorELNS0_4arch9wavefront6targetE0EEEvSR_, .Lfunc_end570-_ZN7rocprim17ROCPRIM_400000_NS6detail17trampoline_kernelINS0_14default_configENS1_27lower_bound_config_selectorIsN6thrust23THRUST_200600_302600_NS6detail10any_assignEEEZNS1_14transform_implILb0ES3_S9_NS7_15normal_iteratorINS6_10device_ptrIsEEEENS6_16discard_iteratorINS6_11use_defaultEEEZNS1_13binary_searchIS3_S9_SE_SE_SH_NS1_21lower_bound_search_opENS7_16wrapped_functionINS0_4lessIvEEbEEEE10hipError_tPvRmT1_T2_T3_mmT4_T5_P12ihipStream_tbEUlRKsE_EESO_SS_ST_mSU_SX_bEUlT_E_NS1_11comp_targetILNS1_3genE10ELNS1_11target_archE1200ELNS1_3gpuE4ELNS1_3repE0EEENS1_30default_config_static_selectorELNS0_4arch9wavefront6targetE0EEEvSR_
                                        ; -- End function
	.section	.AMDGPU.csdata,"",@progbits
; Kernel info:
; codeLenInByte = 0
; NumSgprs: 0
; NumVgprs: 0
; ScratchSize: 0
; MemoryBound: 0
; FloatMode: 240
; IeeeMode: 1
; LDSByteSize: 0 bytes/workgroup (compile time only)
; SGPRBlocks: 0
; VGPRBlocks: 0
; NumSGPRsForWavesPerEU: 1
; NumVGPRsForWavesPerEU: 1
; Occupancy: 16
; WaveLimiterHint : 0
; COMPUTE_PGM_RSRC2:SCRATCH_EN: 0
; COMPUTE_PGM_RSRC2:USER_SGPR: 15
; COMPUTE_PGM_RSRC2:TRAP_HANDLER: 0
; COMPUTE_PGM_RSRC2:TGID_X_EN: 1
; COMPUTE_PGM_RSRC2:TGID_Y_EN: 0
; COMPUTE_PGM_RSRC2:TGID_Z_EN: 0
; COMPUTE_PGM_RSRC2:TIDIG_COMP_CNT: 0
	.section	.text._ZN7rocprim17ROCPRIM_400000_NS6detail17trampoline_kernelINS0_14default_configENS1_27lower_bound_config_selectorIsN6thrust23THRUST_200600_302600_NS6detail10any_assignEEEZNS1_14transform_implILb0ES3_S9_NS7_15normal_iteratorINS6_10device_ptrIsEEEENS6_16discard_iteratorINS6_11use_defaultEEEZNS1_13binary_searchIS3_S9_SE_SE_SH_NS1_21lower_bound_search_opENS7_16wrapped_functionINS0_4lessIvEEbEEEE10hipError_tPvRmT1_T2_T3_mmT4_T5_P12ihipStream_tbEUlRKsE_EESO_SS_ST_mSU_SX_bEUlT_E_NS1_11comp_targetILNS1_3genE9ELNS1_11target_archE1100ELNS1_3gpuE3ELNS1_3repE0EEENS1_30default_config_static_selectorELNS0_4arch9wavefront6targetE0EEEvSR_,"axG",@progbits,_ZN7rocprim17ROCPRIM_400000_NS6detail17trampoline_kernelINS0_14default_configENS1_27lower_bound_config_selectorIsN6thrust23THRUST_200600_302600_NS6detail10any_assignEEEZNS1_14transform_implILb0ES3_S9_NS7_15normal_iteratorINS6_10device_ptrIsEEEENS6_16discard_iteratorINS6_11use_defaultEEEZNS1_13binary_searchIS3_S9_SE_SE_SH_NS1_21lower_bound_search_opENS7_16wrapped_functionINS0_4lessIvEEbEEEE10hipError_tPvRmT1_T2_T3_mmT4_T5_P12ihipStream_tbEUlRKsE_EESO_SS_ST_mSU_SX_bEUlT_E_NS1_11comp_targetILNS1_3genE9ELNS1_11target_archE1100ELNS1_3gpuE3ELNS1_3repE0EEENS1_30default_config_static_selectorELNS0_4arch9wavefront6targetE0EEEvSR_,comdat
	.protected	_ZN7rocprim17ROCPRIM_400000_NS6detail17trampoline_kernelINS0_14default_configENS1_27lower_bound_config_selectorIsN6thrust23THRUST_200600_302600_NS6detail10any_assignEEEZNS1_14transform_implILb0ES3_S9_NS7_15normal_iteratorINS6_10device_ptrIsEEEENS6_16discard_iteratorINS6_11use_defaultEEEZNS1_13binary_searchIS3_S9_SE_SE_SH_NS1_21lower_bound_search_opENS7_16wrapped_functionINS0_4lessIvEEbEEEE10hipError_tPvRmT1_T2_T3_mmT4_T5_P12ihipStream_tbEUlRKsE_EESO_SS_ST_mSU_SX_bEUlT_E_NS1_11comp_targetILNS1_3genE9ELNS1_11target_archE1100ELNS1_3gpuE3ELNS1_3repE0EEENS1_30default_config_static_selectorELNS0_4arch9wavefront6targetE0EEEvSR_ ; -- Begin function _ZN7rocprim17ROCPRIM_400000_NS6detail17trampoline_kernelINS0_14default_configENS1_27lower_bound_config_selectorIsN6thrust23THRUST_200600_302600_NS6detail10any_assignEEEZNS1_14transform_implILb0ES3_S9_NS7_15normal_iteratorINS6_10device_ptrIsEEEENS6_16discard_iteratorINS6_11use_defaultEEEZNS1_13binary_searchIS3_S9_SE_SE_SH_NS1_21lower_bound_search_opENS7_16wrapped_functionINS0_4lessIvEEbEEEE10hipError_tPvRmT1_T2_T3_mmT4_T5_P12ihipStream_tbEUlRKsE_EESO_SS_ST_mSU_SX_bEUlT_E_NS1_11comp_targetILNS1_3genE9ELNS1_11target_archE1100ELNS1_3gpuE3ELNS1_3repE0EEENS1_30default_config_static_selectorELNS0_4arch9wavefront6targetE0EEEvSR_
	.globl	_ZN7rocprim17ROCPRIM_400000_NS6detail17trampoline_kernelINS0_14default_configENS1_27lower_bound_config_selectorIsN6thrust23THRUST_200600_302600_NS6detail10any_assignEEEZNS1_14transform_implILb0ES3_S9_NS7_15normal_iteratorINS6_10device_ptrIsEEEENS6_16discard_iteratorINS6_11use_defaultEEEZNS1_13binary_searchIS3_S9_SE_SE_SH_NS1_21lower_bound_search_opENS7_16wrapped_functionINS0_4lessIvEEbEEEE10hipError_tPvRmT1_T2_T3_mmT4_T5_P12ihipStream_tbEUlRKsE_EESO_SS_ST_mSU_SX_bEUlT_E_NS1_11comp_targetILNS1_3genE9ELNS1_11target_archE1100ELNS1_3gpuE3ELNS1_3repE0EEENS1_30default_config_static_selectorELNS0_4arch9wavefront6targetE0EEEvSR_
	.p2align	8
	.type	_ZN7rocprim17ROCPRIM_400000_NS6detail17trampoline_kernelINS0_14default_configENS1_27lower_bound_config_selectorIsN6thrust23THRUST_200600_302600_NS6detail10any_assignEEEZNS1_14transform_implILb0ES3_S9_NS7_15normal_iteratorINS6_10device_ptrIsEEEENS6_16discard_iteratorINS6_11use_defaultEEEZNS1_13binary_searchIS3_S9_SE_SE_SH_NS1_21lower_bound_search_opENS7_16wrapped_functionINS0_4lessIvEEbEEEE10hipError_tPvRmT1_T2_T3_mmT4_T5_P12ihipStream_tbEUlRKsE_EESO_SS_ST_mSU_SX_bEUlT_E_NS1_11comp_targetILNS1_3genE9ELNS1_11target_archE1100ELNS1_3gpuE3ELNS1_3repE0EEENS1_30default_config_static_selectorELNS0_4arch9wavefront6targetE0EEEvSR_,@function
_ZN7rocprim17ROCPRIM_400000_NS6detail17trampoline_kernelINS0_14default_configENS1_27lower_bound_config_selectorIsN6thrust23THRUST_200600_302600_NS6detail10any_assignEEEZNS1_14transform_implILb0ES3_S9_NS7_15normal_iteratorINS6_10device_ptrIsEEEENS6_16discard_iteratorINS6_11use_defaultEEEZNS1_13binary_searchIS3_S9_SE_SE_SH_NS1_21lower_bound_search_opENS7_16wrapped_functionINS0_4lessIvEEbEEEE10hipError_tPvRmT1_T2_T3_mmT4_T5_P12ihipStream_tbEUlRKsE_EESO_SS_ST_mSU_SX_bEUlT_E_NS1_11comp_targetILNS1_3genE9ELNS1_11target_archE1100ELNS1_3gpuE3ELNS1_3repE0EEENS1_30default_config_static_selectorELNS0_4arch9wavefront6targetE0EEEvSR_: ; @_ZN7rocprim17ROCPRIM_400000_NS6detail17trampoline_kernelINS0_14default_configENS1_27lower_bound_config_selectorIsN6thrust23THRUST_200600_302600_NS6detail10any_assignEEEZNS1_14transform_implILb0ES3_S9_NS7_15normal_iteratorINS6_10device_ptrIsEEEENS6_16discard_iteratorINS6_11use_defaultEEEZNS1_13binary_searchIS3_S9_SE_SE_SH_NS1_21lower_bound_search_opENS7_16wrapped_functionINS0_4lessIvEEbEEEE10hipError_tPvRmT1_T2_T3_mmT4_T5_P12ihipStream_tbEUlRKsE_EESO_SS_ST_mSU_SX_bEUlT_E_NS1_11comp_targetILNS1_3genE9ELNS1_11target_archE1100ELNS1_3gpuE3ELNS1_3repE0EEENS1_30default_config_static_selectorELNS0_4arch9wavefront6targetE0EEEvSR_
; %bb.0:
	s_endpgm
	.section	.rodata,"a",@progbits
	.p2align	6, 0x0
	.amdhsa_kernel _ZN7rocprim17ROCPRIM_400000_NS6detail17trampoline_kernelINS0_14default_configENS1_27lower_bound_config_selectorIsN6thrust23THRUST_200600_302600_NS6detail10any_assignEEEZNS1_14transform_implILb0ES3_S9_NS7_15normal_iteratorINS6_10device_ptrIsEEEENS6_16discard_iteratorINS6_11use_defaultEEEZNS1_13binary_searchIS3_S9_SE_SE_SH_NS1_21lower_bound_search_opENS7_16wrapped_functionINS0_4lessIvEEbEEEE10hipError_tPvRmT1_T2_T3_mmT4_T5_P12ihipStream_tbEUlRKsE_EESO_SS_ST_mSU_SX_bEUlT_E_NS1_11comp_targetILNS1_3genE9ELNS1_11target_archE1100ELNS1_3gpuE3ELNS1_3repE0EEENS1_30default_config_static_selectorELNS0_4arch9wavefront6targetE0EEEvSR_
		.amdhsa_group_segment_fixed_size 0
		.amdhsa_private_segment_fixed_size 0
		.amdhsa_kernarg_size 64
		.amdhsa_user_sgpr_count 15
		.amdhsa_user_sgpr_dispatch_ptr 0
		.amdhsa_user_sgpr_queue_ptr 0
		.amdhsa_user_sgpr_kernarg_segment_ptr 1
		.amdhsa_user_sgpr_dispatch_id 0
		.amdhsa_user_sgpr_private_segment_size 0
		.amdhsa_wavefront_size32 1
		.amdhsa_uses_dynamic_stack 0
		.amdhsa_enable_private_segment 0
		.amdhsa_system_sgpr_workgroup_id_x 1
		.amdhsa_system_sgpr_workgroup_id_y 0
		.amdhsa_system_sgpr_workgroup_id_z 0
		.amdhsa_system_sgpr_workgroup_info 0
		.amdhsa_system_vgpr_workitem_id 0
		.amdhsa_next_free_vgpr 1
		.amdhsa_next_free_sgpr 1
		.amdhsa_reserve_vcc 0
		.amdhsa_float_round_mode_32 0
		.amdhsa_float_round_mode_16_64 0
		.amdhsa_float_denorm_mode_32 3
		.amdhsa_float_denorm_mode_16_64 3
		.amdhsa_dx10_clamp 1
		.amdhsa_ieee_mode 1
		.amdhsa_fp16_overflow 0
		.amdhsa_workgroup_processor_mode 1
		.amdhsa_memory_ordered 1
		.amdhsa_forward_progress 0
		.amdhsa_shared_vgpr_count 0
		.amdhsa_exception_fp_ieee_invalid_op 0
		.amdhsa_exception_fp_denorm_src 0
		.amdhsa_exception_fp_ieee_div_zero 0
		.amdhsa_exception_fp_ieee_overflow 0
		.amdhsa_exception_fp_ieee_underflow 0
		.amdhsa_exception_fp_ieee_inexact 0
		.amdhsa_exception_int_div_zero 0
	.end_amdhsa_kernel
	.section	.text._ZN7rocprim17ROCPRIM_400000_NS6detail17trampoline_kernelINS0_14default_configENS1_27lower_bound_config_selectorIsN6thrust23THRUST_200600_302600_NS6detail10any_assignEEEZNS1_14transform_implILb0ES3_S9_NS7_15normal_iteratorINS6_10device_ptrIsEEEENS6_16discard_iteratorINS6_11use_defaultEEEZNS1_13binary_searchIS3_S9_SE_SE_SH_NS1_21lower_bound_search_opENS7_16wrapped_functionINS0_4lessIvEEbEEEE10hipError_tPvRmT1_T2_T3_mmT4_T5_P12ihipStream_tbEUlRKsE_EESO_SS_ST_mSU_SX_bEUlT_E_NS1_11comp_targetILNS1_3genE9ELNS1_11target_archE1100ELNS1_3gpuE3ELNS1_3repE0EEENS1_30default_config_static_selectorELNS0_4arch9wavefront6targetE0EEEvSR_,"axG",@progbits,_ZN7rocprim17ROCPRIM_400000_NS6detail17trampoline_kernelINS0_14default_configENS1_27lower_bound_config_selectorIsN6thrust23THRUST_200600_302600_NS6detail10any_assignEEEZNS1_14transform_implILb0ES3_S9_NS7_15normal_iteratorINS6_10device_ptrIsEEEENS6_16discard_iteratorINS6_11use_defaultEEEZNS1_13binary_searchIS3_S9_SE_SE_SH_NS1_21lower_bound_search_opENS7_16wrapped_functionINS0_4lessIvEEbEEEE10hipError_tPvRmT1_T2_T3_mmT4_T5_P12ihipStream_tbEUlRKsE_EESO_SS_ST_mSU_SX_bEUlT_E_NS1_11comp_targetILNS1_3genE9ELNS1_11target_archE1100ELNS1_3gpuE3ELNS1_3repE0EEENS1_30default_config_static_selectorELNS0_4arch9wavefront6targetE0EEEvSR_,comdat
.Lfunc_end571:
	.size	_ZN7rocprim17ROCPRIM_400000_NS6detail17trampoline_kernelINS0_14default_configENS1_27lower_bound_config_selectorIsN6thrust23THRUST_200600_302600_NS6detail10any_assignEEEZNS1_14transform_implILb0ES3_S9_NS7_15normal_iteratorINS6_10device_ptrIsEEEENS6_16discard_iteratorINS6_11use_defaultEEEZNS1_13binary_searchIS3_S9_SE_SE_SH_NS1_21lower_bound_search_opENS7_16wrapped_functionINS0_4lessIvEEbEEEE10hipError_tPvRmT1_T2_T3_mmT4_T5_P12ihipStream_tbEUlRKsE_EESO_SS_ST_mSU_SX_bEUlT_E_NS1_11comp_targetILNS1_3genE9ELNS1_11target_archE1100ELNS1_3gpuE3ELNS1_3repE0EEENS1_30default_config_static_selectorELNS0_4arch9wavefront6targetE0EEEvSR_, .Lfunc_end571-_ZN7rocprim17ROCPRIM_400000_NS6detail17trampoline_kernelINS0_14default_configENS1_27lower_bound_config_selectorIsN6thrust23THRUST_200600_302600_NS6detail10any_assignEEEZNS1_14transform_implILb0ES3_S9_NS7_15normal_iteratorINS6_10device_ptrIsEEEENS6_16discard_iteratorINS6_11use_defaultEEEZNS1_13binary_searchIS3_S9_SE_SE_SH_NS1_21lower_bound_search_opENS7_16wrapped_functionINS0_4lessIvEEbEEEE10hipError_tPvRmT1_T2_T3_mmT4_T5_P12ihipStream_tbEUlRKsE_EESO_SS_ST_mSU_SX_bEUlT_E_NS1_11comp_targetILNS1_3genE9ELNS1_11target_archE1100ELNS1_3gpuE3ELNS1_3repE0EEENS1_30default_config_static_selectorELNS0_4arch9wavefront6targetE0EEEvSR_
                                        ; -- End function
	.section	.AMDGPU.csdata,"",@progbits
; Kernel info:
; codeLenInByte = 4
; NumSgprs: 0
; NumVgprs: 0
; ScratchSize: 0
; MemoryBound: 0
; FloatMode: 240
; IeeeMode: 1
; LDSByteSize: 0 bytes/workgroup (compile time only)
; SGPRBlocks: 0
; VGPRBlocks: 0
; NumSGPRsForWavesPerEU: 1
; NumVGPRsForWavesPerEU: 1
; Occupancy: 16
; WaveLimiterHint : 0
; COMPUTE_PGM_RSRC2:SCRATCH_EN: 0
; COMPUTE_PGM_RSRC2:USER_SGPR: 15
; COMPUTE_PGM_RSRC2:TRAP_HANDLER: 0
; COMPUTE_PGM_RSRC2:TGID_X_EN: 1
; COMPUTE_PGM_RSRC2:TGID_Y_EN: 0
; COMPUTE_PGM_RSRC2:TGID_Z_EN: 0
; COMPUTE_PGM_RSRC2:TIDIG_COMP_CNT: 0
	.section	.text._ZN7rocprim17ROCPRIM_400000_NS6detail17trampoline_kernelINS0_14default_configENS1_27lower_bound_config_selectorIsN6thrust23THRUST_200600_302600_NS6detail10any_assignEEEZNS1_14transform_implILb0ES3_S9_NS7_15normal_iteratorINS6_10device_ptrIsEEEENS6_16discard_iteratorINS6_11use_defaultEEEZNS1_13binary_searchIS3_S9_SE_SE_SH_NS1_21lower_bound_search_opENS7_16wrapped_functionINS0_4lessIvEEbEEEE10hipError_tPvRmT1_T2_T3_mmT4_T5_P12ihipStream_tbEUlRKsE_EESO_SS_ST_mSU_SX_bEUlT_E_NS1_11comp_targetILNS1_3genE8ELNS1_11target_archE1030ELNS1_3gpuE2ELNS1_3repE0EEENS1_30default_config_static_selectorELNS0_4arch9wavefront6targetE0EEEvSR_,"axG",@progbits,_ZN7rocprim17ROCPRIM_400000_NS6detail17trampoline_kernelINS0_14default_configENS1_27lower_bound_config_selectorIsN6thrust23THRUST_200600_302600_NS6detail10any_assignEEEZNS1_14transform_implILb0ES3_S9_NS7_15normal_iteratorINS6_10device_ptrIsEEEENS6_16discard_iteratorINS6_11use_defaultEEEZNS1_13binary_searchIS3_S9_SE_SE_SH_NS1_21lower_bound_search_opENS7_16wrapped_functionINS0_4lessIvEEbEEEE10hipError_tPvRmT1_T2_T3_mmT4_T5_P12ihipStream_tbEUlRKsE_EESO_SS_ST_mSU_SX_bEUlT_E_NS1_11comp_targetILNS1_3genE8ELNS1_11target_archE1030ELNS1_3gpuE2ELNS1_3repE0EEENS1_30default_config_static_selectorELNS0_4arch9wavefront6targetE0EEEvSR_,comdat
	.protected	_ZN7rocprim17ROCPRIM_400000_NS6detail17trampoline_kernelINS0_14default_configENS1_27lower_bound_config_selectorIsN6thrust23THRUST_200600_302600_NS6detail10any_assignEEEZNS1_14transform_implILb0ES3_S9_NS7_15normal_iteratorINS6_10device_ptrIsEEEENS6_16discard_iteratorINS6_11use_defaultEEEZNS1_13binary_searchIS3_S9_SE_SE_SH_NS1_21lower_bound_search_opENS7_16wrapped_functionINS0_4lessIvEEbEEEE10hipError_tPvRmT1_T2_T3_mmT4_T5_P12ihipStream_tbEUlRKsE_EESO_SS_ST_mSU_SX_bEUlT_E_NS1_11comp_targetILNS1_3genE8ELNS1_11target_archE1030ELNS1_3gpuE2ELNS1_3repE0EEENS1_30default_config_static_selectorELNS0_4arch9wavefront6targetE0EEEvSR_ ; -- Begin function _ZN7rocprim17ROCPRIM_400000_NS6detail17trampoline_kernelINS0_14default_configENS1_27lower_bound_config_selectorIsN6thrust23THRUST_200600_302600_NS6detail10any_assignEEEZNS1_14transform_implILb0ES3_S9_NS7_15normal_iteratorINS6_10device_ptrIsEEEENS6_16discard_iteratorINS6_11use_defaultEEEZNS1_13binary_searchIS3_S9_SE_SE_SH_NS1_21lower_bound_search_opENS7_16wrapped_functionINS0_4lessIvEEbEEEE10hipError_tPvRmT1_T2_T3_mmT4_T5_P12ihipStream_tbEUlRKsE_EESO_SS_ST_mSU_SX_bEUlT_E_NS1_11comp_targetILNS1_3genE8ELNS1_11target_archE1030ELNS1_3gpuE2ELNS1_3repE0EEENS1_30default_config_static_selectorELNS0_4arch9wavefront6targetE0EEEvSR_
	.globl	_ZN7rocprim17ROCPRIM_400000_NS6detail17trampoline_kernelINS0_14default_configENS1_27lower_bound_config_selectorIsN6thrust23THRUST_200600_302600_NS6detail10any_assignEEEZNS1_14transform_implILb0ES3_S9_NS7_15normal_iteratorINS6_10device_ptrIsEEEENS6_16discard_iteratorINS6_11use_defaultEEEZNS1_13binary_searchIS3_S9_SE_SE_SH_NS1_21lower_bound_search_opENS7_16wrapped_functionINS0_4lessIvEEbEEEE10hipError_tPvRmT1_T2_T3_mmT4_T5_P12ihipStream_tbEUlRKsE_EESO_SS_ST_mSU_SX_bEUlT_E_NS1_11comp_targetILNS1_3genE8ELNS1_11target_archE1030ELNS1_3gpuE2ELNS1_3repE0EEENS1_30default_config_static_selectorELNS0_4arch9wavefront6targetE0EEEvSR_
	.p2align	8
	.type	_ZN7rocprim17ROCPRIM_400000_NS6detail17trampoline_kernelINS0_14default_configENS1_27lower_bound_config_selectorIsN6thrust23THRUST_200600_302600_NS6detail10any_assignEEEZNS1_14transform_implILb0ES3_S9_NS7_15normal_iteratorINS6_10device_ptrIsEEEENS6_16discard_iteratorINS6_11use_defaultEEEZNS1_13binary_searchIS3_S9_SE_SE_SH_NS1_21lower_bound_search_opENS7_16wrapped_functionINS0_4lessIvEEbEEEE10hipError_tPvRmT1_T2_T3_mmT4_T5_P12ihipStream_tbEUlRKsE_EESO_SS_ST_mSU_SX_bEUlT_E_NS1_11comp_targetILNS1_3genE8ELNS1_11target_archE1030ELNS1_3gpuE2ELNS1_3repE0EEENS1_30default_config_static_selectorELNS0_4arch9wavefront6targetE0EEEvSR_,@function
_ZN7rocprim17ROCPRIM_400000_NS6detail17trampoline_kernelINS0_14default_configENS1_27lower_bound_config_selectorIsN6thrust23THRUST_200600_302600_NS6detail10any_assignEEEZNS1_14transform_implILb0ES3_S9_NS7_15normal_iteratorINS6_10device_ptrIsEEEENS6_16discard_iteratorINS6_11use_defaultEEEZNS1_13binary_searchIS3_S9_SE_SE_SH_NS1_21lower_bound_search_opENS7_16wrapped_functionINS0_4lessIvEEbEEEE10hipError_tPvRmT1_T2_T3_mmT4_T5_P12ihipStream_tbEUlRKsE_EESO_SS_ST_mSU_SX_bEUlT_E_NS1_11comp_targetILNS1_3genE8ELNS1_11target_archE1030ELNS1_3gpuE2ELNS1_3repE0EEENS1_30default_config_static_selectorELNS0_4arch9wavefront6targetE0EEEvSR_: ; @_ZN7rocprim17ROCPRIM_400000_NS6detail17trampoline_kernelINS0_14default_configENS1_27lower_bound_config_selectorIsN6thrust23THRUST_200600_302600_NS6detail10any_assignEEEZNS1_14transform_implILb0ES3_S9_NS7_15normal_iteratorINS6_10device_ptrIsEEEENS6_16discard_iteratorINS6_11use_defaultEEEZNS1_13binary_searchIS3_S9_SE_SE_SH_NS1_21lower_bound_search_opENS7_16wrapped_functionINS0_4lessIvEEbEEEE10hipError_tPvRmT1_T2_T3_mmT4_T5_P12ihipStream_tbEUlRKsE_EESO_SS_ST_mSU_SX_bEUlT_E_NS1_11comp_targetILNS1_3genE8ELNS1_11target_archE1030ELNS1_3gpuE2ELNS1_3repE0EEENS1_30default_config_static_selectorELNS0_4arch9wavefront6targetE0EEEvSR_
; %bb.0:
	.section	.rodata,"a",@progbits
	.p2align	6, 0x0
	.amdhsa_kernel _ZN7rocprim17ROCPRIM_400000_NS6detail17trampoline_kernelINS0_14default_configENS1_27lower_bound_config_selectorIsN6thrust23THRUST_200600_302600_NS6detail10any_assignEEEZNS1_14transform_implILb0ES3_S9_NS7_15normal_iteratorINS6_10device_ptrIsEEEENS6_16discard_iteratorINS6_11use_defaultEEEZNS1_13binary_searchIS3_S9_SE_SE_SH_NS1_21lower_bound_search_opENS7_16wrapped_functionINS0_4lessIvEEbEEEE10hipError_tPvRmT1_T2_T3_mmT4_T5_P12ihipStream_tbEUlRKsE_EESO_SS_ST_mSU_SX_bEUlT_E_NS1_11comp_targetILNS1_3genE8ELNS1_11target_archE1030ELNS1_3gpuE2ELNS1_3repE0EEENS1_30default_config_static_selectorELNS0_4arch9wavefront6targetE0EEEvSR_
		.amdhsa_group_segment_fixed_size 0
		.amdhsa_private_segment_fixed_size 0
		.amdhsa_kernarg_size 64
		.amdhsa_user_sgpr_count 15
		.amdhsa_user_sgpr_dispatch_ptr 0
		.amdhsa_user_sgpr_queue_ptr 0
		.amdhsa_user_sgpr_kernarg_segment_ptr 1
		.amdhsa_user_sgpr_dispatch_id 0
		.amdhsa_user_sgpr_private_segment_size 0
		.amdhsa_wavefront_size32 1
		.amdhsa_uses_dynamic_stack 0
		.amdhsa_enable_private_segment 0
		.amdhsa_system_sgpr_workgroup_id_x 1
		.amdhsa_system_sgpr_workgroup_id_y 0
		.amdhsa_system_sgpr_workgroup_id_z 0
		.amdhsa_system_sgpr_workgroup_info 0
		.amdhsa_system_vgpr_workitem_id 0
		.amdhsa_next_free_vgpr 1
		.amdhsa_next_free_sgpr 1
		.amdhsa_reserve_vcc 0
		.amdhsa_float_round_mode_32 0
		.amdhsa_float_round_mode_16_64 0
		.amdhsa_float_denorm_mode_32 3
		.amdhsa_float_denorm_mode_16_64 3
		.amdhsa_dx10_clamp 1
		.amdhsa_ieee_mode 1
		.amdhsa_fp16_overflow 0
		.amdhsa_workgroup_processor_mode 1
		.amdhsa_memory_ordered 1
		.amdhsa_forward_progress 0
		.amdhsa_shared_vgpr_count 0
		.amdhsa_exception_fp_ieee_invalid_op 0
		.amdhsa_exception_fp_denorm_src 0
		.amdhsa_exception_fp_ieee_div_zero 0
		.amdhsa_exception_fp_ieee_overflow 0
		.amdhsa_exception_fp_ieee_underflow 0
		.amdhsa_exception_fp_ieee_inexact 0
		.amdhsa_exception_int_div_zero 0
	.end_amdhsa_kernel
	.section	.text._ZN7rocprim17ROCPRIM_400000_NS6detail17trampoline_kernelINS0_14default_configENS1_27lower_bound_config_selectorIsN6thrust23THRUST_200600_302600_NS6detail10any_assignEEEZNS1_14transform_implILb0ES3_S9_NS7_15normal_iteratorINS6_10device_ptrIsEEEENS6_16discard_iteratorINS6_11use_defaultEEEZNS1_13binary_searchIS3_S9_SE_SE_SH_NS1_21lower_bound_search_opENS7_16wrapped_functionINS0_4lessIvEEbEEEE10hipError_tPvRmT1_T2_T3_mmT4_T5_P12ihipStream_tbEUlRKsE_EESO_SS_ST_mSU_SX_bEUlT_E_NS1_11comp_targetILNS1_3genE8ELNS1_11target_archE1030ELNS1_3gpuE2ELNS1_3repE0EEENS1_30default_config_static_selectorELNS0_4arch9wavefront6targetE0EEEvSR_,"axG",@progbits,_ZN7rocprim17ROCPRIM_400000_NS6detail17trampoline_kernelINS0_14default_configENS1_27lower_bound_config_selectorIsN6thrust23THRUST_200600_302600_NS6detail10any_assignEEEZNS1_14transform_implILb0ES3_S9_NS7_15normal_iteratorINS6_10device_ptrIsEEEENS6_16discard_iteratorINS6_11use_defaultEEEZNS1_13binary_searchIS3_S9_SE_SE_SH_NS1_21lower_bound_search_opENS7_16wrapped_functionINS0_4lessIvEEbEEEE10hipError_tPvRmT1_T2_T3_mmT4_T5_P12ihipStream_tbEUlRKsE_EESO_SS_ST_mSU_SX_bEUlT_E_NS1_11comp_targetILNS1_3genE8ELNS1_11target_archE1030ELNS1_3gpuE2ELNS1_3repE0EEENS1_30default_config_static_selectorELNS0_4arch9wavefront6targetE0EEEvSR_,comdat
.Lfunc_end572:
	.size	_ZN7rocprim17ROCPRIM_400000_NS6detail17trampoline_kernelINS0_14default_configENS1_27lower_bound_config_selectorIsN6thrust23THRUST_200600_302600_NS6detail10any_assignEEEZNS1_14transform_implILb0ES3_S9_NS7_15normal_iteratorINS6_10device_ptrIsEEEENS6_16discard_iteratorINS6_11use_defaultEEEZNS1_13binary_searchIS3_S9_SE_SE_SH_NS1_21lower_bound_search_opENS7_16wrapped_functionINS0_4lessIvEEbEEEE10hipError_tPvRmT1_T2_T3_mmT4_T5_P12ihipStream_tbEUlRKsE_EESO_SS_ST_mSU_SX_bEUlT_E_NS1_11comp_targetILNS1_3genE8ELNS1_11target_archE1030ELNS1_3gpuE2ELNS1_3repE0EEENS1_30default_config_static_selectorELNS0_4arch9wavefront6targetE0EEEvSR_, .Lfunc_end572-_ZN7rocprim17ROCPRIM_400000_NS6detail17trampoline_kernelINS0_14default_configENS1_27lower_bound_config_selectorIsN6thrust23THRUST_200600_302600_NS6detail10any_assignEEEZNS1_14transform_implILb0ES3_S9_NS7_15normal_iteratorINS6_10device_ptrIsEEEENS6_16discard_iteratorINS6_11use_defaultEEEZNS1_13binary_searchIS3_S9_SE_SE_SH_NS1_21lower_bound_search_opENS7_16wrapped_functionINS0_4lessIvEEbEEEE10hipError_tPvRmT1_T2_T3_mmT4_T5_P12ihipStream_tbEUlRKsE_EESO_SS_ST_mSU_SX_bEUlT_E_NS1_11comp_targetILNS1_3genE8ELNS1_11target_archE1030ELNS1_3gpuE2ELNS1_3repE0EEENS1_30default_config_static_selectorELNS0_4arch9wavefront6targetE0EEEvSR_
                                        ; -- End function
	.section	.AMDGPU.csdata,"",@progbits
; Kernel info:
; codeLenInByte = 0
; NumSgprs: 0
; NumVgprs: 0
; ScratchSize: 0
; MemoryBound: 0
; FloatMode: 240
; IeeeMode: 1
; LDSByteSize: 0 bytes/workgroup (compile time only)
; SGPRBlocks: 0
; VGPRBlocks: 0
; NumSGPRsForWavesPerEU: 1
; NumVGPRsForWavesPerEU: 1
; Occupancy: 16
; WaveLimiterHint : 0
; COMPUTE_PGM_RSRC2:SCRATCH_EN: 0
; COMPUTE_PGM_RSRC2:USER_SGPR: 15
; COMPUTE_PGM_RSRC2:TRAP_HANDLER: 0
; COMPUTE_PGM_RSRC2:TGID_X_EN: 1
; COMPUTE_PGM_RSRC2:TGID_Y_EN: 0
; COMPUTE_PGM_RSRC2:TGID_Z_EN: 0
; COMPUTE_PGM_RSRC2:TIDIG_COMP_CNT: 0
	.section	.text._ZN7rocprim17ROCPRIM_400000_NS6detail17trampoline_kernelINS0_14default_configENS1_27upper_bound_config_selectorIxN6thrust23THRUST_200600_302600_NS6detail10any_assignEEEZNS1_14transform_implILb0ES3_S9_NS7_15normal_iteratorINS6_10device_ptrIxEEEENS6_16discard_iteratorINS6_11use_defaultEEEZNS1_13binary_searchIS3_S9_SE_SE_SH_NS1_21upper_bound_search_opENS7_16wrapped_functionINS0_4lessIvEEbEEEE10hipError_tPvRmT1_T2_T3_mmT4_T5_P12ihipStream_tbEUlRKxE_EESO_SS_ST_mSU_SX_bEUlT_E_NS1_11comp_targetILNS1_3genE0ELNS1_11target_archE4294967295ELNS1_3gpuE0ELNS1_3repE0EEENS1_30default_config_static_selectorELNS0_4arch9wavefront6targetE0EEEvSR_,"axG",@progbits,_ZN7rocprim17ROCPRIM_400000_NS6detail17trampoline_kernelINS0_14default_configENS1_27upper_bound_config_selectorIxN6thrust23THRUST_200600_302600_NS6detail10any_assignEEEZNS1_14transform_implILb0ES3_S9_NS7_15normal_iteratorINS6_10device_ptrIxEEEENS6_16discard_iteratorINS6_11use_defaultEEEZNS1_13binary_searchIS3_S9_SE_SE_SH_NS1_21upper_bound_search_opENS7_16wrapped_functionINS0_4lessIvEEbEEEE10hipError_tPvRmT1_T2_T3_mmT4_T5_P12ihipStream_tbEUlRKxE_EESO_SS_ST_mSU_SX_bEUlT_E_NS1_11comp_targetILNS1_3genE0ELNS1_11target_archE4294967295ELNS1_3gpuE0ELNS1_3repE0EEENS1_30default_config_static_selectorELNS0_4arch9wavefront6targetE0EEEvSR_,comdat
	.protected	_ZN7rocprim17ROCPRIM_400000_NS6detail17trampoline_kernelINS0_14default_configENS1_27upper_bound_config_selectorIxN6thrust23THRUST_200600_302600_NS6detail10any_assignEEEZNS1_14transform_implILb0ES3_S9_NS7_15normal_iteratorINS6_10device_ptrIxEEEENS6_16discard_iteratorINS6_11use_defaultEEEZNS1_13binary_searchIS3_S9_SE_SE_SH_NS1_21upper_bound_search_opENS7_16wrapped_functionINS0_4lessIvEEbEEEE10hipError_tPvRmT1_T2_T3_mmT4_T5_P12ihipStream_tbEUlRKxE_EESO_SS_ST_mSU_SX_bEUlT_E_NS1_11comp_targetILNS1_3genE0ELNS1_11target_archE4294967295ELNS1_3gpuE0ELNS1_3repE0EEENS1_30default_config_static_selectorELNS0_4arch9wavefront6targetE0EEEvSR_ ; -- Begin function _ZN7rocprim17ROCPRIM_400000_NS6detail17trampoline_kernelINS0_14default_configENS1_27upper_bound_config_selectorIxN6thrust23THRUST_200600_302600_NS6detail10any_assignEEEZNS1_14transform_implILb0ES3_S9_NS7_15normal_iteratorINS6_10device_ptrIxEEEENS6_16discard_iteratorINS6_11use_defaultEEEZNS1_13binary_searchIS3_S9_SE_SE_SH_NS1_21upper_bound_search_opENS7_16wrapped_functionINS0_4lessIvEEbEEEE10hipError_tPvRmT1_T2_T3_mmT4_T5_P12ihipStream_tbEUlRKxE_EESO_SS_ST_mSU_SX_bEUlT_E_NS1_11comp_targetILNS1_3genE0ELNS1_11target_archE4294967295ELNS1_3gpuE0ELNS1_3repE0EEENS1_30default_config_static_selectorELNS0_4arch9wavefront6targetE0EEEvSR_
	.globl	_ZN7rocprim17ROCPRIM_400000_NS6detail17trampoline_kernelINS0_14default_configENS1_27upper_bound_config_selectorIxN6thrust23THRUST_200600_302600_NS6detail10any_assignEEEZNS1_14transform_implILb0ES3_S9_NS7_15normal_iteratorINS6_10device_ptrIxEEEENS6_16discard_iteratorINS6_11use_defaultEEEZNS1_13binary_searchIS3_S9_SE_SE_SH_NS1_21upper_bound_search_opENS7_16wrapped_functionINS0_4lessIvEEbEEEE10hipError_tPvRmT1_T2_T3_mmT4_T5_P12ihipStream_tbEUlRKxE_EESO_SS_ST_mSU_SX_bEUlT_E_NS1_11comp_targetILNS1_3genE0ELNS1_11target_archE4294967295ELNS1_3gpuE0ELNS1_3repE0EEENS1_30default_config_static_selectorELNS0_4arch9wavefront6targetE0EEEvSR_
	.p2align	8
	.type	_ZN7rocprim17ROCPRIM_400000_NS6detail17trampoline_kernelINS0_14default_configENS1_27upper_bound_config_selectorIxN6thrust23THRUST_200600_302600_NS6detail10any_assignEEEZNS1_14transform_implILb0ES3_S9_NS7_15normal_iteratorINS6_10device_ptrIxEEEENS6_16discard_iteratorINS6_11use_defaultEEEZNS1_13binary_searchIS3_S9_SE_SE_SH_NS1_21upper_bound_search_opENS7_16wrapped_functionINS0_4lessIvEEbEEEE10hipError_tPvRmT1_T2_T3_mmT4_T5_P12ihipStream_tbEUlRKxE_EESO_SS_ST_mSU_SX_bEUlT_E_NS1_11comp_targetILNS1_3genE0ELNS1_11target_archE4294967295ELNS1_3gpuE0ELNS1_3repE0EEENS1_30default_config_static_selectorELNS0_4arch9wavefront6targetE0EEEvSR_,@function
_ZN7rocprim17ROCPRIM_400000_NS6detail17trampoline_kernelINS0_14default_configENS1_27upper_bound_config_selectorIxN6thrust23THRUST_200600_302600_NS6detail10any_assignEEEZNS1_14transform_implILb0ES3_S9_NS7_15normal_iteratorINS6_10device_ptrIxEEEENS6_16discard_iteratorINS6_11use_defaultEEEZNS1_13binary_searchIS3_S9_SE_SE_SH_NS1_21upper_bound_search_opENS7_16wrapped_functionINS0_4lessIvEEbEEEE10hipError_tPvRmT1_T2_T3_mmT4_T5_P12ihipStream_tbEUlRKxE_EESO_SS_ST_mSU_SX_bEUlT_E_NS1_11comp_targetILNS1_3genE0ELNS1_11target_archE4294967295ELNS1_3gpuE0ELNS1_3repE0EEENS1_30default_config_static_selectorELNS0_4arch9wavefront6targetE0EEEvSR_: ; @_ZN7rocprim17ROCPRIM_400000_NS6detail17trampoline_kernelINS0_14default_configENS1_27upper_bound_config_selectorIxN6thrust23THRUST_200600_302600_NS6detail10any_assignEEEZNS1_14transform_implILb0ES3_S9_NS7_15normal_iteratorINS6_10device_ptrIxEEEENS6_16discard_iteratorINS6_11use_defaultEEEZNS1_13binary_searchIS3_S9_SE_SE_SH_NS1_21upper_bound_search_opENS7_16wrapped_functionINS0_4lessIvEEbEEEE10hipError_tPvRmT1_T2_T3_mmT4_T5_P12ihipStream_tbEUlRKxE_EESO_SS_ST_mSU_SX_bEUlT_E_NS1_11comp_targetILNS1_3genE0ELNS1_11target_archE4294967295ELNS1_3gpuE0ELNS1_3repE0EEENS1_30default_config_static_selectorELNS0_4arch9wavefront6targetE0EEEvSR_
; %bb.0:
	.section	.rodata,"a",@progbits
	.p2align	6, 0x0
	.amdhsa_kernel _ZN7rocprim17ROCPRIM_400000_NS6detail17trampoline_kernelINS0_14default_configENS1_27upper_bound_config_selectorIxN6thrust23THRUST_200600_302600_NS6detail10any_assignEEEZNS1_14transform_implILb0ES3_S9_NS7_15normal_iteratorINS6_10device_ptrIxEEEENS6_16discard_iteratorINS6_11use_defaultEEEZNS1_13binary_searchIS3_S9_SE_SE_SH_NS1_21upper_bound_search_opENS7_16wrapped_functionINS0_4lessIvEEbEEEE10hipError_tPvRmT1_T2_T3_mmT4_T5_P12ihipStream_tbEUlRKxE_EESO_SS_ST_mSU_SX_bEUlT_E_NS1_11comp_targetILNS1_3genE0ELNS1_11target_archE4294967295ELNS1_3gpuE0ELNS1_3repE0EEENS1_30default_config_static_selectorELNS0_4arch9wavefront6targetE0EEEvSR_
		.amdhsa_group_segment_fixed_size 0
		.amdhsa_private_segment_fixed_size 0
		.amdhsa_kernarg_size 64
		.amdhsa_user_sgpr_count 15
		.amdhsa_user_sgpr_dispatch_ptr 0
		.amdhsa_user_sgpr_queue_ptr 0
		.amdhsa_user_sgpr_kernarg_segment_ptr 1
		.amdhsa_user_sgpr_dispatch_id 0
		.amdhsa_user_sgpr_private_segment_size 0
		.amdhsa_wavefront_size32 1
		.amdhsa_uses_dynamic_stack 0
		.amdhsa_enable_private_segment 0
		.amdhsa_system_sgpr_workgroup_id_x 1
		.amdhsa_system_sgpr_workgroup_id_y 0
		.amdhsa_system_sgpr_workgroup_id_z 0
		.amdhsa_system_sgpr_workgroup_info 0
		.amdhsa_system_vgpr_workitem_id 0
		.amdhsa_next_free_vgpr 1
		.amdhsa_next_free_sgpr 1
		.amdhsa_reserve_vcc 0
		.amdhsa_float_round_mode_32 0
		.amdhsa_float_round_mode_16_64 0
		.amdhsa_float_denorm_mode_32 3
		.amdhsa_float_denorm_mode_16_64 3
		.amdhsa_dx10_clamp 1
		.amdhsa_ieee_mode 1
		.amdhsa_fp16_overflow 0
		.amdhsa_workgroup_processor_mode 1
		.amdhsa_memory_ordered 1
		.amdhsa_forward_progress 0
		.amdhsa_shared_vgpr_count 0
		.amdhsa_exception_fp_ieee_invalid_op 0
		.amdhsa_exception_fp_denorm_src 0
		.amdhsa_exception_fp_ieee_div_zero 0
		.amdhsa_exception_fp_ieee_overflow 0
		.amdhsa_exception_fp_ieee_underflow 0
		.amdhsa_exception_fp_ieee_inexact 0
		.amdhsa_exception_int_div_zero 0
	.end_amdhsa_kernel
	.section	.text._ZN7rocprim17ROCPRIM_400000_NS6detail17trampoline_kernelINS0_14default_configENS1_27upper_bound_config_selectorIxN6thrust23THRUST_200600_302600_NS6detail10any_assignEEEZNS1_14transform_implILb0ES3_S9_NS7_15normal_iteratorINS6_10device_ptrIxEEEENS6_16discard_iteratorINS6_11use_defaultEEEZNS1_13binary_searchIS3_S9_SE_SE_SH_NS1_21upper_bound_search_opENS7_16wrapped_functionINS0_4lessIvEEbEEEE10hipError_tPvRmT1_T2_T3_mmT4_T5_P12ihipStream_tbEUlRKxE_EESO_SS_ST_mSU_SX_bEUlT_E_NS1_11comp_targetILNS1_3genE0ELNS1_11target_archE4294967295ELNS1_3gpuE0ELNS1_3repE0EEENS1_30default_config_static_selectorELNS0_4arch9wavefront6targetE0EEEvSR_,"axG",@progbits,_ZN7rocprim17ROCPRIM_400000_NS6detail17trampoline_kernelINS0_14default_configENS1_27upper_bound_config_selectorIxN6thrust23THRUST_200600_302600_NS6detail10any_assignEEEZNS1_14transform_implILb0ES3_S9_NS7_15normal_iteratorINS6_10device_ptrIxEEEENS6_16discard_iteratorINS6_11use_defaultEEEZNS1_13binary_searchIS3_S9_SE_SE_SH_NS1_21upper_bound_search_opENS7_16wrapped_functionINS0_4lessIvEEbEEEE10hipError_tPvRmT1_T2_T3_mmT4_T5_P12ihipStream_tbEUlRKxE_EESO_SS_ST_mSU_SX_bEUlT_E_NS1_11comp_targetILNS1_3genE0ELNS1_11target_archE4294967295ELNS1_3gpuE0ELNS1_3repE0EEENS1_30default_config_static_selectorELNS0_4arch9wavefront6targetE0EEEvSR_,comdat
.Lfunc_end573:
	.size	_ZN7rocprim17ROCPRIM_400000_NS6detail17trampoline_kernelINS0_14default_configENS1_27upper_bound_config_selectorIxN6thrust23THRUST_200600_302600_NS6detail10any_assignEEEZNS1_14transform_implILb0ES3_S9_NS7_15normal_iteratorINS6_10device_ptrIxEEEENS6_16discard_iteratorINS6_11use_defaultEEEZNS1_13binary_searchIS3_S9_SE_SE_SH_NS1_21upper_bound_search_opENS7_16wrapped_functionINS0_4lessIvEEbEEEE10hipError_tPvRmT1_T2_T3_mmT4_T5_P12ihipStream_tbEUlRKxE_EESO_SS_ST_mSU_SX_bEUlT_E_NS1_11comp_targetILNS1_3genE0ELNS1_11target_archE4294967295ELNS1_3gpuE0ELNS1_3repE0EEENS1_30default_config_static_selectorELNS0_4arch9wavefront6targetE0EEEvSR_, .Lfunc_end573-_ZN7rocprim17ROCPRIM_400000_NS6detail17trampoline_kernelINS0_14default_configENS1_27upper_bound_config_selectorIxN6thrust23THRUST_200600_302600_NS6detail10any_assignEEEZNS1_14transform_implILb0ES3_S9_NS7_15normal_iteratorINS6_10device_ptrIxEEEENS6_16discard_iteratorINS6_11use_defaultEEEZNS1_13binary_searchIS3_S9_SE_SE_SH_NS1_21upper_bound_search_opENS7_16wrapped_functionINS0_4lessIvEEbEEEE10hipError_tPvRmT1_T2_T3_mmT4_T5_P12ihipStream_tbEUlRKxE_EESO_SS_ST_mSU_SX_bEUlT_E_NS1_11comp_targetILNS1_3genE0ELNS1_11target_archE4294967295ELNS1_3gpuE0ELNS1_3repE0EEENS1_30default_config_static_selectorELNS0_4arch9wavefront6targetE0EEEvSR_
                                        ; -- End function
	.section	.AMDGPU.csdata,"",@progbits
; Kernel info:
; codeLenInByte = 0
; NumSgprs: 0
; NumVgprs: 0
; ScratchSize: 0
; MemoryBound: 0
; FloatMode: 240
; IeeeMode: 1
; LDSByteSize: 0 bytes/workgroup (compile time only)
; SGPRBlocks: 0
; VGPRBlocks: 0
; NumSGPRsForWavesPerEU: 1
; NumVGPRsForWavesPerEU: 1
; Occupancy: 16
; WaveLimiterHint : 0
; COMPUTE_PGM_RSRC2:SCRATCH_EN: 0
; COMPUTE_PGM_RSRC2:USER_SGPR: 15
; COMPUTE_PGM_RSRC2:TRAP_HANDLER: 0
; COMPUTE_PGM_RSRC2:TGID_X_EN: 1
; COMPUTE_PGM_RSRC2:TGID_Y_EN: 0
; COMPUTE_PGM_RSRC2:TGID_Z_EN: 0
; COMPUTE_PGM_RSRC2:TIDIG_COMP_CNT: 0
	.section	.text._ZN7rocprim17ROCPRIM_400000_NS6detail17trampoline_kernelINS0_14default_configENS1_27upper_bound_config_selectorIxN6thrust23THRUST_200600_302600_NS6detail10any_assignEEEZNS1_14transform_implILb0ES3_S9_NS7_15normal_iteratorINS6_10device_ptrIxEEEENS6_16discard_iteratorINS6_11use_defaultEEEZNS1_13binary_searchIS3_S9_SE_SE_SH_NS1_21upper_bound_search_opENS7_16wrapped_functionINS0_4lessIvEEbEEEE10hipError_tPvRmT1_T2_T3_mmT4_T5_P12ihipStream_tbEUlRKxE_EESO_SS_ST_mSU_SX_bEUlT_E_NS1_11comp_targetILNS1_3genE5ELNS1_11target_archE942ELNS1_3gpuE9ELNS1_3repE0EEENS1_30default_config_static_selectorELNS0_4arch9wavefront6targetE0EEEvSR_,"axG",@progbits,_ZN7rocprim17ROCPRIM_400000_NS6detail17trampoline_kernelINS0_14default_configENS1_27upper_bound_config_selectorIxN6thrust23THRUST_200600_302600_NS6detail10any_assignEEEZNS1_14transform_implILb0ES3_S9_NS7_15normal_iteratorINS6_10device_ptrIxEEEENS6_16discard_iteratorINS6_11use_defaultEEEZNS1_13binary_searchIS3_S9_SE_SE_SH_NS1_21upper_bound_search_opENS7_16wrapped_functionINS0_4lessIvEEbEEEE10hipError_tPvRmT1_T2_T3_mmT4_T5_P12ihipStream_tbEUlRKxE_EESO_SS_ST_mSU_SX_bEUlT_E_NS1_11comp_targetILNS1_3genE5ELNS1_11target_archE942ELNS1_3gpuE9ELNS1_3repE0EEENS1_30default_config_static_selectorELNS0_4arch9wavefront6targetE0EEEvSR_,comdat
	.protected	_ZN7rocprim17ROCPRIM_400000_NS6detail17trampoline_kernelINS0_14default_configENS1_27upper_bound_config_selectorIxN6thrust23THRUST_200600_302600_NS6detail10any_assignEEEZNS1_14transform_implILb0ES3_S9_NS7_15normal_iteratorINS6_10device_ptrIxEEEENS6_16discard_iteratorINS6_11use_defaultEEEZNS1_13binary_searchIS3_S9_SE_SE_SH_NS1_21upper_bound_search_opENS7_16wrapped_functionINS0_4lessIvEEbEEEE10hipError_tPvRmT1_T2_T3_mmT4_T5_P12ihipStream_tbEUlRKxE_EESO_SS_ST_mSU_SX_bEUlT_E_NS1_11comp_targetILNS1_3genE5ELNS1_11target_archE942ELNS1_3gpuE9ELNS1_3repE0EEENS1_30default_config_static_selectorELNS0_4arch9wavefront6targetE0EEEvSR_ ; -- Begin function _ZN7rocprim17ROCPRIM_400000_NS6detail17trampoline_kernelINS0_14default_configENS1_27upper_bound_config_selectorIxN6thrust23THRUST_200600_302600_NS6detail10any_assignEEEZNS1_14transform_implILb0ES3_S9_NS7_15normal_iteratorINS6_10device_ptrIxEEEENS6_16discard_iteratorINS6_11use_defaultEEEZNS1_13binary_searchIS3_S9_SE_SE_SH_NS1_21upper_bound_search_opENS7_16wrapped_functionINS0_4lessIvEEbEEEE10hipError_tPvRmT1_T2_T3_mmT4_T5_P12ihipStream_tbEUlRKxE_EESO_SS_ST_mSU_SX_bEUlT_E_NS1_11comp_targetILNS1_3genE5ELNS1_11target_archE942ELNS1_3gpuE9ELNS1_3repE0EEENS1_30default_config_static_selectorELNS0_4arch9wavefront6targetE0EEEvSR_
	.globl	_ZN7rocprim17ROCPRIM_400000_NS6detail17trampoline_kernelINS0_14default_configENS1_27upper_bound_config_selectorIxN6thrust23THRUST_200600_302600_NS6detail10any_assignEEEZNS1_14transform_implILb0ES3_S9_NS7_15normal_iteratorINS6_10device_ptrIxEEEENS6_16discard_iteratorINS6_11use_defaultEEEZNS1_13binary_searchIS3_S9_SE_SE_SH_NS1_21upper_bound_search_opENS7_16wrapped_functionINS0_4lessIvEEbEEEE10hipError_tPvRmT1_T2_T3_mmT4_T5_P12ihipStream_tbEUlRKxE_EESO_SS_ST_mSU_SX_bEUlT_E_NS1_11comp_targetILNS1_3genE5ELNS1_11target_archE942ELNS1_3gpuE9ELNS1_3repE0EEENS1_30default_config_static_selectorELNS0_4arch9wavefront6targetE0EEEvSR_
	.p2align	8
	.type	_ZN7rocprim17ROCPRIM_400000_NS6detail17trampoline_kernelINS0_14default_configENS1_27upper_bound_config_selectorIxN6thrust23THRUST_200600_302600_NS6detail10any_assignEEEZNS1_14transform_implILb0ES3_S9_NS7_15normal_iteratorINS6_10device_ptrIxEEEENS6_16discard_iteratorINS6_11use_defaultEEEZNS1_13binary_searchIS3_S9_SE_SE_SH_NS1_21upper_bound_search_opENS7_16wrapped_functionINS0_4lessIvEEbEEEE10hipError_tPvRmT1_T2_T3_mmT4_T5_P12ihipStream_tbEUlRKxE_EESO_SS_ST_mSU_SX_bEUlT_E_NS1_11comp_targetILNS1_3genE5ELNS1_11target_archE942ELNS1_3gpuE9ELNS1_3repE0EEENS1_30default_config_static_selectorELNS0_4arch9wavefront6targetE0EEEvSR_,@function
_ZN7rocprim17ROCPRIM_400000_NS6detail17trampoline_kernelINS0_14default_configENS1_27upper_bound_config_selectorIxN6thrust23THRUST_200600_302600_NS6detail10any_assignEEEZNS1_14transform_implILb0ES3_S9_NS7_15normal_iteratorINS6_10device_ptrIxEEEENS6_16discard_iteratorINS6_11use_defaultEEEZNS1_13binary_searchIS3_S9_SE_SE_SH_NS1_21upper_bound_search_opENS7_16wrapped_functionINS0_4lessIvEEbEEEE10hipError_tPvRmT1_T2_T3_mmT4_T5_P12ihipStream_tbEUlRKxE_EESO_SS_ST_mSU_SX_bEUlT_E_NS1_11comp_targetILNS1_3genE5ELNS1_11target_archE942ELNS1_3gpuE9ELNS1_3repE0EEENS1_30default_config_static_selectorELNS0_4arch9wavefront6targetE0EEEvSR_: ; @_ZN7rocprim17ROCPRIM_400000_NS6detail17trampoline_kernelINS0_14default_configENS1_27upper_bound_config_selectorIxN6thrust23THRUST_200600_302600_NS6detail10any_assignEEEZNS1_14transform_implILb0ES3_S9_NS7_15normal_iteratorINS6_10device_ptrIxEEEENS6_16discard_iteratorINS6_11use_defaultEEEZNS1_13binary_searchIS3_S9_SE_SE_SH_NS1_21upper_bound_search_opENS7_16wrapped_functionINS0_4lessIvEEbEEEE10hipError_tPvRmT1_T2_T3_mmT4_T5_P12ihipStream_tbEUlRKxE_EESO_SS_ST_mSU_SX_bEUlT_E_NS1_11comp_targetILNS1_3genE5ELNS1_11target_archE942ELNS1_3gpuE9ELNS1_3repE0EEENS1_30default_config_static_selectorELNS0_4arch9wavefront6targetE0EEEvSR_
; %bb.0:
	.section	.rodata,"a",@progbits
	.p2align	6, 0x0
	.amdhsa_kernel _ZN7rocprim17ROCPRIM_400000_NS6detail17trampoline_kernelINS0_14default_configENS1_27upper_bound_config_selectorIxN6thrust23THRUST_200600_302600_NS6detail10any_assignEEEZNS1_14transform_implILb0ES3_S9_NS7_15normal_iteratorINS6_10device_ptrIxEEEENS6_16discard_iteratorINS6_11use_defaultEEEZNS1_13binary_searchIS3_S9_SE_SE_SH_NS1_21upper_bound_search_opENS7_16wrapped_functionINS0_4lessIvEEbEEEE10hipError_tPvRmT1_T2_T3_mmT4_T5_P12ihipStream_tbEUlRKxE_EESO_SS_ST_mSU_SX_bEUlT_E_NS1_11comp_targetILNS1_3genE5ELNS1_11target_archE942ELNS1_3gpuE9ELNS1_3repE0EEENS1_30default_config_static_selectorELNS0_4arch9wavefront6targetE0EEEvSR_
		.amdhsa_group_segment_fixed_size 0
		.amdhsa_private_segment_fixed_size 0
		.amdhsa_kernarg_size 64
		.amdhsa_user_sgpr_count 15
		.amdhsa_user_sgpr_dispatch_ptr 0
		.amdhsa_user_sgpr_queue_ptr 0
		.amdhsa_user_sgpr_kernarg_segment_ptr 1
		.amdhsa_user_sgpr_dispatch_id 0
		.amdhsa_user_sgpr_private_segment_size 0
		.amdhsa_wavefront_size32 1
		.amdhsa_uses_dynamic_stack 0
		.amdhsa_enable_private_segment 0
		.amdhsa_system_sgpr_workgroup_id_x 1
		.amdhsa_system_sgpr_workgroup_id_y 0
		.amdhsa_system_sgpr_workgroup_id_z 0
		.amdhsa_system_sgpr_workgroup_info 0
		.amdhsa_system_vgpr_workitem_id 0
		.amdhsa_next_free_vgpr 1
		.amdhsa_next_free_sgpr 1
		.amdhsa_reserve_vcc 0
		.amdhsa_float_round_mode_32 0
		.amdhsa_float_round_mode_16_64 0
		.amdhsa_float_denorm_mode_32 3
		.amdhsa_float_denorm_mode_16_64 3
		.amdhsa_dx10_clamp 1
		.amdhsa_ieee_mode 1
		.amdhsa_fp16_overflow 0
		.amdhsa_workgroup_processor_mode 1
		.amdhsa_memory_ordered 1
		.amdhsa_forward_progress 0
		.amdhsa_shared_vgpr_count 0
		.amdhsa_exception_fp_ieee_invalid_op 0
		.amdhsa_exception_fp_denorm_src 0
		.amdhsa_exception_fp_ieee_div_zero 0
		.amdhsa_exception_fp_ieee_overflow 0
		.amdhsa_exception_fp_ieee_underflow 0
		.amdhsa_exception_fp_ieee_inexact 0
		.amdhsa_exception_int_div_zero 0
	.end_amdhsa_kernel
	.section	.text._ZN7rocprim17ROCPRIM_400000_NS6detail17trampoline_kernelINS0_14default_configENS1_27upper_bound_config_selectorIxN6thrust23THRUST_200600_302600_NS6detail10any_assignEEEZNS1_14transform_implILb0ES3_S9_NS7_15normal_iteratorINS6_10device_ptrIxEEEENS6_16discard_iteratorINS6_11use_defaultEEEZNS1_13binary_searchIS3_S9_SE_SE_SH_NS1_21upper_bound_search_opENS7_16wrapped_functionINS0_4lessIvEEbEEEE10hipError_tPvRmT1_T2_T3_mmT4_T5_P12ihipStream_tbEUlRKxE_EESO_SS_ST_mSU_SX_bEUlT_E_NS1_11comp_targetILNS1_3genE5ELNS1_11target_archE942ELNS1_3gpuE9ELNS1_3repE0EEENS1_30default_config_static_selectorELNS0_4arch9wavefront6targetE0EEEvSR_,"axG",@progbits,_ZN7rocprim17ROCPRIM_400000_NS6detail17trampoline_kernelINS0_14default_configENS1_27upper_bound_config_selectorIxN6thrust23THRUST_200600_302600_NS6detail10any_assignEEEZNS1_14transform_implILb0ES3_S9_NS7_15normal_iteratorINS6_10device_ptrIxEEEENS6_16discard_iteratorINS6_11use_defaultEEEZNS1_13binary_searchIS3_S9_SE_SE_SH_NS1_21upper_bound_search_opENS7_16wrapped_functionINS0_4lessIvEEbEEEE10hipError_tPvRmT1_T2_T3_mmT4_T5_P12ihipStream_tbEUlRKxE_EESO_SS_ST_mSU_SX_bEUlT_E_NS1_11comp_targetILNS1_3genE5ELNS1_11target_archE942ELNS1_3gpuE9ELNS1_3repE0EEENS1_30default_config_static_selectorELNS0_4arch9wavefront6targetE0EEEvSR_,comdat
.Lfunc_end574:
	.size	_ZN7rocprim17ROCPRIM_400000_NS6detail17trampoline_kernelINS0_14default_configENS1_27upper_bound_config_selectorIxN6thrust23THRUST_200600_302600_NS6detail10any_assignEEEZNS1_14transform_implILb0ES3_S9_NS7_15normal_iteratorINS6_10device_ptrIxEEEENS6_16discard_iteratorINS6_11use_defaultEEEZNS1_13binary_searchIS3_S9_SE_SE_SH_NS1_21upper_bound_search_opENS7_16wrapped_functionINS0_4lessIvEEbEEEE10hipError_tPvRmT1_T2_T3_mmT4_T5_P12ihipStream_tbEUlRKxE_EESO_SS_ST_mSU_SX_bEUlT_E_NS1_11comp_targetILNS1_3genE5ELNS1_11target_archE942ELNS1_3gpuE9ELNS1_3repE0EEENS1_30default_config_static_selectorELNS0_4arch9wavefront6targetE0EEEvSR_, .Lfunc_end574-_ZN7rocprim17ROCPRIM_400000_NS6detail17trampoline_kernelINS0_14default_configENS1_27upper_bound_config_selectorIxN6thrust23THRUST_200600_302600_NS6detail10any_assignEEEZNS1_14transform_implILb0ES3_S9_NS7_15normal_iteratorINS6_10device_ptrIxEEEENS6_16discard_iteratorINS6_11use_defaultEEEZNS1_13binary_searchIS3_S9_SE_SE_SH_NS1_21upper_bound_search_opENS7_16wrapped_functionINS0_4lessIvEEbEEEE10hipError_tPvRmT1_T2_T3_mmT4_T5_P12ihipStream_tbEUlRKxE_EESO_SS_ST_mSU_SX_bEUlT_E_NS1_11comp_targetILNS1_3genE5ELNS1_11target_archE942ELNS1_3gpuE9ELNS1_3repE0EEENS1_30default_config_static_selectorELNS0_4arch9wavefront6targetE0EEEvSR_
                                        ; -- End function
	.section	.AMDGPU.csdata,"",@progbits
; Kernel info:
; codeLenInByte = 0
; NumSgprs: 0
; NumVgprs: 0
; ScratchSize: 0
; MemoryBound: 0
; FloatMode: 240
; IeeeMode: 1
; LDSByteSize: 0 bytes/workgroup (compile time only)
; SGPRBlocks: 0
; VGPRBlocks: 0
; NumSGPRsForWavesPerEU: 1
; NumVGPRsForWavesPerEU: 1
; Occupancy: 16
; WaveLimiterHint : 0
; COMPUTE_PGM_RSRC2:SCRATCH_EN: 0
; COMPUTE_PGM_RSRC2:USER_SGPR: 15
; COMPUTE_PGM_RSRC2:TRAP_HANDLER: 0
; COMPUTE_PGM_RSRC2:TGID_X_EN: 1
; COMPUTE_PGM_RSRC2:TGID_Y_EN: 0
; COMPUTE_PGM_RSRC2:TGID_Z_EN: 0
; COMPUTE_PGM_RSRC2:TIDIG_COMP_CNT: 0
	.section	.text._ZN7rocprim17ROCPRIM_400000_NS6detail17trampoline_kernelINS0_14default_configENS1_27upper_bound_config_selectorIxN6thrust23THRUST_200600_302600_NS6detail10any_assignEEEZNS1_14transform_implILb0ES3_S9_NS7_15normal_iteratorINS6_10device_ptrIxEEEENS6_16discard_iteratorINS6_11use_defaultEEEZNS1_13binary_searchIS3_S9_SE_SE_SH_NS1_21upper_bound_search_opENS7_16wrapped_functionINS0_4lessIvEEbEEEE10hipError_tPvRmT1_T2_T3_mmT4_T5_P12ihipStream_tbEUlRKxE_EESO_SS_ST_mSU_SX_bEUlT_E_NS1_11comp_targetILNS1_3genE4ELNS1_11target_archE910ELNS1_3gpuE8ELNS1_3repE0EEENS1_30default_config_static_selectorELNS0_4arch9wavefront6targetE0EEEvSR_,"axG",@progbits,_ZN7rocprim17ROCPRIM_400000_NS6detail17trampoline_kernelINS0_14default_configENS1_27upper_bound_config_selectorIxN6thrust23THRUST_200600_302600_NS6detail10any_assignEEEZNS1_14transform_implILb0ES3_S9_NS7_15normal_iteratorINS6_10device_ptrIxEEEENS6_16discard_iteratorINS6_11use_defaultEEEZNS1_13binary_searchIS3_S9_SE_SE_SH_NS1_21upper_bound_search_opENS7_16wrapped_functionINS0_4lessIvEEbEEEE10hipError_tPvRmT1_T2_T3_mmT4_T5_P12ihipStream_tbEUlRKxE_EESO_SS_ST_mSU_SX_bEUlT_E_NS1_11comp_targetILNS1_3genE4ELNS1_11target_archE910ELNS1_3gpuE8ELNS1_3repE0EEENS1_30default_config_static_selectorELNS0_4arch9wavefront6targetE0EEEvSR_,comdat
	.protected	_ZN7rocprim17ROCPRIM_400000_NS6detail17trampoline_kernelINS0_14default_configENS1_27upper_bound_config_selectorIxN6thrust23THRUST_200600_302600_NS6detail10any_assignEEEZNS1_14transform_implILb0ES3_S9_NS7_15normal_iteratorINS6_10device_ptrIxEEEENS6_16discard_iteratorINS6_11use_defaultEEEZNS1_13binary_searchIS3_S9_SE_SE_SH_NS1_21upper_bound_search_opENS7_16wrapped_functionINS0_4lessIvEEbEEEE10hipError_tPvRmT1_T2_T3_mmT4_T5_P12ihipStream_tbEUlRKxE_EESO_SS_ST_mSU_SX_bEUlT_E_NS1_11comp_targetILNS1_3genE4ELNS1_11target_archE910ELNS1_3gpuE8ELNS1_3repE0EEENS1_30default_config_static_selectorELNS0_4arch9wavefront6targetE0EEEvSR_ ; -- Begin function _ZN7rocprim17ROCPRIM_400000_NS6detail17trampoline_kernelINS0_14default_configENS1_27upper_bound_config_selectorIxN6thrust23THRUST_200600_302600_NS6detail10any_assignEEEZNS1_14transform_implILb0ES3_S9_NS7_15normal_iteratorINS6_10device_ptrIxEEEENS6_16discard_iteratorINS6_11use_defaultEEEZNS1_13binary_searchIS3_S9_SE_SE_SH_NS1_21upper_bound_search_opENS7_16wrapped_functionINS0_4lessIvEEbEEEE10hipError_tPvRmT1_T2_T3_mmT4_T5_P12ihipStream_tbEUlRKxE_EESO_SS_ST_mSU_SX_bEUlT_E_NS1_11comp_targetILNS1_3genE4ELNS1_11target_archE910ELNS1_3gpuE8ELNS1_3repE0EEENS1_30default_config_static_selectorELNS0_4arch9wavefront6targetE0EEEvSR_
	.globl	_ZN7rocprim17ROCPRIM_400000_NS6detail17trampoline_kernelINS0_14default_configENS1_27upper_bound_config_selectorIxN6thrust23THRUST_200600_302600_NS6detail10any_assignEEEZNS1_14transform_implILb0ES3_S9_NS7_15normal_iteratorINS6_10device_ptrIxEEEENS6_16discard_iteratorINS6_11use_defaultEEEZNS1_13binary_searchIS3_S9_SE_SE_SH_NS1_21upper_bound_search_opENS7_16wrapped_functionINS0_4lessIvEEbEEEE10hipError_tPvRmT1_T2_T3_mmT4_T5_P12ihipStream_tbEUlRKxE_EESO_SS_ST_mSU_SX_bEUlT_E_NS1_11comp_targetILNS1_3genE4ELNS1_11target_archE910ELNS1_3gpuE8ELNS1_3repE0EEENS1_30default_config_static_selectorELNS0_4arch9wavefront6targetE0EEEvSR_
	.p2align	8
	.type	_ZN7rocprim17ROCPRIM_400000_NS6detail17trampoline_kernelINS0_14default_configENS1_27upper_bound_config_selectorIxN6thrust23THRUST_200600_302600_NS6detail10any_assignEEEZNS1_14transform_implILb0ES3_S9_NS7_15normal_iteratorINS6_10device_ptrIxEEEENS6_16discard_iteratorINS6_11use_defaultEEEZNS1_13binary_searchIS3_S9_SE_SE_SH_NS1_21upper_bound_search_opENS7_16wrapped_functionINS0_4lessIvEEbEEEE10hipError_tPvRmT1_T2_T3_mmT4_T5_P12ihipStream_tbEUlRKxE_EESO_SS_ST_mSU_SX_bEUlT_E_NS1_11comp_targetILNS1_3genE4ELNS1_11target_archE910ELNS1_3gpuE8ELNS1_3repE0EEENS1_30default_config_static_selectorELNS0_4arch9wavefront6targetE0EEEvSR_,@function
_ZN7rocprim17ROCPRIM_400000_NS6detail17trampoline_kernelINS0_14default_configENS1_27upper_bound_config_selectorIxN6thrust23THRUST_200600_302600_NS6detail10any_assignEEEZNS1_14transform_implILb0ES3_S9_NS7_15normal_iteratorINS6_10device_ptrIxEEEENS6_16discard_iteratorINS6_11use_defaultEEEZNS1_13binary_searchIS3_S9_SE_SE_SH_NS1_21upper_bound_search_opENS7_16wrapped_functionINS0_4lessIvEEbEEEE10hipError_tPvRmT1_T2_T3_mmT4_T5_P12ihipStream_tbEUlRKxE_EESO_SS_ST_mSU_SX_bEUlT_E_NS1_11comp_targetILNS1_3genE4ELNS1_11target_archE910ELNS1_3gpuE8ELNS1_3repE0EEENS1_30default_config_static_selectorELNS0_4arch9wavefront6targetE0EEEvSR_: ; @_ZN7rocprim17ROCPRIM_400000_NS6detail17trampoline_kernelINS0_14default_configENS1_27upper_bound_config_selectorIxN6thrust23THRUST_200600_302600_NS6detail10any_assignEEEZNS1_14transform_implILb0ES3_S9_NS7_15normal_iteratorINS6_10device_ptrIxEEEENS6_16discard_iteratorINS6_11use_defaultEEEZNS1_13binary_searchIS3_S9_SE_SE_SH_NS1_21upper_bound_search_opENS7_16wrapped_functionINS0_4lessIvEEbEEEE10hipError_tPvRmT1_T2_T3_mmT4_T5_P12ihipStream_tbEUlRKxE_EESO_SS_ST_mSU_SX_bEUlT_E_NS1_11comp_targetILNS1_3genE4ELNS1_11target_archE910ELNS1_3gpuE8ELNS1_3repE0EEENS1_30default_config_static_selectorELNS0_4arch9wavefront6targetE0EEEvSR_
; %bb.0:
	.section	.rodata,"a",@progbits
	.p2align	6, 0x0
	.amdhsa_kernel _ZN7rocprim17ROCPRIM_400000_NS6detail17trampoline_kernelINS0_14default_configENS1_27upper_bound_config_selectorIxN6thrust23THRUST_200600_302600_NS6detail10any_assignEEEZNS1_14transform_implILb0ES3_S9_NS7_15normal_iteratorINS6_10device_ptrIxEEEENS6_16discard_iteratorINS6_11use_defaultEEEZNS1_13binary_searchIS3_S9_SE_SE_SH_NS1_21upper_bound_search_opENS7_16wrapped_functionINS0_4lessIvEEbEEEE10hipError_tPvRmT1_T2_T3_mmT4_T5_P12ihipStream_tbEUlRKxE_EESO_SS_ST_mSU_SX_bEUlT_E_NS1_11comp_targetILNS1_3genE4ELNS1_11target_archE910ELNS1_3gpuE8ELNS1_3repE0EEENS1_30default_config_static_selectorELNS0_4arch9wavefront6targetE0EEEvSR_
		.amdhsa_group_segment_fixed_size 0
		.amdhsa_private_segment_fixed_size 0
		.amdhsa_kernarg_size 64
		.amdhsa_user_sgpr_count 15
		.amdhsa_user_sgpr_dispatch_ptr 0
		.amdhsa_user_sgpr_queue_ptr 0
		.amdhsa_user_sgpr_kernarg_segment_ptr 1
		.amdhsa_user_sgpr_dispatch_id 0
		.amdhsa_user_sgpr_private_segment_size 0
		.amdhsa_wavefront_size32 1
		.amdhsa_uses_dynamic_stack 0
		.amdhsa_enable_private_segment 0
		.amdhsa_system_sgpr_workgroup_id_x 1
		.amdhsa_system_sgpr_workgroup_id_y 0
		.amdhsa_system_sgpr_workgroup_id_z 0
		.amdhsa_system_sgpr_workgroup_info 0
		.amdhsa_system_vgpr_workitem_id 0
		.amdhsa_next_free_vgpr 1
		.amdhsa_next_free_sgpr 1
		.amdhsa_reserve_vcc 0
		.amdhsa_float_round_mode_32 0
		.amdhsa_float_round_mode_16_64 0
		.amdhsa_float_denorm_mode_32 3
		.amdhsa_float_denorm_mode_16_64 3
		.amdhsa_dx10_clamp 1
		.amdhsa_ieee_mode 1
		.amdhsa_fp16_overflow 0
		.amdhsa_workgroup_processor_mode 1
		.amdhsa_memory_ordered 1
		.amdhsa_forward_progress 0
		.amdhsa_shared_vgpr_count 0
		.amdhsa_exception_fp_ieee_invalid_op 0
		.amdhsa_exception_fp_denorm_src 0
		.amdhsa_exception_fp_ieee_div_zero 0
		.amdhsa_exception_fp_ieee_overflow 0
		.amdhsa_exception_fp_ieee_underflow 0
		.amdhsa_exception_fp_ieee_inexact 0
		.amdhsa_exception_int_div_zero 0
	.end_amdhsa_kernel
	.section	.text._ZN7rocprim17ROCPRIM_400000_NS6detail17trampoline_kernelINS0_14default_configENS1_27upper_bound_config_selectorIxN6thrust23THRUST_200600_302600_NS6detail10any_assignEEEZNS1_14transform_implILb0ES3_S9_NS7_15normal_iteratorINS6_10device_ptrIxEEEENS6_16discard_iteratorINS6_11use_defaultEEEZNS1_13binary_searchIS3_S9_SE_SE_SH_NS1_21upper_bound_search_opENS7_16wrapped_functionINS0_4lessIvEEbEEEE10hipError_tPvRmT1_T2_T3_mmT4_T5_P12ihipStream_tbEUlRKxE_EESO_SS_ST_mSU_SX_bEUlT_E_NS1_11comp_targetILNS1_3genE4ELNS1_11target_archE910ELNS1_3gpuE8ELNS1_3repE0EEENS1_30default_config_static_selectorELNS0_4arch9wavefront6targetE0EEEvSR_,"axG",@progbits,_ZN7rocprim17ROCPRIM_400000_NS6detail17trampoline_kernelINS0_14default_configENS1_27upper_bound_config_selectorIxN6thrust23THRUST_200600_302600_NS6detail10any_assignEEEZNS1_14transform_implILb0ES3_S9_NS7_15normal_iteratorINS6_10device_ptrIxEEEENS6_16discard_iteratorINS6_11use_defaultEEEZNS1_13binary_searchIS3_S9_SE_SE_SH_NS1_21upper_bound_search_opENS7_16wrapped_functionINS0_4lessIvEEbEEEE10hipError_tPvRmT1_T2_T3_mmT4_T5_P12ihipStream_tbEUlRKxE_EESO_SS_ST_mSU_SX_bEUlT_E_NS1_11comp_targetILNS1_3genE4ELNS1_11target_archE910ELNS1_3gpuE8ELNS1_3repE0EEENS1_30default_config_static_selectorELNS0_4arch9wavefront6targetE0EEEvSR_,comdat
.Lfunc_end575:
	.size	_ZN7rocprim17ROCPRIM_400000_NS6detail17trampoline_kernelINS0_14default_configENS1_27upper_bound_config_selectorIxN6thrust23THRUST_200600_302600_NS6detail10any_assignEEEZNS1_14transform_implILb0ES3_S9_NS7_15normal_iteratorINS6_10device_ptrIxEEEENS6_16discard_iteratorINS6_11use_defaultEEEZNS1_13binary_searchIS3_S9_SE_SE_SH_NS1_21upper_bound_search_opENS7_16wrapped_functionINS0_4lessIvEEbEEEE10hipError_tPvRmT1_T2_T3_mmT4_T5_P12ihipStream_tbEUlRKxE_EESO_SS_ST_mSU_SX_bEUlT_E_NS1_11comp_targetILNS1_3genE4ELNS1_11target_archE910ELNS1_3gpuE8ELNS1_3repE0EEENS1_30default_config_static_selectorELNS0_4arch9wavefront6targetE0EEEvSR_, .Lfunc_end575-_ZN7rocprim17ROCPRIM_400000_NS6detail17trampoline_kernelINS0_14default_configENS1_27upper_bound_config_selectorIxN6thrust23THRUST_200600_302600_NS6detail10any_assignEEEZNS1_14transform_implILb0ES3_S9_NS7_15normal_iteratorINS6_10device_ptrIxEEEENS6_16discard_iteratorINS6_11use_defaultEEEZNS1_13binary_searchIS3_S9_SE_SE_SH_NS1_21upper_bound_search_opENS7_16wrapped_functionINS0_4lessIvEEbEEEE10hipError_tPvRmT1_T2_T3_mmT4_T5_P12ihipStream_tbEUlRKxE_EESO_SS_ST_mSU_SX_bEUlT_E_NS1_11comp_targetILNS1_3genE4ELNS1_11target_archE910ELNS1_3gpuE8ELNS1_3repE0EEENS1_30default_config_static_selectorELNS0_4arch9wavefront6targetE0EEEvSR_
                                        ; -- End function
	.section	.AMDGPU.csdata,"",@progbits
; Kernel info:
; codeLenInByte = 0
; NumSgprs: 0
; NumVgprs: 0
; ScratchSize: 0
; MemoryBound: 0
; FloatMode: 240
; IeeeMode: 1
; LDSByteSize: 0 bytes/workgroup (compile time only)
; SGPRBlocks: 0
; VGPRBlocks: 0
; NumSGPRsForWavesPerEU: 1
; NumVGPRsForWavesPerEU: 1
; Occupancy: 16
; WaveLimiterHint : 0
; COMPUTE_PGM_RSRC2:SCRATCH_EN: 0
; COMPUTE_PGM_RSRC2:USER_SGPR: 15
; COMPUTE_PGM_RSRC2:TRAP_HANDLER: 0
; COMPUTE_PGM_RSRC2:TGID_X_EN: 1
; COMPUTE_PGM_RSRC2:TGID_Y_EN: 0
; COMPUTE_PGM_RSRC2:TGID_Z_EN: 0
; COMPUTE_PGM_RSRC2:TIDIG_COMP_CNT: 0
	.section	.text._ZN7rocprim17ROCPRIM_400000_NS6detail17trampoline_kernelINS0_14default_configENS1_27upper_bound_config_selectorIxN6thrust23THRUST_200600_302600_NS6detail10any_assignEEEZNS1_14transform_implILb0ES3_S9_NS7_15normal_iteratorINS6_10device_ptrIxEEEENS6_16discard_iteratorINS6_11use_defaultEEEZNS1_13binary_searchIS3_S9_SE_SE_SH_NS1_21upper_bound_search_opENS7_16wrapped_functionINS0_4lessIvEEbEEEE10hipError_tPvRmT1_T2_T3_mmT4_T5_P12ihipStream_tbEUlRKxE_EESO_SS_ST_mSU_SX_bEUlT_E_NS1_11comp_targetILNS1_3genE3ELNS1_11target_archE908ELNS1_3gpuE7ELNS1_3repE0EEENS1_30default_config_static_selectorELNS0_4arch9wavefront6targetE0EEEvSR_,"axG",@progbits,_ZN7rocprim17ROCPRIM_400000_NS6detail17trampoline_kernelINS0_14default_configENS1_27upper_bound_config_selectorIxN6thrust23THRUST_200600_302600_NS6detail10any_assignEEEZNS1_14transform_implILb0ES3_S9_NS7_15normal_iteratorINS6_10device_ptrIxEEEENS6_16discard_iteratorINS6_11use_defaultEEEZNS1_13binary_searchIS3_S9_SE_SE_SH_NS1_21upper_bound_search_opENS7_16wrapped_functionINS0_4lessIvEEbEEEE10hipError_tPvRmT1_T2_T3_mmT4_T5_P12ihipStream_tbEUlRKxE_EESO_SS_ST_mSU_SX_bEUlT_E_NS1_11comp_targetILNS1_3genE3ELNS1_11target_archE908ELNS1_3gpuE7ELNS1_3repE0EEENS1_30default_config_static_selectorELNS0_4arch9wavefront6targetE0EEEvSR_,comdat
	.protected	_ZN7rocprim17ROCPRIM_400000_NS6detail17trampoline_kernelINS0_14default_configENS1_27upper_bound_config_selectorIxN6thrust23THRUST_200600_302600_NS6detail10any_assignEEEZNS1_14transform_implILb0ES3_S9_NS7_15normal_iteratorINS6_10device_ptrIxEEEENS6_16discard_iteratorINS6_11use_defaultEEEZNS1_13binary_searchIS3_S9_SE_SE_SH_NS1_21upper_bound_search_opENS7_16wrapped_functionINS0_4lessIvEEbEEEE10hipError_tPvRmT1_T2_T3_mmT4_T5_P12ihipStream_tbEUlRKxE_EESO_SS_ST_mSU_SX_bEUlT_E_NS1_11comp_targetILNS1_3genE3ELNS1_11target_archE908ELNS1_3gpuE7ELNS1_3repE0EEENS1_30default_config_static_selectorELNS0_4arch9wavefront6targetE0EEEvSR_ ; -- Begin function _ZN7rocprim17ROCPRIM_400000_NS6detail17trampoline_kernelINS0_14default_configENS1_27upper_bound_config_selectorIxN6thrust23THRUST_200600_302600_NS6detail10any_assignEEEZNS1_14transform_implILb0ES3_S9_NS7_15normal_iteratorINS6_10device_ptrIxEEEENS6_16discard_iteratorINS6_11use_defaultEEEZNS1_13binary_searchIS3_S9_SE_SE_SH_NS1_21upper_bound_search_opENS7_16wrapped_functionINS0_4lessIvEEbEEEE10hipError_tPvRmT1_T2_T3_mmT4_T5_P12ihipStream_tbEUlRKxE_EESO_SS_ST_mSU_SX_bEUlT_E_NS1_11comp_targetILNS1_3genE3ELNS1_11target_archE908ELNS1_3gpuE7ELNS1_3repE0EEENS1_30default_config_static_selectorELNS0_4arch9wavefront6targetE0EEEvSR_
	.globl	_ZN7rocprim17ROCPRIM_400000_NS6detail17trampoline_kernelINS0_14default_configENS1_27upper_bound_config_selectorIxN6thrust23THRUST_200600_302600_NS6detail10any_assignEEEZNS1_14transform_implILb0ES3_S9_NS7_15normal_iteratorINS6_10device_ptrIxEEEENS6_16discard_iteratorINS6_11use_defaultEEEZNS1_13binary_searchIS3_S9_SE_SE_SH_NS1_21upper_bound_search_opENS7_16wrapped_functionINS0_4lessIvEEbEEEE10hipError_tPvRmT1_T2_T3_mmT4_T5_P12ihipStream_tbEUlRKxE_EESO_SS_ST_mSU_SX_bEUlT_E_NS1_11comp_targetILNS1_3genE3ELNS1_11target_archE908ELNS1_3gpuE7ELNS1_3repE0EEENS1_30default_config_static_selectorELNS0_4arch9wavefront6targetE0EEEvSR_
	.p2align	8
	.type	_ZN7rocprim17ROCPRIM_400000_NS6detail17trampoline_kernelINS0_14default_configENS1_27upper_bound_config_selectorIxN6thrust23THRUST_200600_302600_NS6detail10any_assignEEEZNS1_14transform_implILb0ES3_S9_NS7_15normal_iteratorINS6_10device_ptrIxEEEENS6_16discard_iteratorINS6_11use_defaultEEEZNS1_13binary_searchIS3_S9_SE_SE_SH_NS1_21upper_bound_search_opENS7_16wrapped_functionINS0_4lessIvEEbEEEE10hipError_tPvRmT1_T2_T3_mmT4_T5_P12ihipStream_tbEUlRKxE_EESO_SS_ST_mSU_SX_bEUlT_E_NS1_11comp_targetILNS1_3genE3ELNS1_11target_archE908ELNS1_3gpuE7ELNS1_3repE0EEENS1_30default_config_static_selectorELNS0_4arch9wavefront6targetE0EEEvSR_,@function
_ZN7rocprim17ROCPRIM_400000_NS6detail17trampoline_kernelINS0_14default_configENS1_27upper_bound_config_selectorIxN6thrust23THRUST_200600_302600_NS6detail10any_assignEEEZNS1_14transform_implILb0ES3_S9_NS7_15normal_iteratorINS6_10device_ptrIxEEEENS6_16discard_iteratorINS6_11use_defaultEEEZNS1_13binary_searchIS3_S9_SE_SE_SH_NS1_21upper_bound_search_opENS7_16wrapped_functionINS0_4lessIvEEbEEEE10hipError_tPvRmT1_T2_T3_mmT4_T5_P12ihipStream_tbEUlRKxE_EESO_SS_ST_mSU_SX_bEUlT_E_NS1_11comp_targetILNS1_3genE3ELNS1_11target_archE908ELNS1_3gpuE7ELNS1_3repE0EEENS1_30default_config_static_selectorELNS0_4arch9wavefront6targetE0EEEvSR_: ; @_ZN7rocprim17ROCPRIM_400000_NS6detail17trampoline_kernelINS0_14default_configENS1_27upper_bound_config_selectorIxN6thrust23THRUST_200600_302600_NS6detail10any_assignEEEZNS1_14transform_implILb0ES3_S9_NS7_15normal_iteratorINS6_10device_ptrIxEEEENS6_16discard_iteratorINS6_11use_defaultEEEZNS1_13binary_searchIS3_S9_SE_SE_SH_NS1_21upper_bound_search_opENS7_16wrapped_functionINS0_4lessIvEEbEEEE10hipError_tPvRmT1_T2_T3_mmT4_T5_P12ihipStream_tbEUlRKxE_EESO_SS_ST_mSU_SX_bEUlT_E_NS1_11comp_targetILNS1_3genE3ELNS1_11target_archE908ELNS1_3gpuE7ELNS1_3repE0EEENS1_30default_config_static_selectorELNS0_4arch9wavefront6targetE0EEEvSR_
; %bb.0:
	.section	.rodata,"a",@progbits
	.p2align	6, 0x0
	.amdhsa_kernel _ZN7rocprim17ROCPRIM_400000_NS6detail17trampoline_kernelINS0_14default_configENS1_27upper_bound_config_selectorIxN6thrust23THRUST_200600_302600_NS6detail10any_assignEEEZNS1_14transform_implILb0ES3_S9_NS7_15normal_iteratorINS6_10device_ptrIxEEEENS6_16discard_iteratorINS6_11use_defaultEEEZNS1_13binary_searchIS3_S9_SE_SE_SH_NS1_21upper_bound_search_opENS7_16wrapped_functionINS0_4lessIvEEbEEEE10hipError_tPvRmT1_T2_T3_mmT4_T5_P12ihipStream_tbEUlRKxE_EESO_SS_ST_mSU_SX_bEUlT_E_NS1_11comp_targetILNS1_3genE3ELNS1_11target_archE908ELNS1_3gpuE7ELNS1_3repE0EEENS1_30default_config_static_selectorELNS0_4arch9wavefront6targetE0EEEvSR_
		.amdhsa_group_segment_fixed_size 0
		.amdhsa_private_segment_fixed_size 0
		.amdhsa_kernarg_size 64
		.amdhsa_user_sgpr_count 15
		.amdhsa_user_sgpr_dispatch_ptr 0
		.amdhsa_user_sgpr_queue_ptr 0
		.amdhsa_user_sgpr_kernarg_segment_ptr 1
		.amdhsa_user_sgpr_dispatch_id 0
		.amdhsa_user_sgpr_private_segment_size 0
		.amdhsa_wavefront_size32 1
		.amdhsa_uses_dynamic_stack 0
		.amdhsa_enable_private_segment 0
		.amdhsa_system_sgpr_workgroup_id_x 1
		.amdhsa_system_sgpr_workgroup_id_y 0
		.amdhsa_system_sgpr_workgroup_id_z 0
		.amdhsa_system_sgpr_workgroup_info 0
		.amdhsa_system_vgpr_workitem_id 0
		.amdhsa_next_free_vgpr 1
		.amdhsa_next_free_sgpr 1
		.amdhsa_reserve_vcc 0
		.amdhsa_float_round_mode_32 0
		.amdhsa_float_round_mode_16_64 0
		.amdhsa_float_denorm_mode_32 3
		.amdhsa_float_denorm_mode_16_64 3
		.amdhsa_dx10_clamp 1
		.amdhsa_ieee_mode 1
		.amdhsa_fp16_overflow 0
		.amdhsa_workgroup_processor_mode 1
		.amdhsa_memory_ordered 1
		.amdhsa_forward_progress 0
		.amdhsa_shared_vgpr_count 0
		.amdhsa_exception_fp_ieee_invalid_op 0
		.amdhsa_exception_fp_denorm_src 0
		.amdhsa_exception_fp_ieee_div_zero 0
		.amdhsa_exception_fp_ieee_overflow 0
		.amdhsa_exception_fp_ieee_underflow 0
		.amdhsa_exception_fp_ieee_inexact 0
		.amdhsa_exception_int_div_zero 0
	.end_amdhsa_kernel
	.section	.text._ZN7rocprim17ROCPRIM_400000_NS6detail17trampoline_kernelINS0_14default_configENS1_27upper_bound_config_selectorIxN6thrust23THRUST_200600_302600_NS6detail10any_assignEEEZNS1_14transform_implILb0ES3_S9_NS7_15normal_iteratorINS6_10device_ptrIxEEEENS6_16discard_iteratorINS6_11use_defaultEEEZNS1_13binary_searchIS3_S9_SE_SE_SH_NS1_21upper_bound_search_opENS7_16wrapped_functionINS0_4lessIvEEbEEEE10hipError_tPvRmT1_T2_T3_mmT4_T5_P12ihipStream_tbEUlRKxE_EESO_SS_ST_mSU_SX_bEUlT_E_NS1_11comp_targetILNS1_3genE3ELNS1_11target_archE908ELNS1_3gpuE7ELNS1_3repE0EEENS1_30default_config_static_selectorELNS0_4arch9wavefront6targetE0EEEvSR_,"axG",@progbits,_ZN7rocprim17ROCPRIM_400000_NS6detail17trampoline_kernelINS0_14default_configENS1_27upper_bound_config_selectorIxN6thrust23THRUST_200600_302600_NS6detail10any_assignEEEZNS1_14transform_implILb0ES3_S9_NS7_15normal_iteratorINS6_10device_ptrIxEEEENS6_16discard_iteratorINS6_11use_defaultEEEZNS1_13binary_searchIS3_S9_SE_SE_SH_NS1_21upper_bound_search_opENS7_16wrapped_functionINS0_4lessIvEEbEEEE10hipError_tPvRmT1_T2_T3_mmT4_T5_P12ihipStream_tbEUlRKxE_EESO_SS_ST_mSU_SX_bEUlT_E_NS1_11comp_targetILNS1_3genE3ELNS1_11target_archE908ELNS1_3gpuE7ELNS1_3repE0EEENS1_30default_config_static_selectorELNS0_4arch9wavefront6targetE0EEEvSR_,comdat
.Lfunc_end576:
	.size	_ZN7rocprim17ROCPRIM_400000_NS6detail17trampoline_kernelINS0_14default_configENS1_27upper_bound_config_selectorIxN6thrust23THRUST_200600_302600_NS6detail10any_assignEEEZNS1_14transform_implILb0ES3_S9_NS7_15normal_iteratorINS6_10device_ptrIxEEEENS6_16discard_iteratorINS6_11use_defaultEEEZNS1_13binary_searchIS3_S9_SE_SE_SH_NS1_21upper_bound_search_opENS7_16wrapped_functionINS0_4lessIvEEbEEEE10hipError_tPvRmT1_T2_T3_mmT4_T5_P12ihipStream_tbEUlRKxE_EESO_SS_ST_mSU_SX_bEUlT_E_NS1_11comp_targetILNS1_3genE3ELNS1_11target_archE908ELNS1_3gpuE7ELNS1_3repE0EEENS1_30default_config_static_selectorELNS0_4arch9wavefront6targetE0EEEvSR_, .Lfunc_end576-_ZN7rocprim17ROCPRIM_400000_NS6detail17trampoline_kernelINS0_14default_configENS1_27upper_bound_config_selectorIxN6thrust23THRUST_200600_302600_NS6detail10any_assignEEEZNS1_14transform_implILb0ES3_S9_NS7_15normal_iteratorINS6_10device_ptrIxEEEENS6_16discard_iteratorINS6_11use_defaultEEEZNS1_13binary_searchIS3_S9_SE_SE_SH_NS1_21upper_bound_search_opENS7_16wrapped_functionINS0_4lessIvEEbEEEE10hipError_tPvRmT1_T2_T3_mmT4_T5_P12ihipStream_tbEUlRKxE_EESO_SS_ST_mSU_SX_bEUlT_E_NS1_11comp_targetILNS1_3genE3ELNS1_11target_archE908ELNS1_3gpuE7ELNS1_3repE0EEENS1_30default_config_static_selectorELNS0_4arch9wavefront6targetE0EEEvSR_
                                        ; -- End function
	.section	.AMDGPU.csdata,"",@progbits
; Kernel info:
; codeLenInByte = 0
; NumSgprs: 0
; NumVgprs: 0
; ScratchSize: 0
; MemoryBound: 0
; FloatMode: 240
; IeeeMode: 1
; LDSByteSize: 0 bytes/workgroup (compile time only)
; SGPRBlocks: 0
; VGPRBlocks: 0
; NumSGPRsForWavesPerEU: 1
; NumVGPRsForWavesPerEU: 1
; Occupancy: 16
; WaveLimiterHint : 0
; COMPUTE_PGM_RSRC2:SCRATCH_EN: 0
; COMPUTE_PGM_RSRC2:USER_SGPR: 15
; COMPUTE_PGM_RSRC2:TRAP_HANDLER: 0
; COMPUTE_PGM_RSRC2:TGID_X_EN: 1
; COMPUTE_PGM_RSRC2:TGID_Y_EN: 0
; COMPUTE_PGM_RSRC2:TGID_Z_EN: 0
; COMPUTE_PGM_RSRC2:TIDIG_COMP_CNT: 0
	.section	.text._ZN7rocprim17ROCPRIM_400000_NS6detail17trampoline_kernelINS0_14default_configENS1_27upper_bound_config_selectorIxN6thrust23THRUST_200600_302600_NS6detail10any_assignEEEZNS1_14transform_implILb0ES3_S9_NS7_15normal_iteratorINS6_10device_ptrIxEEEENS6_16discard_iteratorINS6_11use_defaultEEEZNS1_13binary_searchIS3_S9_SE_SE_SH_NS1_21upper_bound_search_opENS7_16wrapped_functionINS0_4lessIvEEbEEEE10hipError_tPvRmT1_T2_T3_mmT4_T5_P12ihipStream_tbEUlRKxE_EESO_SS_ST_mSU_SX_bEUlT_E_NS1_11comp_targetILNS1_3genE2ELNS1_11target_archE906ELNS1_3gpuE6ELNS1_3repE0EEENS1_30default_config_static_selectorELNS0_4arch9wavefront6targetE0EEEvSR_,"axG",@progbits,_ZN7rocprim17ROCPRIM_400000_NS6detail17trampoline_kernelINS0_14default_configENS1_27upper_bound_config_selectorIxN6thrust23THRUST_200600_302600_NS6detail10any_assignEEEZNS1_14transform_implILb0ES3_S9_NS7_15normal_iteratorINS6_10device_ptrIxEEEENS6_16discard_iteratorINS6_11use_defaultEEEZNS1_13binary_searchIS3_S9_SE_SE_SH_NS1_21upper_bound_search_opENS7_16wrapped_functionINS0_4lessIvEEbEEEE10hipError_tPvRmT1_T2_T3_mmT4_T5_P12ihipStream_tbEUlRKxE_EESO_SS_ST_mSU_SX_bEUlT_E_NS1_11comp_targetILNS1_3genE2ELNS1_11target_archE906ELNS1_3gpuE6ELNS1_3repE0EEENS1_30default_config_static_selectorELNS0_4arch9wavefront6targetE0EEEvSR_,comdat
	.protected	_ZN7rocprim17ROCPRIM_400000_NS6detail17trampoline_kernelINS0_14default_configENS1_27upper_bound_config_selectorIxN6thrust23THRUST_200600_302600_NS6detail10any_assignEEEZNS1_14transform_implILb0ES3_S9_NS7_15normal_iteratorINS6_10device_ptrIxEEEENS6_16discard_iteratorINS6_11use_defaultEEEZNS1_13binary_searchIS3_S9_SE_SE_SH_NS1_21upper_bound_search_opENS7_16wrapped_functionINS0_4lessIvEEbEEEE10hipError_tPvRmT1_T2_T3_mmT4_T5_P12ihipStream_tbEUlRKxE_EESO_SS_ST_mSU_SX_bEUlT_E_NS1_11comp_targetILNS1_3genE2ELNS1_11target_archE906ELNS1_3gpuE6ELNS1_3repE0EEENS1_30default_config_static_selectorELNS0_4arch9wavefront6targetE0EEEvSR_ ; -- Begin function _ZN7rocprim17ROCPRIM_400000_NS6detail17trampoline_kernelINS0_14default_configENS1_27upper_bound_config_selectorIxN6thrust23THRUST_200600_302600_NS6detail10any_assignEEEZNS1_14transform_implILb0ES3_S9_NS7_15normal_iteratorINS6_10device_ptrIxEEEENS6_16discard_iteratorINS6_11use_defaultEEEZNS1_13binary_searchIS3_S9_SE_SE_SH_NS1_21upper_bound_search_opENS7_16wrapped_functionINS0_4lessIvEEbEEEE10hipError_tPvRmT1_T2_T3_mmT4_T5_P12ihipStream_tbEUlRKxE_EESO_SS_ST_mSU_SX_bEUlT_E_NS1_11comp_targetILNS1_3genE2ELNS1_11target_archE906ELNS1_3gpuE6ELNS1_3repE0EEENS1_30default_config_static_selectorELNS0_4arch9wavefront6targetE0EEEvSR_
	.globl	_ZN7rocprim17ROCPRIM_400000_NS6detail17trampoline_kernelINS0_14default_configENS1_27upper_bound_config_selectorIxN6thrust23THRUST_200600_302600_NS6detail10any_assignEEEZNS1_14transform_implILb0ES3_S9_NS7_15normal_iteratorINS6_10device_ptrIxEEEENS6_16discard_iteratorINS6_11use_defaultEEEZNS1_13binary_searchIS3_S9_SE_SE_SH_NS1_21upper_bound_search_opENS7_16wrapped_functionINS0_4lessIvEEbEEEE10hipError_tPvRmT1_T2_T3_mmT4_T5_P12ihipStream_tbEUlRKxE_EESO_SS_ST_mSU_SX_bEUlT_E_NS1_11comp_targetILNS1_3genE2ELNS1_11target_archE906ELNS1_3gpuE6ELNS1_3repE0EEENS1_30default_config_static_selectorELNS0_4arch9wavefront6targetE0EEEvSR_
	.p2align	8
	.type	_ZN7rocprim17ROCPRIM_400000_NS6detail17trampoline_kernelINS0_14default_configENS1_27upper_bound_config_selectorIxN6thrust23THRUST_200600_302600_NS6detail10any_assignEEEZNS1_14transform_implILb0ES3_S9_NS7_15normal_iteratorINS6_10device_ptrIxEEEENS6_16discard_iteratorINS6_11use_defaultEEEZNS1_13binary_searchIS3_S9_SE_SE_SH_NS1_21upper_bound_search_opENS7_16wrapped_functionINS0_4lessIvEEbEEEE10hipError_tPvRmT1_T2_T3_mmT4_T5_P12ihipStream_tbEUlRKxE_EESO_SS_ST_mSU_SX_bEUlT_E_NS1_11comp_targetILNS1_3genE2ELNS1_11target_archE906ELNS1_3gpuE6ELNS1_3repE0EEENS1_30default_config_static_selectorELNS0_4arch9wavefront6targetE0EEEvSR_,@function
_ZN7rocprim17ROCPRIM_400000_NS6detail17trampoline_kernelINS0_14default_configENS1_27upper_bound_config_selectorIxN6thrust23THRUST_200600_302600_NS6detail10any_assignEEEZNS1_14transform_implILb0ES3_S9_NS7_15normal_iteratorINS6_10device_ptrIxEEEENS6_16discard_iteratorINS6_11use_defaultEEEZNS1_13binary_searchIS3_S9_SE_SE_SH_NS1_21upper_bound_search_opENS7_16wrapped_functionINS0_4lessIvEEbEEEE10hipError_tPvRmT1_T2_T3_mmT4_T5_P12ihipStream_tbEUlRKxE_EESO_SS_ST_mSU_SX_bEUlT_E_NS1_11comp_targetILNS1_3genE2ELNS1_11target_archE906ELNS1_3gpuE6ELNS1_3repE0EEENS1_30default_config_static_selectorELNS0_4arch9wavefront6targetE0EEEvSR_: ; @_ZN7rocprim17ROCPRIM_400000_NS6detail17trampoline_kernelINS0_14default_configENS1_27upper_bound_config_selectorIxN6thrust23THRUST_200600_302600_NS6detail10any_assignEEEZNS1_14transform_implILb0ES3_S9_NS7_15normal_iteratorINS6_10device_ptrIxEEEENS6_16discard_iteratorINS6_11use_defaultEEEZNS1_13binary_searchIS3_S9_SE_SE_SH_NS1_21upper_bound_search_opENS7_16wrapped_functionINS0_4lessIvEEbEEEE10hipError_tPvRmT1_T2_T3_mmT4_T5_P12ihipStream_tbEUlRKxE_EESO_SS_ST_mSU_SX_bEUlT_E_NS1_11comp_targetILNS1_3genE2ELNS1_11target_archE906ELNS1_3gpuE6ELNS1_3repE0EEENS1_30default_config_static_selectorELNS0_4arch9wavefront6targetE0EEEvSR_
; %bb.0:
	.section	.rodata,"a",@progbits
	.p2align	6, 0x0
	.amdhsa_kernel _ZN7rocprim17ROCPRIM_400000_NS6detail17trampoline_kernelINS0_14default_configENS1_27upper_bound_config_selectorIxN6thrust23THRUST_200600_302600_NS6detail10any_assignEEEZNS1_14transform_implILb0ES3_S9_NS7_15normal_iteratorINS6_10device_ptrIxEEEENS6_16discard_iteratorINS6_11use_defaultEEEZNS1_13binary_searchIS3_S9_SE_SE_SH_NS1_21upper_bound_search_opENS7_16wrapped_functionINS0_4lessIvEEbEEEE10hipError_tPvRmT1_T2_T3_mmT4_T5_P12ihipStream_tbEUlRKxE_EESO_SS_ST_mSU_SX_bEUlT_E_NS1_11comp_targetILNS1_3genE2ELNS1_11target_archE906ELNS1_3gpuE6ELNS1_3repE0EEENS1_30default_config_static_selectorELNS0_4arch9wavefront6targetE0EEEvSR_
		.amdhsa_group_segment_fixed_size 0
		.amdhsa_private_segment_fixed_size 0
		.amdhsa_kernarg_size 64
		.amdhsa_user_sgpr_count 15
		.amdhsa_user_sgpr_dispatch_ptr 0
		.amdhsa_user_sgpr_queue_ptr 0
		.amdhsa_user_sgpr_kernarg_segment_ptr 1
		.amdhsa_user_sgpr_dispatch_id 0
		.amdhsa_user_sgpr_private_segment_size 0
		.amdhsa_wavefront_size32 1
		.amdhsa_uses_dynamic_stack 0
		.amdhsa_enable_private_segment 0
		.amdhsa_system_sgpr_workgroup_id_x 1
		.amdhsa_system_sgpr_workgroup_id_y 0
		.amdhsa_system_sgpr_workgroup_id_z 0
		.amdhsa_system_sgpr_workgroup_info 0
		.amdhsa_system_vgpr_workitem_id 0
		.amdhsa_next_free_vgpr 1
		.amdhsa_next_free_sgpr 1
		.amdhsa_reserve_vcc 0
		.amdhsa_float_round_mode_32 0
		.amdhsa_float_round_mode_16_64 0
		.amdhsa_float_denorm_mode_32 3
		.amdhsa_float_denorm_mode_16_64 3
		.amdhsa_dx10_clamp 1
		.amdhsa_ieee_mode 1
		.amdhsa_fp16_overflow 0
		.amdhsa_workgroup_processor_mode 1
		.amdhsa_memory_ordered 1
		.amdhsa_forward_progress 0
		.amdhsa_shared_vgpr_count 0
		.amdhsa_exception_fp_ieee_invalid_op 0
		.amdhsa_exception_fp_denorm_src 0
		.amdhsa_exception_fp_ieee_div_zero 0
		.amdhsa_exception_fp_ieee_overflow 0
		.amdhsa_exception_fp_ieee_underflow 0
		.amdhsa_exception_fp_ieee_inexact 0
		.amdhsa_exception_int_div_zero 0
	.end_amdhsa_kernel
	.section	.text._ZN7rocprim17ROCPRIM_400000_NS6detail17trampoline_kernelINS0_14default_configENS1_27upper_bound_config_selectorIxN6thrust23THRUST_200600_302600_NS6detail10any_assignEEEZNS1_14transform_implILb0ES3_S9_NS7_15normal_iteratorINS6_10device_ptrIxEEEENS6_16discard_iteratorINS6_11use_defaultEEEZNS1_13binary_searchIS3_S9_SE_SE_SH_NS1_21upper_bound_search_opENS7_16wrapped_functionINS0_4lessIvEEbEEEE10hipError_tPvRmT1_T2_T3_mmT4_T5_P12ihipStream_tbEUlRKxE_EESO_SS_ST_mSU_SX_bEUlT_E_NS1_11comp_targetILNS1_3genE2ELNS1_11target_archE906ELNS1_3gpuE6ELNS1_3repE0EEENS1_30default_config_static_selectorELNS0_4arch9wavefront6targetE0EEEvSR_,"axG",@progbits,_ZN7rocprim17ROCPRIM_400000_NS6detail17trampoline_kernelINS0_14default_configENS1_27upper_bound_config_selectorIxN6thrust23THRUST_200600_302600_NS6detail10any_assignEEEZNS1_14transform_implILb0ES3_S9_NS7_15normal_iteratorINS6_10device_ptrIxEEEENS6_16discard_iteratorINS6_11use_defaultEEEZNS1_13binary_searchIS3_S9_SE_SE_SH_NS1_21upper_bound_search_opENS7_16wrapped_functionINS0_4lessIvEEbEEEE10hipError_tPvRmT1_T2_T3_mmT4_T5_P12ihipStream_tbEUlRKxE_EESO_SS_ST_mSU_SX_bEUlT_E_NS1_11comp_targetILNS1_3genE2ELNS1_11target_archE906ELNS1_3gpuE6ELNS1_3repE0EEENS1_30default_config_static_selectorELNS0_4arch9wavefront6targetE0EEEvSR_,comdat
.Lfunc_end577:
	.size	_ZN7rocprim17ROCPRIM_400000_NS6detail17trampoline_kernelINS0_14default_configENS1_27upper_bound_config_selectorIxN6thrust23THRUST_200600_302600_NS6detail10any_assignEEEZNS1_14transform_implILb0ES3_S9_NS7_15normal_iteratorINS6_10device_ptrIxEEEENS6_16discard_iteratorINS6_11use_defaultEEEZNS1_13binary_searchIS3_S9_SE_SE_SH_NS1_21upper_bound_search_opENS7_16wrapped_functionINS0_4lessIvEEbEEEE10hipError_tPvRmT1_T2_T3_mmT4_T5_P12ihipStream_tbEUlRKxE_EESO_SS_ST_mSU_SX_bEUlT_E_NS1_11comp_targetILNS1_3genE2ELNS1_11target_archE906ELNS1_3gpuE6ELNS1_3repE0EEENS1_30default_config_static_selectorELNS0_4arch9wavefront6targetE0EEEvSR_, .Lfunc_end577-_ZN7rocprim17ROCPRIM_400000_NS6detail17trampoline_kernelINS0_14default_configENS1_27upper_bound_config_selectorIxN6thrust23THRUST_200600_302600_NS6detail10any_assignEEEZNS1_14transform_implILb0ES3_S9_NS7_15normal_iteratorINS6_10device_ptrIxEEEENS6_16discard_iteratorINS6_11use_defaultEEEZNS1_13binary_searchIS3_S9_SE_SE_SH_NS1_21upper_bound_search_opENS7_16wrapped_functionINS0_4lessIvEEbEEEE10hipError_tPvRmT1_T2_T3_mmT4_T5_P12ihipStream_tbEUlRKxE_EESO_SS_ST_mSU_SX_bEUlT_E_NS1_11comp_targetILNS1_3genE2ELNS1_11target_archE906ELNS1_3gpuE6ELNS1_3repE0EEENS1_30default_config_static_selectorELNS0_4arch9wavefront6targetE0EEEvSR_
                                        ; -- End function
	.section	.AMDGPU.csdata,"",@progbits
; Kernel info:
; codeLenInByte = 0
; NumSgprs: 0
; NumVgprs: 0
; ScratchSize: 0
; MemoryBound: 0
; FloatMode: 240
; IeeeMode: 1
; LDSByteSize: 0 bytes/workgroup (compile time only)
; SGPRBlocks: 0
; VGPRBlocks: 0
; NumSGPRsForWavesPerEU: 1
; NumVGPRsForWavesPerEU: 1
; Occupancy: 16
; WaveLimiterHint : 0
; COMPUTE_PGM_RSRC2:SCRATCH_EN: 0
; COMPUTE_PGM_RSRC2:USER_SGPR: 15
; COMPUTE_PGM_RSRC2:TRAP_HANDLER: 0
; COMPUTE_PGM_RSRC2:TGID_X_EN: 1
; COMPUTE_PGM_RSRC2:TGID_Y_EN: 0
; COMPUTE_PGM_RSRC2:TGID_Z_EN: 0
; COMPUTE_PGM_RSRC2:TIDIG_COMP_CNT: 0
	.section	.text._ZN7rocprim17ROCPRIM_400000_NS6detail17trampoline_kernelINS0_14default_configENS1_27upper_bound_config_selectorIxN6thrust23THRUST_200600_302600_NS6detail10any_assignEEEZNS1_14transform_implILb0ES3_S9_NS7_15normal_iteratorINS6_10device_ptrIxEEEENS6_16discard_iteratorINS6_11use_defaultEEEZNS1_13binary_searchIS3_S9_SE_SE_SH_NS1_21upper_bound_search_opENS7_16wrapped_functionINS0_4lessIvEEbEEEE10hipError_tPvRmT1_T2_T3_mmT4_T5_P12ihipStream_tbEUlRKxE_EESO_SS_ST_mSU_SX_bEUlT_E_NS1_11comp_targetILNS1_3genE10ELNS1_11target_archE1201ELNS1_3gpuE5ELNS1_3repE0EEENS1_30default_config_static_selectorELNS0_4arch9wavefront6targetE0EEEvSR_,"axG",@progbits,_ZN7rocprim17ROCPRIM_400000_NS6detail17trampoline_kernelINS0_14default_configENS1_27upper_bound_config_selectorIxN6thrust23THRUST_200600_302600_NS6detail10any_assignEEEZNS1_14transform_implILb0ES3_S9_NS7_15normal_iteratorINS6_10device_ptrIxEEEENS6_16discard_iteratorINS6_11use_defaultEEEZNS1_13binary_searchIS3_S9_SE_SE_SH_NS1_21upper_bound_search_opENS7_16wrapped_functionINS0_4lessIvEEbEEEE10hipError_tPvRmT1_T2_T3_mmT4_T5_P12ihipStream_tbEUlRKxE_EESO_SS_ST_mSU_SX_bEUlT_E_NS1_11comp_targetILNS1_3genE10ELNS1_11target_archE1201ELNS1_3gpuE5ELNS1_3repE0EEENS1_30default_config_static_selectorELNS0_4arch9wavefront6targetE0EEEvSR_,comdat
	.protected	_ZN7rocprim17ROCPRIM_400000_NS6detail17trampoline_kernelINS0_14default_configENS1_27upper_bound_config_selectorIxN6thrust23THRUST_200600_302600_NS6detail10any_assignEEEZNS1_14transform_implILb0ES3_S9_NS7_15normal_iteratorINS6_10device_ptrIxEEEENS6_16discard_iteratorINS6_11use_defaultEEEZNS1_13binary_searchIS3_S9_SE_SE_SH_NS1_21upper_bound_search_opENS7_16wrapped_functionINS0_4lessIvEEbEEEE10hipError_tPvRmT1_T2_T3_mmT4_T5_P12ihipStream_tbEUlRKxE_EESO_SS_ST_mSU_SX_bEUlT_E_NS1_11comp_targetILNS1_3genE10ELNS1_11target_archE1201ELNS1_3gpuE5ELNS1_3repE0EEENS1_30default_config_static_selectorELNS0_4arch9wavefront6targetE0EEEvSR_ ; -- Begin function _ZN7rocprim17ROCPRIM_400000_NS6detail17trampoline_kernelINS0_14default_configENS1_27upper_bound_config_selectorIxN6thrust23THRUST_200600_302600_NS6detail10any_assignEEEZNS1_14transform_implILb0ES3_S9_NS7_15normal_iteratorINS6_10device_ptrIxEEEENS6_16discard_iteratorINS6_11use_defaultEEEZNS1_13binary_searchIS3_S9_SE_SE_SH_NS1_21upper_bound_search_opENS7_16wrapped_functionINS0_4lessIvEEbEEEE10hipError_tPvRmT1_T2_T3_mmT4_T5_P12ihipStream_tbEUlRKxE_EESO_SS_ST_mSU_SX_bEUlT_E_NS1_11comp_targetILNS1_3genE10ELNS1_11target_archE1201ELNS1_3gpuE5ELNS1_3repE0EEENS1_30default_config_static_selectorELNS0_4arch9wavefront6targetE0EEEvSR_
	.globl	_ZN7rocprim17ROCPRIM_400000_NS6detail17trampoline_kernelINS0_14default_configENS1_27upper_bound_config_selectorIxN6thrust23THRUST_200600_302600_NS6detail10any_assignEEEZNS1_14transform_implILb0ES3_S9_NS7_15normal_iteratorINS6_10device_ptrIxEEEENS6_16discard_iteratorINS6_11use_defaultEEEZNS1_13binary_searchIS3_S9_SE_SE_SH_NS1_21upper_bound_search_opENS7_16wrapped_functionINS0_4lessIvEEbEEEE10hipError_tPvRmT1_T2_T3_mmT4_T5_P12ihipStream_tbEUlRKxE_EESO_SS_ST_mSU_SX_bEUlT_E_NS1_11comp_targetILNS1_3genE10ELNS1_11target_archE1201ELNS1_3gpuE5ELNS1_3repE0EEENS1_30default_config_static_selectorELNS0_4arch9wavefront6targetE0EEEvSR_
	.p2align	8
	.type	_ZN7rocprim17ROCPRIM_400000_NS6detail17trampoline_kernelINS0_14default_configENS1_27upper_bound_config_selectorIxN6thrust23THRUST_200600_302600_NS6detail10any_assignEEEZNS1_14transform_implILb0ES3_S9_NS7_15normal_iteratorINS6_10device_ptrIxEEEENS6_16discard_iteratorINS6_11use_defaultEEEZNS1_13binary_searchIS3_S9_SE_SE_SH_NS1_21upper_bound_search_opENS7_16wrapped_functionINS0_4lessIvEEbEEEE10hipError_tPvRmT1_T2_T3_mmT4_T5_P12ihipStream_tbEUlRKxE_EESO_SS_ST_mSU_SX_bEUlT_E_NS1_11comp_targetILNS1_3genE10ELNS1_11target_archE1201ELNS1_3gpuE5ELNS1_3repE0EEENS1_30default_config_static_selectorELNS0_4arch9wavefront6targetE0EEEvSR_,@function
_ZN7rocprim17ROCPRIM_400000_NS6detail17trampoline_kernelINS0_14default_configENS1_27upper_bound_config_selectorIxN6thrust23THRUST_200600_302600_NS6detail10any_assignEEEZNS1_14transform_implILb0ES3_S9_NS7_15normal_iteratorINS6_10device_ptrIxEEEENS6_16discard_iteratorINS6_11use_defaultEEEZNS1_13binary_searchIS3_S9_SE_SE_SH_NS1_21upper_bound_search_opENS7_16wrapped_functionINS0_4lessIvEEbEEEE10hipError_tPvRmT1_T2_T3_mmT4_T5_P12ihipStream_tbEUlRKxE_EESO_SS_ST_mSU_SX_bEUlT_E_NS1_11comp_targetILNS1_3genE10ELNS1_11target_archE1201ELNS1_3gpuE5ELNS1_3repE0EEENS1_30default_config_static_selectorELNS0_4arch9wavefront6targetE0EEEvSR_: ; @_ZN7rocprim17ROCPRIM_400000_NS6detail17trampoline_kernelINS0_14default_configENS1_27upper_bound_config_selectorIxN6thrust23THRUST_200600_302600_NS6detail10any_assignEEEZNS1_14transform_implILb0ES3_S9_NS7_15normal_iteratorINS6_10device_ptrIxEEEENS6_16discard_iteratorINS6_11use_defaultEEEZNS1_13binary_searchIS3_S9_SE_SE_SH_NS1_21upper_bound_search_opENS7_16wrapped_functionINS0_4lessIvEEbEEEE10hipError_tPvRmT1_T2_T3_mmT4_T5_P12ihipStream_tbEUlRKxE_EESO_SS_ST_mSU_SX_bEUlT_E_NS1_11comp_targetILNS1_3genE10ELNS1_11target_archE1201ELNS1_3gpuE5ELNS1_3repE0EEENS1_30default_config_static_selectorELNS0_4arch9wavefront6targetE0EEEvSR_
; %bb.0:
	.section	.rodata,"a",@progbits
	.p2align	6, 0x0
	.amdhsa_kernel _ZN7rocprim17ROCPRIM_400000_NS6detail17trampoline_kernelINS0_14default_configENS1_27upper_bound_config_selectorIxN6thrust23THRUST_200600_302600_NS6detail10any_assignEEEZNS1_14transform_implILb0ES3_S9_NS7_15normal_iteratorINS6_10device_ptrIxEEEENS6_16discard_iteratorINS6_11use_defaultEEEZNS1_13binary_searchIS3_S9_SE_SE_SH_NS1_21upper_bound_search_opENS7_16wrapped_functionINS0_4lessIvEEbEEEE10hipError_tPvRmT1_T2_T3_mmT4_T5_P12ihipStream_tbEUlRKxE_EESO_SS_ST_mSU_SX_bEUlT_E_NS1_11comp_targetILNS1_3genE10ELNS1_11target_archE1201ELNS1_3gpuE5ELNS1_3repE0EEENS1_30default_config_static_selectorELNS0_4arch9wavefront6targetE0EEEvSR_
		.amdhsa_group_segment_fixed_size 0
		.amdhsa_private_segment_fixed_size 0
		.amdhsa_kernarg_size 64
		.amdhsa_user_sgpr_count 15
		.amdhsa_user_sgpr_dispatch_ptr 0
		.amdhsa_user_sgpr_queue_ptr 0
		.amdhsa_user_sgpr_kernarg_segment_ptr 1
		.amdhsa_user_sgpr_dispatch_id 0
		.amdhsa_user_sgpr_private_segment_size 0
		.amdhsa_wavefront_size32 1
		.amdhsa_uses_dynamic_stack 0
		.amdhsa_enable_private_segment 0
		.amdhsa_system_sgpr_workgroup_id_x 1
		.amdhsa_system_sgpr_workgroup_id_y 0
		.amdhsa_system_sgpr_workgroup_id_z 0
		.amdhsa_system_sgpr_workgroup_info 0
		.amdhsa_system_vgpr_workitem_id 0
		.amdhsa_next_free_vgpr 1
		.amdhsa_next_free_sgpr 1
		.amdhsa_reserve_vcc 0
		.amdhsa_float_round_mode_32 0
		.amdhsa_float_round_mode_16_64 0
		.amdhsa_float_denorm_mode_32 3
		.amdhsa_float_denorm_mode_16_64 3
		.amdhsa_dx10_clamp 1
		.amdhsa_ieee_mode 1
		.amdhsa_fp16_overflow 0
		.amdhsa_workgroup_processor_mode 1
		.amdhsa_memory_ordered 1
		.amdhsa_forward_progress 0
		.amdhsa_shared_vgpr_count 0
		.amdhsa_exception_fp_ieee_invalid_op 0
		.amdhsa_exception_fp_denorm_src 0
		.amdhsa_exception_fp_ieee_div_zero 0
		.amdhsa_exception_fp_ieee_overflow 0
		.amdhsa_exception_fp_ieee_underflow 0
		.amdhsa_exception_fp_ieee_inexact 0
		.amdhsa_exception_int_div_zero 0
	.end_amdhsa_kernel
	.section	.text._ZN7rocprim17ROCPRIM_400000_NS6detail17trampoline_kernelINS0_14default_configENS1_27upper_bound_config_selectorIxN6thrust23THRUST_200600_302600_NS6detail10any_assignEEEZNS1_14transform_implILb0ES3_S9_NS7_15normal_iteratorINS6_10device_ptrIxEEEENS6_16discard_iteratorINS6_11use_defaultEEEZNS1_13binary_searchIS3_S9_SE_SE_SH_NS1_21upper_bound_search_opENS7_16wrapped_functionINS0_4lessIvEEbEEEE10hipError_tPvRmT1_T2_T3_mmT4_T5_P12ihipStream_tbEUlRKxE_EESO_SS_ST_mSU_SX_bEUlT_E_NS1_11comp_targetILNS1_3genE10ELNS1_11target_archE1201ELNS1_3gpuE5ELNS1_3repE0EEENS1_30default_config_static_selectorELNS0_4arch9wavefront6targetE0EEEvSR_,"axG",@progbits,_ZN7rocprim17ROCPRIM_400000_NS6detail17trampoline_kernelINS0_14default_configENS1_27upper_bound_config_selectorIxN6thrust23THRUST_200600_302600_NS6detail10any_assignEEEZNS1_14transform_implILb0ES3_S9_NS7_15normal_iteratorINS6_10device_ptrIxEEEENS6_16discard_iteratorINS6_11use_defaultEEEZNS1_13binary_searchIS3_S9_SE_SE_SH_NS1_21upper_bound_search_opENS7_16wrapped_functionINS0_4lessIvEEbEEEE10hipError_tPvRmT1_T2_T3_mmT4_T5_P12ihipStream_tbEUlRKxE_EESO_SS_ST_mSU_SX_bEUlT_E_NS1_11comp_targetILNS1_3genE10ELNS1_11target_archE1201ELNS1_3gpuE5ELNS1_3repE0EEENS1_30default_config_static_selectorELNS0_4arch9wavefront6targetE0EEEvSR_,comdat
.Lfunc_end578:
	.size	_ZN7rocprim17ROCPRIM_400000_NS6detail17trampoline_kernelINS0_14default_configENS1_27upper_bound_config_selectorIxN6thrust23THRUST_200600_302600_NS6detail10any_assignEEEZNS1_14transform_implILb0ES3_S9_NS7_15normal_iteratorINS6_10device_ptrIxEEEENS6_16discard_iteratorINS6_11use_defaultEEEZNS1_13binary_searchIS3_S9_SE_SE_SH_NS1_21upper_bound_search_opENS7_16wrapped_functionINS0_4lessIvEEbEEEE10hipError_tPvRmT1_T2_T3_mmT4_T5_P12ihipStream_tbEUlRKxE_EESO_SS_ST_mSU_SX_bEUlT_E_NS1_11comp_targetILNS1_3genE10ELNS1_11target_archE1201ELNS1_3gpuE5ELNS1_3repE0EEENS1_30default_config_static_selectorELNS0_4arch9wavefront6targetE0EEEvSR_, .Lfunc_end578-_ZN7rocprim17ROCPRIM_400000_NS6detail17trampoline_kernelINS0_14default_configENS1_27upper_bound_config_selectorIxN6thrust23THRUST_200600_302600_NS6detail10any_assignEEEZNS1_14transform_implILb0ES3_S9_NS7_15normal_iteratorINS6_10device_ptrIxEEEENS6_16discard_iteratorINS6_11use_defaultEEEZNS1_13binary_searchIS3_S9_SE_SE_SH_NS1_21upper_bound_search_opENS7_16wrapped_functionINS0_4lessIvEEbEEEE10hipError_tPvRmT1_T2_T3_mmT4_T5_P12ihipStream_tbEUlRKxE_EESO_SS_ST_mSU_SX_bEUlT_E_NS1_11comp_targetILNS1_3genE10ELNS1_11target_archE1201ELNS1_3gpuE5ELNS1_3repE0EEENS1_30default_config_static_selectorELNS0_4arch9wavefront6targetE0EEEvSR_
                                        ; -- End function
	.section	.AMDGPU.csdata,"",@progbits
; Kernel info:
; codeLenInByte = 0
; NumSgprs: 0
; NumVgprs: 0
; ScratchSize: 0
; MemoryBound: 0
; FloatMode: 240
; IeeeMode: 1
; LDSByteSize: 0 bytes/workgroup (compile time only)
; SGPRBlocks: 0
; VGPRBlocks: 0
; NumSGPRsForWavesPerEU: 1
; NumVGPRsForWavesPerEU: 1
; Occupancy: 16
; WaveLimiterHint : 0
; COMPUTE_PGM_RSRC2:SCRATCH_EN: 0
; COMPUTE_PGM_RSRC2:USER_SGPR: 15
; COMPUTE_PGM_RSRC2:TRAP_HANDLER: 0
; COMPUTE_PGM_RSRC2:TGID_X_EN: 1
; COMPUTE_PGM_RSRC2:TGID_Y_EN: 0
; COMPUTE_PGM_RSRC2:TGID_Z_EN: 0
; COMPUTE_PGM_RSRC2:TIDIG_COMP_CNT: 0
	.section	.text._ZN7rocprim17ROCPRIM_400000_NS6detail17trampoline_kernelINS0_14default_configENS1_27upper_bound_config_selectorIxN6thrust23THRUST_200600_302600_NS6detail10any_assignEEEZNS1_14transform_implILb0ES3_S9_NS7_15normal_iteratorINS6_10device_ptrIxEEEENS6_16discard_iteratorINS6_11use_defaultEEEZNS1_13binary_searchIS3_S9_SE_SE_SH_NS1_21upper_bound_search_opENS7_16wrapped_functionINS0_4lessIvEEbEEEE10hipError_tPvRmT1_T2_T3_mmT4_T5_P12ihipStream_tbEUlRKxE_EESO_SS_ST_mSU_SX_bEUlT_E_NS1_11comp_targetILNS1_3genE10ELNS1_11target_archE1200ELNS1_3gpuE4ELNS1_3repE0EEENS1_30default_config_static_selectorELNS0_4arch9wavefront6targetE0EEEvSR_,"axG",@progbits,_ZN7rocprim17ROCPRIM_400000_NS6detail17trampoline_kernelINS0_14default_configENS1_27upper_bound_config_selectorIxN6thrust23THRUST_200600_302600_NS6detail10any_assignEEEZNS1_14transform_implILb0ES3_S9_NS7_15normal_iteratorINS6_10device_ptrIxEEEENS6_16discard_iteratorINS6_11use_defaultEEEZNS1_13binary_searchIS3_S9_SE_SE_SH_NS1_21upper_bound_search_opENS7_16wrapped_functionINS0_4lessIvEEbEEEE10hipError_tPvRmT1_T2_T3_mmT4_T5_P12ihipStream_tbEUlRKxE_EESO_SS_ST_mSU_SX_bEUlT_E_NS1_11comp_targetILNS1_3genE10ELNS1_11target_archE1200ELNS1_3gpuE4ELNS1_3repE0EEENS1_30default_config_static_selectorELNS0_4arch9wavefront6targetE0EEEvSR_,comdat
	.protected	_ZN7rocprim17ROCPRIM_400000_NS6detail17trampoline_kernelINS0_14default_configENS1_27upper_bound_config_selectorIxN6thrust23THRUST_200600_302600_NS6detail10any_assignEEEZNS1_14transform_implILb0ES3_S9_NS7_15normal_iteratorINS6_10device_ptrIxEEEENS6_16discard_iteratorINS6_11use_defaultEEEZNS1_13binary_searchIS3_S9_SE_SE_SH_NS1_21upper_bound_search_opENS7_16wrapped_functionINS0_4lessIvEEbEEEE10hipError_tPvRmT1_T2_T3_mmT4_T5_P12ihipStream_tbEUlRKxE_EESO_SS_ST_mSU_SX_bEUlT_E_NS1_11comp_targetILNS1_3genE10ELNS1_11target_archE1200ELNS1_3gpuE4ELNS1_3repE0EEENS1_30default_config_static_selectorELNS0_4arch9wavefront6targetE0EEEvSR_ ; -- Begin function _ZN7rocprim17ROCPRIM_400000_NS6detail17trampoline_kernelINS0_14default_configENS1_27upper_bound_config_selectorIxN6thrust23THRUST_200600_302600_NS6detail10any_assignEEEZNS1_14transform_implILb0ES3_S9_NS7_15normal_iteratorINS6_10device_ptrIxEEEENS6_16discard_iteratorINS6_11use_defaultEEEZNS1_13binary_searchIS3_S9_SE_SE_SH_NS1_21upper_bound_search_opENS7_16wrapped_functionINS0_4lessIvEEbEEEE10hipError_tPvRmT1_T2_T3_mmT4_T5_P12ihipStream_tbEUlRKxE_EESO_SS_ST_mSU_SX_bEUlT_E_NS1_11comp_targetILNS1_3genE10ELNS1_11target_archE1200ELNS1_3gpuE4ELNS1_3repE0EEENS1_30default_config_static_selectorELNS0_4arch9wavefront6targetE0EEEvSR_
	.globl	_ZN7rocprim17ROCPRIM_400000_NS6detail17trampoline_kernelINS0_14default_configENS1_27upper_bound_config_selectorIxN6thrust23THRUST_200600_302600_NS6detail10any_assignEEEZNS1_14transform_implILb0ES3_S9_NS7_15normal_iteratorINS6_10device_ptrIxEEEENS6_16discard_iteratorINS6_11use_defaultEEEZNS1_13binary_searchIS3_S9_SE_SE_SH_NS1_21upper_bound_search_opENS7_16wrapped_functionINS0_4lessIvEEbEEEE10hipError_tPvRmT1_T2_T3_mmT4_T5_P12ihipStream_tbEUlRKxE_EESO_SS_ST_mSU_SX_bEUlT_E_NS1_11comp_targetILNS1_3genE10ELNS1_11target_archE1200ELNS1_3gpuE4ELNS1_3repE0EEENS1_30default_config_static_selectorELNS0_4arch9wavefront6targetE0EEEvSR_
	.p2align	8
	.type	_ZN7rocprim17ROCPRIM_400000_NS6detail17trampoline_kernelINS0_14default_configENS1_27upper_bound_config_selectorIxN6thrust23THRUST_200600_302600_NS6detail10any_assignEEEZNS1_14transform_implILb0ES3_S9_NS7_15normal_iteratorINS6_10device_ptrIxEEEENS6_16discard_iteratorINS6_11use_defaultEEEZNS1_13binary_searchIS3_S9_SE_SE_SH_NS1_21upper_bound_search_opENS7_16wrapped_functionINS0_4lessIvEEbEEEE10hipError_tPvRmT1_T2_T3_mmT4_T5_P12ihipStream_tbEUlRKxE_EESO_SS_ST_mSU_SX_bEUlT_E_NS1_11comp_targetILNS1_3genE10ELNS1_11target_archE1200ELNS1_3gpuE4ELNS1_3repE0EEENS1_30default_config_static_selectorELNS0_4arch9wavefront6targetE0EEEvSR_,@function
_ZN7rocprim17ROCPRIM_400000_NS6detail17trampoline_kernelINS0_14default_configENS1_27upper_bound_config_selectorIxN6thrust23THRUST_200600_302600_NS6detail10any_assignEEEZNS1_14transform_implILb0ES3_S9_NS7_15normal_iteratorINS6_10device_ptrIxEEEENS6_16discard_iteratorINS6_11use_defaultEEEZNS1_13binary_searchIS3_S9_SE_SE_SH_NS1_21upper_bound_search_opENS7_16wrapped_functionINS0_4lessIvEEbEEEE10hipError_tPvRmT1_T2_T3_mmT4_T5_P12ihipStream_tbEUlRKxE_EESO_SS_ST_mSU_SX_bEUlT_E_NS1_11comp_targetILNS1_3genE10ELNS1_11target_archE1200ELNS1_3gpuE4ELNS1_3repE0EEENS1_30default_config_static_selectorELNS0_4arch9wavefront6targetE0EEEvSR_: ; @_ZN7rocprim17ROCPRIM_400000_NS6detail17trampoline_kernelINS0_14default_configENS1_27upper_bound_config_selectorIxN6thrust23THRUST_200600_302600_NS6detail10any_assignEEEZNS1_14transform_implILb0ES3_S9_NS7_15normal_iteratorINS6_10device_ptrIxEEEENS6_16discard_iteratorINS6_11use_defaultEEEZNS1_13binary_searchIS3_S9_SE_SE_SH_NS1_21upper_bound_search_opENS7_16wrapped_functionINS0_4lessIvEEbEEEE10hipError_tPvRmT1_T2_T3_mmT4_T5_P12ihipStream_tbEUlRKxE_EESO_SS_ST_mSU_SX_bEUlT_E_NS1_11comp_targetILNS1_3genE10ELNS1_11target_archE1200ELNS1_3gpuE4ELNS1_3repE0EEENS1_30default_config_static_selectorELNS0_4arch9wavefront6targetE0EEEvSR_
; %bb.0:
	.section	.rodata,"a",@progbits
	.p2align	6, 0x0
	.amdhsa_kernel _ZN7rocprim17ROCPRIM_400000_NS6detail17trampoline_kernelINS0_14default_configENS1_27upper_bound_config_selectorIxN6thrust23THRUST_200600_302600_NS6detail10any_assignEEEZNS1_14transform_implILb0ES3_S9_NS7_15normal_iteratorINS6_10device_ptrIxEEEENS6_16discard_iteratorINS6_11use_defaultEEEZNS1_13binary_searchIS3_S9_SE_SE_SH_NS1_21upper_bound_search_opENS7_16wrapped_functionINS0_4lessIvEEbEEEE10hipError_tPvRmT1_T2_T3_mmT4_T5_P12ihipStream_tbEUlRKxE_EESO_SS_ST_mSU_SX_bEUlT_E_NS1_11comp_targetILNS1_3genE10ELNS1_11target_archE1200ELNS1_3gpuE4ELNS1_3repE0EEENS1_30default_config_static_selectorELNS0_4arch9wavefront6targetE0EEEvSR_
		.amdhsa_group_segment_fixed_size 0
		.amdhsa_private_segment_fixed_size 0
		.amdhsa_kernarg_size 64
		.amdhsa_user_sgpr_count 15
		.amdhsa_user_sgpr_dispatch_ptr 0
		.amdhsa_user_sgpr_queue_ptr 0
		.amdhsa_user_sgpr_kernarg_segment_ptr 1
		.amdhsa_user_sgpr_dispatch_id 0
		.amdhsa_user_sgpr_private_segment_size 0
		.amdhsa_wavefront_size32 1
		.amdhsa_uses_dynamic_stack 0
		.amdhsa_enable_private_segment 0
		.amdhsa_system_sgpr_workgroup_id_x 1
		.amdhsa_system_sgpr_workgroup_id_y 0
		.amdhsa_system_sgpr_workgroup_id_z 0
		.amdhsa_system_sgpr_workgroup_info 0
		.amdhsa_system_vgpr_workitem_id 0
		.amdhsa_next_free_vgpr 1
		.amdhsa_next_free_sgpr 1
		.amdhsa_reserve_vcc 0
		.amdhsa_float_round_mode_32 0
		.amdhsa_float_round_mode_16_64 0
		.amdhsa_float_denorm_mode_32 3
		.amdhsa_float_denorm_mode_16_64 3
		.amdhsa_dx10_clamp 1
		.amdhsa_ieee_mode 1
		.amdhsa_fp16_overflow 0
		.amdhsa_workgroup_processor_mode 1
		.amdhsa_memory_ordered 1
		.amdhsa_forward_progress 0
		.amdhsa_shared_vgpr_count 0
		.amdhsa_exception_fp_ieee_invalid_op 0
		.amdhsa_exception_fp_denorm_src 0
		.amdhsa_exception_fp_ieee_div_zero 0
		.amdhsa_exception_fp_ieee_overflow 0
		.amdhsa_exception_fp_ieee_underflow 0
		.amdhsa_exception_fp_ieee_inexact 0
		.amdhsa_exception_int_div_zero 0
	.end_amdhsa_kernel
	.section	.text._ZN7rocprim17ROCPRIM_400000_NS6detail17trampoline_kernelINS0_14default_configENS1_27upper_bound_config_selectorIxN6thrust23THRUST_200600_302600_NS6detail10any_assignEEEZNS1_14transform_implILb0ES3_S9_NS7_15normal_iteratorINS6_10device_ptrIxEEEENS6_16discard_iteratorINS6_11use_defaultEEEZNS1_13binary_searchIS3_S9_SE_SE_SH_NS1_21upper_bound_search_opENS7_16wrapped_functionINS0_4lessIvEEbEEEE10hipError_tPvRmT1_T2_T3_mmT4_T5_P12ihipStream_tbEUlRKxE_EESO_SS_ST_mSU_SX_bEUlT_E_NS1_11comp_targetILNS1_3genE10ELNS1_11target_archE1200ELNS1_3gpuE4ELNS1_3repE0EEENS1_30default_config_static_selectorELNS0_4arch9wavefront6targetE0EEEvSR_,"axG",@progbits,_ZN7rocprim17ROCPRIM_400000_NS6detail17trampoline_kernelINS0_14default_configENS1_27upper_bound_config_selectorIxN6thrust23THRUST_200600_302600_NS6detail10any_assignEEEZNS1_14transform_implILb0ES3_S9_NS7_15normal_iteratorINS6_10device_ptrIxEEEENS6_16discard_iteratorINS6_11use_defaultEEEZNS1_13binary_searchIS3_S9_SE_SE_SH_NS1_21upper_bound_search_opENS7_16wrapped_functionINS0_4lessIvEEbEEEE10hipError_tPvRmT1_T2_T3_mmT4_T5_P12ihipStream_tbEUlRKxE_EESO_SS_ST_mSU_SX_bEUlT_E_NS1_11comp_targetILNS1_3genE10ELNS1_11target_archE1200ELNS1_3gpuE4ELNS1_3repE0EEENS1_30default_config_static_selectorELNS0_4arch9wavefront6targetE0EEEvSR_,comdat
.Lfunc_end579:
	.size	_ZN7rocprim17ROCPRIM_400000_NS6detail17trampoline_kernelINS0_14default_configENS1_27upper_bound_config_selectorIxN6thrust23THRUST_200600_302600_NS6detail10any_assignEEEZNS1_14transform_implILb0ES3_S9_NS7_15normal_iteratorINS6_10device_ptrIxEEEENS6_16discard_iteratorINS6_11use_defaultEEEZNS1_13binary_searchIS3_S9_SE_SE_SH_NS1_21upper_bound_search_opENS7_16wrapped_functionINS0_4lessIvEEbEEEE10hipError_tPvRmT1_T2_T3_mmT4_T5_P12ihipStream_tbEUlRKxE_EESO_SS_ST_mSU_SX_bEUlT_E_NS1_11comp_targetILNS1_3genE10ELNS1_11target_archE1200ELNS1_3gpuE4ELNS1_3repE0EEENS1_30default_config_static_selectorELNS0_4arch9wavefront6targetE0EEEvSR_, .Lfunc_end579-_ZN7rocprim17ROCPRIM_400000_NS6detail17trampoline_kernelINS0_14default_configENS1_27upper_bound_config_selectorIxN6thrust23THRUST_200600_302600_NS6detail10any_assignEEEZNS1_14transform_implILb0ES3_S9_NS7_15normal_iteratorINS6_10device_ptrIxEEEENS6_16discard_iteratorINS6_11use_defaultEEEZNS1_13binary_searchIS3_S9_SE_SE_SH_NS1_21upper_bound_search_opENS7_16wrapped_functionINS0_4lessIvEEbEEEE10hipError_tPvRmT1_T2_T3_mmT4_T5_P12ihipStream_tbEUlRKxE_EESO_SS_ST_mSU_SX_bEUlT_E_NS1_11comp_targetILNS1_3genE10ELNS1_11target_archE1200ELNS1_3gpuE4ELNS1_3repE0EEENS1_30default_config_static_selectorELNS0_4arch9wavefront6targetE0EEEvSR_
                                        ; -- End function
	.section	.AMDGPU.csdata,"",@progbits
; Kernel info:
; codeLenInByte = 0
; NumSgprs: 0
; NumVgprs: 0
; ScratchSize: 0
; MemoryBound: 0
; FloatMode: 240
; IeeeMode: 1
; LDSByteSize: 0 bytes/workgroup (compile time only)
; SGPRBlocks: 0
; VGPRBlocks: 0
; NumSGPRsForWavesPerEU: 1
; NumVGPRsForWavesPerEU: 1
; Occupancy: 16
; WaveLimiterHint : 0
; COMPUTE_PGM_RSRC2:SCRATCH_EN: 0
; COMPUTE_PGM_RSRC2:USER_SGPR: 15
; COMPUTE_PGM_RSRC2:TRAP_HANDLER: 0
; COMPUTE_PGM_RSRC2:TGID_X_EN: 1
; COMPUTE_PGM_RSRC2:TGID_Y_EN: 0
; COMPUTE_PGM_RSRC2:TGID_Z_EN: 0
; COMPUTE_PGM_RSRC2:TIDIG_COMP_CNT: 0
	.section	.text._ZN7rocprim17ROCPRIM_400000_NS6detail17trampoline_kernelINS0_14default_configENS1_27upper_bound_config_selectorIxN6thrust23THRUST_200600_302600_NS6detail10any_assignEEEZNS1_14transform_implILb0ES3_S9_NS7_15normal_iteratorINS6_10device_ptrIxEEEENS6_16discard_iteratorINS6_11use_defaultEEEZNS1_13binary_searchIS3_S9_SE_SE_SH_NS1_21upper_bound_search_opENS7_16wrapped_functionINS0_4lessIvEEbEEEE10hipError_tPvRmT1_T2_T3_mmT4_T5_P12ihipStream_tbEUlRKxE_EESO_SS_ST_mSU_SX_bEUlT_E_NS1_11comp_targetILNS1_3genE9ELNS1_11target_archE1100ELNS1_3gpuE3ELNS1_3repE0EEENS1_30default_config_static_selectorELNS0_4arch9wavefront6targetE0EEEvSR_,"axG",@progbits,_ZN7rocprim17ROCPRIM_400000_NS6detail17trampoline_kernelINS0_14default_configENS1_27upper_bound_config_selectorIxN6thrust23THRUST_200600_302600_NS6detail10any_assignEEEZNS1_14transform_implILb0ES3_S9_NS7_15normal_iteratorINS6_10device_ptrIxEEEENS6_16discard_iteratorINS6_11use_defaultEEEZNS1_13binary_searchIS3_S9_SE_SE_SH_NS1_21upper_bound_search_opENS7_16wrapped_functionINS0_4lessIvEEbEEEE10hipError_tPvRmT1_T2_T3_mmT4_T5_P12ihipStream_tbEUlRKxE_EESO_SS_ST_mSU_SX_bEUlT_E_NS1_11comp_targetILNS1_3genE9ELNS1_11target_archE1100ELNS1_3gpuE3ELNS1_3repE0EEENS1_30default_config_static_selectorELNS0_4arch9wavefront6targetE0EEEvSR_,comdat
	.protected	_ZN7rocprim17ROCPRIM_400000_NS6detail17trampoline_kernelINS0_14default_configENS1_27upper_bound_config_selectorIxN6thrust23THRUST_200600_302600_NS6detail10any_assignEEEZNS1_14transform_implILb0ES3_S9_NS7_15normal_iteratorINS6_10device_ptrIxEEEENS6_16discard_iteratorINS6_11use_defaultEEEZNS1_13binary_searchIS3_S9_SE_SE_SH_NS1_21upper_bound_search_opENS7_16wrapped_functionINS0_4lessIvEEbEEEE10hipError_tPvRmT1_T2_T3_mmT4_T5_P12ihipStream_tbEUlRKxE_EESO_SS_ST_mSU_SX_bEUlT_E_NS1_11comp_targetILNS1_3genE9ELNS1_11target_archE1100ELNS1_3gpuE3ELNS1_3repE0EEENS1_30default_config_static_selectorELNS0_4arch9wavefront6targetE0EEEvSR_ ; -- Begin function _ZN7rocprim17ROCPRIM_400000_NS6detail17trampoline_kernelINS0_14default_configENS1_27upper_bound_config_selectorIxN6thrust23THRUST_200600_302600_NS6detail10any_assignEEEZNS1_14transform_implILb0ES3_S9_NS7_15normal_iteratorINS6_10device_ptrIxEEEENS6_16discard_iteratorINS6_11use_defaultEEEZNS1_13binary_searchIS3_S9_SE_SE_SH_NS1_21upper_bound_search_opENS7_16wrapped_functionINS0_4lessIvEEbEEEE10hipError_tPvRmT1_T2_T3_mmT4_T5_P12ihipStream_tbEUlRKxE_EESO_SS_ST_mSU_SX_bEUlT_E_NS1_11comp_targetILNS1_3genE9ELNS1_11target_archE1100ELNS1_3gpuE3ELNS1_3repE0EEENS1_30default_config_static_selectorELNS0_4arch9wavefront6targetE0EEEvSR_
	.globl	_ZN7rocprim17ROCPRIM_400000_NS6detail17trampoline_kernelINS0_14default_configENS1_27upper_bound_config_selectorIxN6thrust23THRUST_200600_302600_NS6detail10any_assignEEEZNS1_14transform_implILb0ES3_S9_NS7_15normal_iteratorINS6_10device_ptrIxEEEENS6_16discard_iteratorINS6_11use_defaultEEEZNS1_13binary_searchIS3_S9_SE_SE_SH_NS1_21upper_bound_search_opENS7_16wrapped_functionINS0_4lessIvEEbEEEE10hipError_tPvRmT1_T2_T3_mmT4_T5_P12ihipStream_tbEUlRKxE_EESO_SS_ST_mSU_SX_bEUlT_E_NS1_11comp_targetILNS1_3genE9ELNS1_11target_archE1100ELNS1_3gpuE3ELNS1_3repE0EEENS1_30default_config_static_selectorELNS0_4arch9wavefront6targetE0EEEvSR_
	.p2align	8
	.type	_ZN7rocprim17ROCPRIM_400000_NS6detail17trampoline_kernelINS0_14default_configENS1_27upper_bound_config_selectorIxN6thrust23THRUST_200600_302600_NS6detail10any_assignEEEZNS1_14transform_implILb0ES3_S9_NS7_15normal_iteratorINS6_10device_ptrIxEEEENS6_16discard_iteratorINS6_11use_defaultEEEZNS1_13binary_searchIS3_S9_SE_SE_SH_NS1_21upper_bound_search_opENS7_16wrapped_functionINS0_4lessIvEEbEEEE10hipError_tPvRmT1_T2_T3_mmT4_T5_P12ihipStream_tbEUlRKxE_EESO_SS_ST_mSU_SX_bEUlT_E_NS1_11comp_targetILNS1_3genE9ELNS1_11target_archE1100ELNS1_3gpuE3ELNS1_3repE0EEENS1_30default_config_static_selectorELNS0_4arch9wavefront6targetE0EEEvSR_,@function
_ZN7rocprim17ROCPRIM_400000_NS6detail17trampoline_kernelINS0_14default_configENS1_27upper_bound_config_selectorIxN6thrust23THRUST_200600_302600_NS6detail10any_assignEEEZNS1_14transform_implILb0ES3_S9_NS7_15normal_iteratorINS6_10device_ptrIxEEEENS6_16discard_iteratorINS6_11use_defaultEEEZNS1_13binary_searchIS3_S9_SE_SE_SH_NS1_21upper_bound_search_opENS7_16wrapped_functionINS0_4lessIvEEbEEEE10hipError_tPvRmT1_T2_T3_mmT4_T5_P12ihipStream_tbEUlRKxE_EESO_SS_ST_mSU_SX_bEUlT_E_NS1_11comp_targetILNS1_3genE9ELNS1_11target_archE1100ELNS1_3gpuE3ELNS1_3repE0EEENS1_30default_config_static_selectorELNS0_4arch9wavefront6targetE0EEEvSR_: ; @_ZN7rocprim17ROCPRIM_400000_NS6detail17trampoline_kernelINS0_14default_configENS1_27upper_bound_config_selectorIxN6thrust23THRUST_200600_302600_NS6detail10any_assignEEEZNS1_14transform_implILb0ES3_S9_NS7_15normal_iteratorINS6_10device_ptrIxEEEENS6_16discard_iteratorINS6_11use_defaultEEEZNS1_13binary_searchIS3_S9_SE_SE_SH_NS1_21upper_bound_search_opENS7_16wrapped_functionINS0_4lessIvEEbEEEE10hipError_tPvRmT1_T2_T3_mmT4_T5_P12ihipStream_tbEUlRKxE_EESO_SS_ST_mSU_SX_bEUlT_E_NS1_11comp_targetILNS1_3genE9ELNS1_11target_archE1100ELNS1_3gpuE3ELNS1_3repE0EEENS1_30default_config_static_selectorELNS0_4arch9wavefront6targetE0EEEvSR_
; %bb.0:
	s_endpgm
	.section	.rodata,"a",@progbits
	.p2align	6, 0x0
	.amdhsa_kernel _ZN7rocprim17ROCPRIM_400000_NS6detail17trampoline_kernelINS0_14default_configENS1_27upper_bound_config_selectorIxN6thrust23THRUST_200600_302600_NS6detail10any_assignEEEZNS1_14transform_implILb0ES3_S9_NS7_15normal_iteratorINS6_10device_ptrIxEEEENS6_16discard_iteratorINS6_11use_defaultEEEZNS1_13binary_searchIS3_S9_SE_SE_SH_NS1_21upper_bound_search_opENS7_16wrapped_functionINS0_4lessIvEEbEEEE10hipError_tPvRmT1_T2_T3_mmT4_T5_P12ihipStream_tbEUlRKxE_EESO_SS_ST_mSU_SX_bEUlT_E_NS1_11comp_targetILNS1_3genE9ELNS1_11target_archE1100ELNS1_3gpuE3ELNS1_3repE0EEENS1_30default_config_static_selectorELNS0_4arch9wavefront6targetE0EEEvSR_
		.amdhsa_group_segment_fixed_size 0
		.amdhsa_private_segment_fixed_size 0
		.amdhsa_kernarg_size 64
		.amdhsa_user_sgpr_count 15
		.amdhsa_user_sgpr_dispatch_ptr 0
		.amdhsa_user_sgpr_queue_ptr 0
		.amdhsa_user_sgpr_kernarg_segment_ptr 1
		.amdhsa_user_sgpr_dispatch_id 0
		.amdhsa_user_sgpr_private_segment_size 0
		.amdhsa_wavefront_size32 1
		.amdhsa_uses_dynamic_stack 0
		.amdhsa_enable_private_segment 0
		.amdhsa_system_sgpr_workgroup_id_x 1
		.amdhsa_system_sgpr_workgroup_id_y 0
		.amdhsa_system_sgpr_workgroup_id_z 0
		.amdhsa_system_sgpr_workgroup_info 0
		.amdhsa_system_vgpr_workitem_id 0
		.amdhsa_next_free_vgpr 1
		.amdhsa_next_free_sgpr 1
		.amdhsa_reserve_vcc 0
		.amdhsa_float_round_mode_32 0
		.amdhsa_float_round_mode_16_64 0
		.amdhsa_float_denorm_mode_32 3
		.amdhsa_float_denorm_mode_16_64 3
		.amdhsa_dx10_clamp 1
		.amdhsa_ieee_mode 1
		.amdhsa_fp16_overflow 0
		.amdhsa_workgroup_processor_mode 1
		.amdhsa_memory_ordered 1
		.amdhsa_forward_progress 0
		.amdhsa_shared_vgpr_count 0
		.amdhsa_exception_fp_ieee_invalid_op 0
		.amdhsa_exception_fp_denorm_src 0
		.amdhsa_exception_fp_ieee_div_zero 0
		.amdhsa_exception_fp_ieee_overflow 0
		.amdhsa_exception_fp_ieee_underflow 0
		.amdhsa_exception_fp_ieee_inexact 0
		.amdhsa_exception_int_div_zero 0
	.end_amdhsa_kernel
	.section	.text._ZN7rocprim17ROCPRIM_400000_NS6detail17trampoline_kernelINS0_14default_configENS1_27upper_bound_config_selectorIxN6thrust23THRUST_200600_302600_NS6detail10any_assignEEEZNS1_14transform_implILb0ES3_S9_NS7_15normal_iteratorINS6_10device_ptrIxEEEENS6_16discard_iteratorINS6_11use_defaultEEEZNS1_13binary_searchIS3_S9_SE_SE_SH_NS1_21upper_bound_search_opENS7_16wrapped_functionINS0_4lessIvEEbEEEE10hipError_tPvRmT1_T2_T3_mmT4_T5_P12ihipStream_tbEUlRKxE_EESO_SS_ST_mSU_SX_bEUlT_E_NS1_11comp_targetILNS1_3genE9ELNS1_11target_archE1100ELNS1_3gpuE3ELNS1_3repE0EEENS1_30default_config_static_selectorELNS0_4arch9wavefront6targetE0EEEvSR_,"axG",@progbits,_ZN7rocprim17ROCPRIM_400000_NS6detail17trampoline_kernelINS0_14default_configENS1_27upper_bound_config_selectorIxN6thrust23THRUST_200600_302600_NS6detail10any_assignEEEZNS1_14transform_implILb0ES3_S9_NS7_15normal_iteratorINS6_10device_ptrIxEEEENS6_16discard_iteratorINS6_11use_defaultEEEZNS1_13binary_searchIS3_S9_SE_SE_SH_NS1_21upper_bound_search_opENS7_16wrapped_functionINS0_4lessIvEEbEEEE10hipError_tPvRmT1_T2_T3_mmT4_T5_P12ihipStream_tbEUlRKxE_EESO_SS_ST_mSU_SX_bEUlT_E_NS1_11comp_targetILNS1_3genE9ELNS1_11target_archE1100ELNS1_3gpuE3ELNS1_3repE0EEENS1_30default_config_static_selectorELNS0_4arch9wavefront6targetE0EEEvSR_,comdat
.Lfunc_end580:
	.size	_ZN7rocprim17ROCPRIM_400000_NS6detail17trampoline_kernelINS0_14default_configENS1_27upper_bound_config_selectorIxN6thrust23THRUST_200600_302600_NS6detail10any_assignEEEZNS1_14transform_implILb0ES3_S9_NS7_15normal_iteratorINS6_10device_ptrIxEEEENS6_16discard_iteratorINS6_11use_defaultEEEZNS1_13binary_searchIS3_S9_SE_SE_SH_NS1_21upper_bound_search_opENS7_16wrapped_functionINS0_4lessIvEEbEEEE10hipError_tPvRmT1_T2_T3_mmT4_T5_P12ihipStream_tbEUlRKxE_EESO_SS_ST_mSU_SX_bEUlT_E_NS1_11comp_targetILNS1_3genE9ELNS1_11target_archE1100ELNS1_3gpuE3ELNS1_3repE0EEENS1_30default_config_static_selectorELNS0_4arch9wavefront6targetE0EEEvSR_, .Lfunc_end580-_ZN7rocprim17ROCPRIM_400000_NS6detail17trampoline_kernelINS0_14default_configENS1_27upper_bound_config_selectorIxN6thrust23THRUST_200600_302600_NS6detail10any_assignEEEZNS1_14transform_implILb0ES3_S9_NS7_15normal_iteratorINS6_10device_ptrIxEEEENS6_16discard_iteratorINS6_11use_defaultEEEZNS1_13binary_searchIS3_S9_SE_SE_SH_NS1_21upper_bound_search_opENS7_16wrapped_functionINS0_4lessIvEEbEEEE10hipError_tPvRmT1_T2_T3_mmT4_T5_P12ihipStream_tbEUlRKxE_EESO_SS_ST_mSU_SX_bEUlT_E_NS1_11comp_targetILNS1_3genE9ELNS1_11target_archE1100ELNS1_3gpuE3ELNS1_3repE0EEENS1_30default_config_static_selectorELNS0_4arch9wavefront6targetE0EEEvSR_
                                        ; -- End function
	.section	.AMDGPU.csdata,"",@progbits
; Kernel info:
; codeLenInByte = 4
; NumSgprs: 0
; NumVgprs: 0
; ScratchSize: 0
; MemoryBound: 0
; FloatMode: 240
; IeeeMode: 1
; LDSByteSize: 0 bytes/workgroup (compile time only)
; SGPRBlocks: 0
; VGPRBlocks: 0
; NumSGPRsForWavesPerEU: 1
; NumVGPRsForWavesPerEU: 1
; Occupancy: 16
; WaveLimiterHint : 0
; COMPUTE_PGM_RSRC2:SCRATCH_EN: 0
; COMPUTE_PGM_RSRC2:USER_SGPR: 15
; COMPUTE_PGM_RSRC2:TRAP_HANDLER: 0
; COMPUTE_PGM_RSRC2:TGID_X_EN: 1
; COMPUTE_PGM_RSRC2:TGID_Y_EN: 0
; COMPUTE_PGM_RSRC2:TGID_Z_EN: 0
; COMPUTE_PGM_RSRC2:TIDIG_COMP_CNT: 0
	.section	.text._ZN7rocprim17ROCPRIM_400000_NS6detail17trampoline_kernelINS0_14default_configENS1_27upper_bound_config_selectorIxN6thrust23THRUST_200600_302600_NS6detail10any_assignEEEZNS1_14transform_implILb0ES3_S9_NS7_15normal_iteratorINS6_10device_ptrIxEEEENS6_16discard_iteratorINS6_11use_defaultEEEZNS1_13binary_searchIS3_S9_SE_SE_SH_NS1_21upper_bound_search_opENS7_16wrapped_functionINS0_4lessIvEEbEEEE10hipError_tPvRmT1_T2_T3_mmT4_T5_P12ihipStream_tbEUlRKxE_EESO_SS_ST_mSU_SX_bEUlT_E_NS1_11comp_targetILNS1_3genE8ELNS1_11target_archE1030ELNS1_3gpuE2ELNS1_3repE0EEENS1_30default_config_static_selectorELNS0_4arch9wavefront6targetE0EEEvSR_,"axG",@progbits,_ZN7rocprim17ROCPRIM_400000_NS6detail17trampoline_kernelINS0_14default_configENS1_27upper_bound_config_selectorIxN6thrust23THRUST_200600_302600_NS6detail10any_assignEEEZNS1_14transform_implILb0ES3_S9_NS7_15normal_iteratorINS6_10device_ptrIxEEEENS6_16discard_iteratorINS6_11use_defaultEEEZNS1_13binary_searchIS3_S9_SE_SE_SH_NS1_21upper_bound_search_opENS7_16wrapped_functionINS0_4lessIvEEbEEEE10hipError_tPvRmT1_T2_T3_mmT4_T5_P12ihipStream_tbEUlRKxE_EESO_SS_ST_mSU_SX_bEUlT_E_NS1_11comp_targetILNS1_3genE8ELNS1_11target_archE1030ELNS1_3gpuE2ELNS1_3repE0EEENS1_30default_config_static_selectorELNS0_4arch9wavefront6targetE0EEEvSR_,comdat
	.protected	_ZN7rocprim17ROCPRIM_400000_NS6detail17trampoline_kernelINS0_14default_configENS1_27upper_bound_config_selectorIxN6thrust23THRUST_200600_302600_NS6detail10any_assignEEEZNS1_14transform_implILb0ES3_S9_NS7_15normal_iteratorINS6_10device_ptrIxEEEENS6_16discard_iteratorINS6_11use_defaultEEEZNS1_13binary_searchIS3_S9_SE_SE_SH_NS1_21upper_bound_search_opENS7_16wrapped_functionINS0_4lessIvEEbEEEE10hipError_tPvRmT1_T2_T3_mmT4_T5_P12ihipStream_tbEUlRKxE_EESO_SS_ST_mSU_SX_bEUlT_E_NS1_11comp_targetILNS1_3genE8ELNS1_11target_archE1030ELNS1_3gpuE2ELNS1_3repE0EEENS1_30default_config_static_selectorELNS0_4arch9wavefront6targetE0EEEvSR_ ; -- Begin function _ZN7rocprim17ROCPRIM_400000_NS6detail17trampoline_kernelINS0_14default_configENS1_27upper_bound_config_selectorIxN6thrust23THRUST_200600_302600_NS6detail10any_assignEEEZNS1_14transform_implILb0ES3_S9_NS7_15normal_iteratorINS6_10device_ptrIxEEEENS6_16discard_iteratorINS6_11use_defaultEEEZNS1_13binary_searchIS3_S9_SE_SE_SH_NS1_21upper_bound_search_opENS7_16wrapped_functionINS0_4lessIvEEbEEEE10hipError_tPvRmT1_T2_T3_mmT4_T5_P12ihipStream_tbEUlRKxE_EESO_SS_ST_mSU_SX_bEUlT_E_NS1_11comp_targetILNS1_3genE8ELNS1_11target_archE1030ELNS1_3gpuE2ELNS1_3repE0EEENS1_30default_config_static_selectorELNS0_4arch9wavefront6targetE0EEEvSR_
	.globl	_ZN7rocprim17ROCPRIM_400000_NS6detail17trampoline_kernelINS0_14default_configENS1_27upper_bound_config_selectorIxN6thrust23THRUST_200600_302600_NS6detail10any_assignEEEZNS1_14transform_implILb0ES3_S9_NS7_15normal_iteratorINS6_10device_ptrIxEEEENS6_16discard_iteratorINS6_11use_defaultEEEZNS1_13binary_searchIS3_S9_SE_SE_SH_NS1_21upper_bound_search_opENS7_16wrapped_functionINS0_4lessIvEEbEEEE10hipError_tPvRmT1_T2_T3_mmT4_T5_P12ihipStream_tbEUlRKxE_EESO_SS_ST_mSU_SX_bEUlT_E_NS1_11comp_targetILNS1_3genE8ELNS1_11target_archE1030ELNS1_3gpuE2ELNS1_3repE0EEENS1_30default_config_static_selectorELNS0_4arch9wavefront6targetE0EEEvSR_
	.p2align	8
	.type	_ZN7rocprim17ROCPRIM_400000_NS6detail17trampoline_kernelINS0_14default_configENS1_27upper_bound_config_selectorIxN6thrust23THRUST_200600_302600_NS6detail10any_assignEEEZNS1_14transform_implILb0ES3_S9_NS7_15normal_iteratorINS6_10device_ptrIxEEEENS6_16discard_iteratorINS6_11use_defaultEEEZNS1_13binary_searchIS3_S9_SE_SE_SH_NS1_21upper_bound_search_opENS7_16wrapped_functionINS0_4lessIvEEbEEEE10hipError_tPvRmT1_T2_T3_mmT4_T5_P12ihipStream_tbEUlRKxE_EESO_SS_ST_mSU_SX_bEUlT_E_NS1_11comp_targetILNS1_3genE8ELNS1_11target_archE1030ELNS1_3gpuE2ELNS1_3repE0EEENS1_30default_config_static_selectorELNS0_4arch9wavefront6targetE0EEEvSR_,@function
_ZN7rocprim17ROCPRIM_400000_NS6detail17trampoline_kernelINS0_14default_configENS1_27upper_bound_config_selectorIxN6thrust23THRUST_200600_302600_NS6detail10any_assignEEEZNS1_14transform_implILb0ES3_S9_NS7_15normal_iteratorINS6_10device_ptrIxEEEENS6_16discard_iteratorINS6_11use_defaultEEEZNS1_13binary_searchIS3_S9_SE_SE_SH_NS1_21upper_bound_search_opENS7_16wrapped_functionINS0_4lessIvEEbEEEE10hipError_tPvRmT1_T2_T3_mmT4_T5_P12ihipStream_tbEUlRKxE_EESO_SS_ST_mSU_SX_bEUlT_E_NS1_11comp_targetILNS1_3genE8ELNS1_11target_archE1030ELNS1_3gpuE2ELNS1_3repE0EEENS1_30default_config_static_selectorELNS0_4arch9wavefront6targetE0EEEvSR_: ; @_ZN7rocprim17ROCPRIM_400000_NS6detail17trampoline_kernelINS0_14default_configENS1_27upper_bound_config_selectorIxN6thrust23THRUST_200600_302600_NS6detail10any_assignEEEZNS1_14transform_implILb0ES3_S9_NS7_15normal_iteratorINS6_10device_ptrIxEEEENS6_16discard_iteratorINS6_11use_defaultEEEZNS1_13binary_searchIS3_S9_SE_SE_SH_NS1_21upper_bound_search_opENS7_16wrapped_functionINS0_4lessIvEEbEEEE10hipError_tPvRmT1_T2_T3_mmT4_T5_P12ihipStream_tbEUlRKxE_EESO_SS_ST_mSU_SX_bEUlT_E_NS1_11comp_targetILNS1_3genE8ELNS1_11target_archE1030ELNS1_3gpuE2ELNS1_3repE0EEENS1_30default_config_static_selectorELNS0_4arch9wavefront6targetE0EEEvSR_
; %bb.0:
	.section	.rodata,"a",@progbits
	.p2align	6, 0x0
	.amdhsa_kernel _ZN7rocprim17ROCPRIM_400000_NS6detail17trampoline_kernelINS0_14default_configENS1_27upper_bound_config_selectorIxN6thrust23THRUST_200600_302600_NS6detail10any_assignEEEZNS1_14transform_implILb0ES3_S9_NS7_15normal_iteratorINS6_10device_ptrIxEEEENS6_16discard_iteratorINS6_11use_defaultEEEZNS1_13binary_searchIS3_S9_SE_SE_SH_NS1_21upper_bound_search_opENS7_16wrapped_functionINS0_4lessIvEEbEEEE10hipError_tPvRmT1_T2_T3_mmT4_T5_P12ihipStream_tbEUlRKxE_EESO_SS_ST_mSU_SX_bEUlT_E_NS1_11comp_targetILNS1_3genE8ELNS1_11target_archE1030ELNS1_3gpuE2ELNS1_3repE0EEENS1_30default_config_static_selectorELNS0_4arch9wavefront6targetE0EEEvSR_
		.amdhsa_group_segment_fixed_size 0
		.amdhsa_private_segment_fixed_size 0
		.amdhsa_kernarg_size 64
		.amdhsa_user_sgpr_count 15
		.amdhsa_user_sgpr_dispatch_ptr 0
		.amdhsa_user_sgpr_queue_ptr 0
		.amdhsa_user_sgpr_kernarg_segment_ptr 1
		.amdhsa_user_sgpr_dispatch_id 0
		.amdhsa_user_sgpr_private_segment_size 0
		.amdhsa_wavefront_size32 1
		.amdhsa_uses_dynamic_stack 0
		.amdhsa_enable_private_segment 0
		.amdhsa_system_sgpr_workgroup_id_x 1
		.amdhsa_system_sgpr_workgroup_id_y 0
		.amdhsa_system_sgpr_workgroup_id_z 0
		.amdhsa_system_sgpr_workgroup_info 0
		.amdhsa_system_vgpr_workitem_id 0
		.amdhsa_next_free_vgpr 1
		.amdhsa_next_free_sgpr 1
		.amdhsa_reserve_vcc 0
		.amdhsa_float_round_mode_32 0
		.amdhsa_float_round_mode_16_64 0
		.amdhsa_float_denorm_mode_32 3
		.amdhsa_float_denorm_mode_16_64 3
		.amdhsa_dx10_clamp 1
		.amdhsa_ieee_mode 1
		.amdhsa_fp16_overflow 0
		.amdhsa_workgroup_processor_mode 1
		.amdhsa_memory_ordered 1
		.amdhsa_forward_progress 0
		.amdhsa_shared_vgpr_count 0
		.amdhsa_exception_fp_ieee_invalid_op 0
		.amdhsa_exception_fp_denorm_src 0
		.amdhsa_exception_fp_ieee_div_zero 0
		.amdhsa_exception_fp_ieee_overflow 0
		.amdhsa_exception_fp_ieee_underflow 0
		.amdhsa_exception_fp_ieee_inexact 0
		.amdhsa_exception_int_div_zero 0
	.end_amdhsa_kernel
	.section	.text._ZN7rocprim17ROCPRIM_400000_NS6detail17trampoline_kernelINS0_14default_configENS1_27upper_bound_config_selectorIxN6thrust23THRUST_200600_302600_NS6detail10any_assignEEEZNS1_14transform_implILb0ES3_S9_NS7_15normal_iteratorINS6_10device_ptrIxEEEENS6_16discard_iteratorINS6_11use_defaultEEEZNS1_13binary_searchIS3_S9_SE_SE_SH_NS1_21upper_bound_search_opENS7_16wrapped_functionINS0_4lessIvEEbEEEE10hipError_tPvRmT1_T2_T3_mmT4_T5_P12ihipStream_tbEUlRKxE_EESO_SS_ST_mSU_SX_bEUlT_E_NS1_11comp_targetILNS1_3genE8ELNS1_11target_archE1030ELNS1_3gpuE2ELNS1_3repE0EEENS1_30default_config_static_selectorELNS0_4arch9wavefront6targetE0EEEvSR_,"axG",@progbits,_ZN7rocprim17ROCPRIM_400000_NS6detail17trampoline_kernelINS0_14default_configENS1_27upper_bound_config_selectorIxN6thrust23THRUST_200600_302600_NS6detail10any_assignEEEZNS1_14transform_implILb0ES3_S9_NS7_15normal_iteratorINS6_10device_ptrIxEEEENS6_16discard_iteratorINS6_11use_defaultEEEZNS1_13binary_searchIS3_S9_SE_SE_SH_NS1_21upper_bound_search_opENS7_16wrapped_functionINS0_4lessIvEEbEEEE10hipError_tPvRmT1_T2_T3_mmT4_T5_P12ihipStream_tbEUlRKxE_EESO_SS_ST_mSU_SX_bEUlT_E_NS1_11comp_targetILNS1_3genE8ELNS1_11target_archE1030ELNS1_3gpuE2ELNS1_3repE0EEENS1_30default_config_static_selectorELNS0_4arch9wavefront6targetE0EEEvSR_,comdat
.Lfunc_end581:
	.size	_ZN7rocprim17ROCPRIM_400000_NS6detail17trampoline_kernelINS0_14default_configENS1_27upper_bound_config_selectorIxN6thrust23THRUST_200600_302600_NS6detail10any_assignEEEZNS1_14transform_implILb0ES3_S9_NS7_15normal_iteratorINS6_10device_ptrIxEEEENS6_16discard_iteratorINS6_11use_defaultEEEZNS1_13binary_searchIS3_S9_SE_SE_SH_NS1_21upper_bound_search_opENS7_16wrapped_functionINS0_4lessIvEEbEEEE10hipError_tPvRmT1_T2_T3_mmT4_T5_P12ihipStream_tbEUlRKxE_EESO_SS_ST_mSU_SX_bEUlT_E_NS1_11comp_targetILNS1_3genE8ELNS1_11target_archE1030ELNS1_3gpuE2ELNS1_3repE0EEENS1_30default_config_static_selectorELNS0_4arch9wavefront6targetE0EEEvSR_, .Lfunc_end581-_ZN7rocprim17ROCPRIM_400000_NS6detail17trampoline_kernelINS0_14default_configENS1_27upper_bound_config_selectorIxN6thrust23THRUST_200600_302600_NS6detail10any_assignEEEZNS1_14transform_implILb0ES3_S9_NS7_15normal_iteratorINS6_10device_ptrIxEEEENS6_16discard_iteratorINS6_11use_defaultEEEZNS1_13binary_searchIS3_S9_SE_SE_SH_NS1_21upper_bound_search_opENS7_16wrapped_functionINS0_4lessIvEEbEEEE10hipError_tPvRmT1_T2_T3_mmT4_T5_P12ihipStream_tbEUlRKxE_EESO_SS_ST_mSU_SX_bEUlT_E_NS1_11comp_targetILNS1_3genE8ELNS1_11target_archE1030ELNS1_3gpuE2ELNS1_3repE0EEENS1_30default_config_static_selectorELNS0_4arch9wavefront6targetE0EEEvSR_
                                        ; -- End function
	.section	.AMDGPU.csdata,"",@progbits
; Kernel info:
; codeLenInByte = 0
; NumSgprs: 0
; NumVgprs: 0
; ScratchSize: 0
; MemoryBound: 0
; FloatMode: 240
; IeeeMode: 1
; LDSByteSize: 0 bytes/workgroup (compile time only)
; SGPRBlocks: 0
; VGPRBlocks: 0
; NumSGPRsForWavesPerEU: 1
; NumVGPRsForWavesPerEU: 1
; Occupancy: 16
; WaveLimiterHint : 0
; COMPUTE_PGM_RSRC2:SCRATCH_EN: 0
; COMPUTE_PGM_RSRC2:USER_SGPR: 15
; COMPUTE_PGM_RSRC2:TRAP_HANDLER: 0
; COMPUTE_PGM_RSRC2:TGID_X_EN: 1
; COMPUTE_PGM_RSRC2:TGID_Y_EN: 0
; COMPUTE_PGM_RSRC2:TGID_Z_EN: 0
; COMPUTE_PGM_RSRC2:TIDIG_COMP_CNT: 0
	.section	.text._ZN7rocprim17ROCPRIM_400000_NS6detail17trampoline_kernelINS0_14default_configENS1_27upper_bound_config_selectorIiN6thrust23THRUST_200600_302600_NS6detail10any_assignEEEZNS1_14transform_implILb0ES3_S9_NS7_15normal_iteratorINS6_10device_ptrIiEEEENS6_16discard_iteratorINS6_11use_defaultEEEZNS1_13binary_searchIS3_S9_SE_SE_SH_NS1_21upper_bound_search_opENS7_16wrapped_functionINS0_4lessIvEEbEEEE10hipError_tPvRmT1_T2_T3_mmT4_T5_P12ihipStream_tbEUlRKiE_EESO_SS_ST_mSU_SX_bEUlT_E_NS1_11comp_targetILNS1_3genE0ELNS1_11target_archE4294967295ELNS1_3gpuE0ELNS1_3repE0EEENS1_30default_config_static_selectorELNS0_4arch9wavefront6targetE0EEEvSR_,"axG",@progbits,_ZN7rocprim17ROCPRIM_400000_NS6detail17trampoline_kernelINS0_14default_configENS1_27upper_bound_config_selectorIiN6thrust23THRUST_200600_302600_NS6detail10any_assignEEEZNS1_14transform_implILb0ES3_S9_NS7_15normal_iteratorINS6_10device_ptrIiEEEENS6_16discard_iteratorINS6_11use_defaultEEEZNS1_13binary_searchIS3_S9_SE_SE_SH_NS1_21upper_bound_search_opENS7_16wrapped_functionINS0_4lessIvEEbEEEE10hipError_tPvRmT1_T2_T3_mmT4_T5_P12ihipStream_tbEUlRKiE_EESO_SS_ST_mSU_SX_bEUlT_E_NS1_11comp_targetILNS1_3genE0ELNS1_11target_archE4294967295ELNS1_3gpuE0ELNS1_3repE0EEENS1_30default_config_static_selectorELNS0_4arch9wavefront6targetE0EEEvSR_,comdat
	.protected	_ZN7rocprim17ROCPRIM_400000_NS6detail17trampoline_kernelINS0_14default_configENS1_27upper_bound_config_selectorIiN6thrust23THRUST_200600_302600_NS6detail10any_assignEEEZNS1_14transform_implILb0ES3_S9_NS7_15normal_iteratorINS6_10device_ptrIiEEEENS6_16discard_iteratorINS6_11use_defaultEEEZNS1_13binary_searchIS3_S9_SE_SE_SH_NS1_21upper_bound_search_opENS7_16wrapped_functionINS0_4lessIvEEbEEEE10hipError_tPvRmT1_T2_T3_mmT4_T5_P12ihipStream_tbEUlRKiE_EESO_SS_ST_mSU_SX_bEUlT_E_NS1_11comp_targetILNS1_3genE0ELNS1_11target_archE4294967295ELNS1_3gpuE0ELNS1_3repE0EEENS1_30default_config_static_selectorELNS0_4arch9wavefront6targetE0EEEvSR_ ; -- Begin function _ZN7rocprim17ROCPRIM_400000_NS6detail17trampoline_kernelINS0_14default_configENS1_27upper_bound_config_selectorIiN6thrust23THRUST_200600_302600_NS6detail10any_assignEEEZNS1_14transform_implILb0ES3_S9_NS7_15normal_iteratorINS6_10device_ptrIiEEEENS6_16discard_iteratorINS6_11use_defaultEEEZNS1_13binary_searchIS3_S9_SE_SE_SH_NS1_21upper_bound_search_opENS7_16wrapped_functionINS0_4lessIvEEbEEEE10hipError_tPvRmT1_T2_T3_mmT4_T5_P12ihipStream_tbEUlRKiE_EESO_SS_ST_mSU_SX_bEUlT_E_NS1_11comp_targetILNS1_3genE0ELNS1_11target_archE4294967295ELNS1_3gpuE0ELNS1_3repE0EEENS1_30default_config_static_selectorELNS0_4arch9wavefront6targetE0EEEvSR_
	.globl	_ZN7rocprim17ROCPRIM_400000_NS6detail17trampoline_kernelINS0_14default_configENS1_27upper_bound_config_selectorIiN6thrust23THRUST_200600_302600_NS6detail10any_assignEEEZNS1_14transform_implILb0ES3_S9_NS7_15normal_iteratorINS6_10device_ptrIiEEEENS6_16discard_iteratorINS6_11use_defaultEEEZNS1_13binary_searchIS3_S9_SE_SE_SH_NS1_21upper_bound_search_opENS7_16wrapped_functionINS0_4lessIvEEbEEEE10hipError_tPvRmT1_T2_T3_mmT4_T5_P12ihipStream_tbEUlRKiE_EESO_SS_ST_mSU_SX_bEUlT_E_NS1_11comp_targetILNS1_3genE0ELNS1_11target_archE4294967295ELNS1_3gpuE0ELNS1_3repE0EEENS1_30default_config_static_selectorELNS0_4arch9wavefront6targetE0EEEvSR_
	.p2align	8
	.type	_ZN7rocprim17ROCPRIM_400000_NS6detail17trampoline_kernelINS0_14default_configENS1_27upper_bound_config_selectorIiN6thrust23THRUST_200600_302600_NS6detail10any_assignEEEZNS1_14transform_implILb0ES3_S9_NS7_15normal_iteratorINS6_10device_ptrIiEEEENS6_16discard_iteratorINS6_11use_defaultEEEZNS1_13binary_searchIS3_S9_SE_SE_SH_NS1_21upper_bound_search_opENS7_16wrapped_functionINS0_4lessIvEEbEEEE10hipError_tPvRmT1_T2_T3_mmT4_T5_P12ihipStream_tbEUlRKiE_EESO_SS_ST_mSU_SX_bEUlT_E_NS1_11comp_targetILNS1_3genE0ELNS1_11target_archE4294967295ELNS1_3gpuE0ELNS1_3repE0EEENS1_30default_config_static_selectorELNS0_4arch9wavefront6targetE0EEEvSR_,@function
_ZN7rocprim17ROCPRIM_400000_NS6detail17trampoline_kernelINS0_14default_configENS1_27upper_bound_config_selectorIiN6thrust23THRUST_200600_302600_NS6detail10any_assignEEEZNS1_14transform_implILb0ES3_S9_NS7_15normal_iteratorINS6_10device_ptrIiEEEENS6_16discard_iteratorINS6_11use_defaultEEEZNS1_13binary_searchIS3_S9_SE_SE_SH_NS1_21upper_bound_search_opENS7_16wrapped_functionINS0_4lessIvEEbEEEE10hipError_tPvRmT1_T2_T3_mmT4_T5_P12ihipStream_tbEUlRKiE_EESO_SS_ST_mSU_SX_bEUlT_E_NS1_11comp_targetILNS1_3genE0ELNS1_11target_archE4294967295ELNS1_3gpuE0ELNS1_3repE0EEENS1_30default_config_static_selectorELNS0_4arch9wavefront6targetE0EEEvSR_: ; @_ZN7rocprim17ROCPRIM_400000_NS6detail17trampoline_kernelINS0_14default_configENS1_27upper_bound_config_selectorIiN6thrust23THRUST_200600_302600_NS6detail10any_assignEEEZNS1_14transform_implILb0ES3_S9_NS7_15normal_iteratorINS6_10device_ptrIiEEEENS6_16discard_iteratorINS6_11use_defaultEEEZNS1_13binary_searchIS3_S9_SE_SE_SH_NS1_21upper_bound_search_opENS7_16wrapped_functionINS0_4lessIvEEbEEEE10hipError_tPvRmT1_T2_T3_mmT4_T5_P12ihipStream_tbEUlRKiE_EESO_SS_ST_mSU_SX_bEUlT_E_NS1_11comp_targetILNS1_3genE0ELNS1_11target_archE4294967295ELNS1_3gpuE0ELNS1_3repE0EEENS1_30default_config_static_selectorELNS0_4arch9wavefront6targetE0EEEvSR_
; %bb.0:
	.section	.rodata,"a",@progbits
	.p2align	6, 0x0
	.amdhsa_kernel _ZN7rocprim17ROCPRIM_400000_NS6detail17trampoline_kernelINS0_14default_configENS1_27upper_bound_config_selectorIiN6thrust23THRUST_200600_302600_NS6detail10any_assignEEEZNS1_14transform_implILb0ES3_S9_NS7_15normal_iteratorINS6_10device_ptrIiEEEENS6_16discard_iteratorINS6_11use_defaultEEEZNS1_13binary_searchIS3_S9_SE_SE_SH_NS1_21upper_bound_search_opENS7_16wrapped_functionINS0_4lessIvEEbEEEE10hipError_tPvRmT1_T2_T3_mmT4_T5_P12ihipStream_tbEUlRKiE_EESO_SS_ST_mSU_SX_bEUlT_E_NS1_11comp_targetILNS1_3genE0ELNS1_11target_archE4294967295ELNS1_3gpuE0ELNS1_3repE0EEENS1_30default_config_static_selectorELNS0_4arch9wavefront6targetE0EEEvSR_
		.amdhsa_group_segment_fixed_size 0
		.amdhsa_private_segment_fixed_size 0
		.amdhsa_kernarg_size 64
		.amdhsa_user_sgpr_count 15
		.amdhsa_user_sgpr_dispatch_ptr 0
		.amdhsa_user_sgpr_queue_ptr 0
		.amdhsa_user_sgpr_kernarg_segment_ptr 1
		.amdhsa_user_sgpr_dispatch_id 0
		.amdhsa_user_sgpr_private_segment_size 0
		.amdhsa_wavefront_size32 1
		.amdhsa_uses_dynamic_stack 0
		.amdhsa_enable_private_segment 0
		.amdhsa_system_sgpr_workgroup_id_x 1
		.amdhsa_system_sgpr_workgroup_id_y 0
		.amdhsa_system_sgpr_workgroup_id_z 0
		.amdhsa_system_sgpr_workgroup_info 0
		.amdhsa_system_vgpr_workitem_id 0
		.amdhsa_next_free_vgpr 1
		.amdhsa_next_free_sgpr 1
		.amdhsa_reserve_vcc 0
		.amdhsa_float_round_mode_32 0
		.amdhsa_float_round_mode_16_64 0
		.amdhsa_float_denorm_mode_32 3
		.amdhsa_float_denorm_mode_16_64 3
		.amdhsa_dx10_clamp 1
		.amdhsa_ieee_mode 1
		.amdhsa_fp16_overflow 0
		.amdhsa_workgroup_processor_mode 1
		.amdhsa_memory_ordered 1
		.amdhsa_forward_progress 0
		.amdhsa_shared_vgpr_count 0
		.amdhsa_exception_fp_ieee_invalid_op 0
		.amdhsa_exception_fp_denorm_src 0
		.amdhsa_exception_fp_ieee_div_zero 0
		.amdhsa_exception_fp_ieee_overflow 0
		.amdhsa_exception_fp_ieee_underflow 0
		.amdhsa_exception_fp_ieee_inexact 0
		.amdhsa_exception_int_div_zero 0
	.end_amdhsa_kernel
	.section	.text._ZN7rocprim17ROCPRIM_400000_NS6detail17trampoline_kernelINS0_14default_configENS1_27upper_bound_config_selectorIiN6thrust23THRUST_200600_302600_NS6detail10any_assignEEEZNS1_14transform_implILb0ES3_S9_NS7_15normal_iteratorINS6_10device_ptrIiEEEENS6_16discard_iteratorINS6_11use_defaultEEEZNS1_13binary_searchIS3_S9_SE_SE_SH_NS1_21upper_bound_search_opENS7_16wrapped_functionINS0_4lessIvEEbEEEE10hipError_tPvRmT1_T2_T3_mmT4_T5_P12ihipStream_tbEUlRKiE_EESO_SS_ST_mSU_SX_bEUlT_E_NS1_11comp_targetILNS1_3genE0ELNS1_11target_archE4294967295ELNS1_3gpuE0ELNS1_3repE0EEENS1_30default_config_static_selectorELNS0_4arch9wavefront6targetE0EEEvSR_,"axG",@progbits,_ZN7rocprim17ROCPRIM_400000_NS6detail17trampoline_kernelINS0_14default_configENS1_27upper_bound_config_selectorIiN6thrust23THRUST_200600_302600_NS6detail10any_assignEEEZNS1_14transform_implILb0ES3_S9_NS7_15normal_iteratorINS6_10device_ptrIiEEEENS6_16discard_iteratorINS6_11use_defaultEEEZNS1_13binary_searchIS3_S9_SE_SE_SH_NS1_21upper_bound_search_opENS7_16wrapped_functionINS0_4lessIvEEbEEEE10hipError_tPvRmT1_T2_T3_mmT4_T5_P12ihipStream_tbEUlRKiE_EESO_SS_ST_mSU_SX_bEUlT_E_NS1_11comp_targetILNS1_3genE0ELNS1_11target_archE4294967295ELNS1_3gpuE0ELNS1_3repE0EEENS1_30default_config_static_selectorELNS0_4arch9wavefront6targetE0EEEvSR_,comdat
.Lfunc_end582:
	.size	_ZN7rocprim17ROCPRIM_400000_NS6detail17trampoline_kernelINS0_14default_configENS1_27upper_bound_config_selectorIiN6thrust23THRUST_200600_302600_NS6detail10any_assignEEEZNS1_14transform_implILb0ES3_S9_NS7_15normal_iteratorINS6_10device_ptrIiEEEENS6_16discard_iteratorINS6_11use_defaultEEEZNS1_13binary_searchIS3_S9_SE_SE_SH_NS1_21upper_bound_search_opENS7_16wrapped_functionINS0_4lessIvEEbEEEE10hipError_tPvRmT1_T2_T3_mmT4_T5_P12ihipStream_tbEUlRKiE_EESO_SS_ST_mSU_SX_bEUlT_E_NS1_11comp_targetILNS1_3genE0ELNS1_11target_archE4294967295ELNS1_3gpuE0ELNS1_3repE0EEENS1_30default_config_static_selectorELNS0_4arch9wavefront6targetE0EEEvSR_, .Lfunc_end582-_ZN7rocprim17ROCPRIM_400000_NS6detail17trampoline_kernelINS0_14default_configENS1_27upper_bound_config_selectorIiN6thrust23THRUST_200600_302600_NS6detail10any_assignEEEZNS1_14transform_implILb0ES3_S9_NS7_15normal_iteratorINS6_10device_ptrIiEEEENS6_16discard_iteratorINS6_11use_defaultEEEZNS1_13binary_searchIS3_S9_SE_SE_SH_NS1_21upper_bound_search_opENS7_16wrapped_functionINS0_4lessIvEEbEEEE10hipError_tPvRmT1_T2_T3_mmT4_T5_P12ihipStream_tbEUlRKiE_EESO_SS_ST_mSU_SX_bEUlT_E_NS1_11comp_targetILNS1_3genE0ELNS1_11target_archE4294967295ELNS1_3gpuE0ELNS1_3repE0EEENS1_30default_config_static_selectorELNS0_4arch9wavefront6targetE0EEEvSR_
                                        ; -- End function
	.section	.AMDGPU.csdata,"",@progbits
; Kernel info:
; codeLenInByte = 0
; NumSgprs: 0
; NumVgprs: 0
; ScratchSize: 0
; MemoryBound: 0
; FloatMode: 240
; IeeeMode: 1
; LDSByteSize: 0 bytes/workgroup (compile time only)
; SGPRBlocks: 0
; VGPRBlocks: 0
; NumSGPRsForWavesPerEU: 1
; NumVGPRsForWavesPerEU: 1
; Occupancy: 16
; WaveLimiterHint : 0
; COMPUTE_PGM_RSRC2:SCRATCH_EN: 0
; COMPUTE_PGM_RSRC2:USER_SGPR: 15
; COMPUTE_PGM_RSRC2:TRAP_HANDLER: 0
; COMPUTE_PGM_RSRC2:TGID_X_EN: 1
; COMPUTE_PGM_RSRC2:TGID_Y_EN: 0
; COMPUTE_PGM_RSRC2:TGID_Z_EN: 0
; COMPUTE_PGM_RSRC2:TIDIG_COMP_CNT: 0
	.section	.text._ZN7rocprim17ROCPRIM_400000_NS6detail17trampoline_kernelINS0_14default_configENS1_27upper_bound_config_selectorIiN6thrust23THRUST_200600_302600_NS6detail10any_assignEEEZNS1_14transform_implILb0ES3_S9_NS7_15normal_iteratorINS6_10device_ptrIiEEEENS6_16discard_iteratorINS6_11use_defaultEEEZNS1_13binary_searchIS3_S9_SE_SE_SH_NS1_21upper_bound_search_opENS7_16wrapped_functionINS0_4lessIvEEbEEEE10hipError_tPvRmT1_T2_T3_mmT4_T5_P12ihipStream_tbEUlRKiE_EESO_SS_ST_mSU_SX_bEUlT_E_NS1_11comp_targetILNS1_3genE5ELNS1_11target_archE942ELNS1_3gpuE9ELNS1_3repE0EEENS1_30default_config_static_selectorELNS0_4arch9wavefront6targetE0EEEvSR_,"axG",@progbits,_ZN7rocprim17ROCPRIM_400000_NS6detail17trampoline_kernelINS0_14default_configENS1_27upper_bound_config_selectorIiN6thrust23THRUST_200600_302600_NS6detail10any_assignEEEZNS1_14transform_implILb0ES3_S9_NS7_15normal_iteratorINS6_10device_ptrIiEEEENS6_16discard_iteratorINS6_11use_defaultEEEZNS1_13binary_searchIS3_S9_SE_SE_SH_NS1_21upper_bound_search_opENS7_16wrapped_functionINS0_4lessIvEEbEEEE10hipError_tPvRmT1_T2_T3_mmT4_T5_P12ihipStream_tbEUlRKiE_EESO_SS_ST_mSU_SX_bEUlT_E_NS1_11comp_targetILNS1_3genE5ELNS1_11target_archE942ELNS1_3gpuE9ELNS1_3repE0EEENS1_30default_config_static_selectorELNS0_4arch9wavefront6targetE0EEEvSR_,comdat
	.protected	_ZN7rocprim17ROCPRIM_400000_NS6detail17trampoline_kernelINS0_14default_configENS1_27upper_bound_config_selectorIiN6thrust23THRUST_200600_302600_NS6detail10any_assignEEEZNS1_14transform_implILb0ES3_S9_NS7_15normal_iteratorINS6_10device_ptrIiEEEENS6_16discard_iteratorINS6_11use_defaultEEEZNS1_13binary_searchIS3_S9_SE_SE_SH_NS1_21upper_bound_search_opENS7_16wrapped_functionINS0_4lessIvEEbEEEE10hipError_tPvRmT1_T2_T3_mmT4_T5_P12ihipStream_tbEUlRKiE_EESO_SS_ST_mSU_SX_bEUlT_E_NS1_11comp_targetILNS1_3genE5ELNS1_11target_archE942ELNS1_3gpuE9ELNS1_3repE0EEENS1_30default_config_static_selectorELNS0_4arch9wavefront6targetE0EEEvSR_ ; -- Begin function _ZN7rocprim17ROCPRIM_400000_NS6detail17trampoline_kernelINS0_14default_configENS1_27upper_bound_config_selectorIiN6thrust23THRUST_200600_302600_NS6detail10any_assignEEEZNS1_14transform_implILb0ES3_S9_NS7_15normal_iteratorINS6_10device_ptrIiEEEENS6_16discard_iteratorINS6_11use_defaultEEEZNS1_13binary_searchIS3_S9_SE_SE_SH_NS1_21upper_bound_search_opENS7_16wrapped_functionINS0_4lessIvEEbEEEE10hipError_tPvRmT1_T2_T3_mmT4_T5_P12ihipStream_tbEUlRKiE_EESO_SS_ST_mSU_SX_bEUlT_E_NS1_11comp_targetILNS1_3genE5ELNS1_11target_archE942ELNS1_3gpuE9ELNS1_3repE0EEENS1_30default_config_static_selectorELNS0_4arch9wavefront6targetE0EEEvSR_
	.globl	_ZN7rocprim17ROCPRIM_400000_NS6detail17trampoline_kernelINS0_14default_configENS1_27upper_bound_config_selectorIiN6thrust23THRUST_200600_302600_NS6detail10any_assignEEEZNS1_14transform_implILb0ES3_S9_NS7_15normal_iteratorINS6_10device_ptrIiEEEENS6_16discard_iteratorINS6_11use_defaultEEEZNS1_13binary_searchIS3_S9_SE_SE_SH_NS1_21upper_bound_search_opENS7_16wrapped_functionINS0_4lessIvEEbEEEE10hipError_tPvRmT1_T2_T3_mmT4_T5_P12ihipStream_tbEUlRKiE_EESO_SS_ST_mSU_SX_bEUlT_E_NS1_11comp_targetILNS1_3genE5ELNS1_11target_archE942ELNS1_3gpuE9ELNS1_3repE0EEENS1_30default_config_static_selectorELNS0_4arch9wavefront6targetE0EEEvSR_
	.p2align	8
	.type	_ZN7rocprim17ROCPRIM_400000_NS6detail17trampoline_kernelINS0_14default_configENS1_27upper_bound_config_selectorIiN6thrust23THRUST_200600_302600_NS6detail10any_assignEEEZNS1_14transform_implILb0ES3_S9_NS7_15normal_iteratorINS6_10device_ptrIiEEEENS6_16discard_iteratorINS6_11use_defaultEEEZNS1_13binary_searchIS3_S9_SE_SE_SH_NS1_21upper_bound_search_opENS7_16wrapped_functionINS0_4lessIvEEbEEEE10hipError_tPvRmT1_T2_T3_mmT4_T5_P12ihipStream_tbEUlRKiE_EESO_SS_ST_mSU_SX_bEUlT_E_NS1_11comp_targetILNS1_3genE5ELNS1_11target_archE942ELNS1_3gpuE9ELNS1_3repE0EEENS1_30default_config_static_selectorELNS0_4arch9wavefront6targetE0EEEvSR_,@function
_ZN7rocprim17ROCPRIM_400000_NS6detail17trampoline_kernelINS0_14default_configENS1_27upper_bound_config_selectorIiN6thrust23THRUST_200600_302600_NS6detail10any_assignEEEZNS1_14transform_implILb0ES3_S9_NS7_15normal_iteratorINS6_10device_ptrIiEEEENS6_16discard_iteratorINS6_11use_defaultEEEZNS1_13binary_searchIS3_S9_SE_SE_SH_NS1_21upper_bound_search_opENS7_16wrapped_functionINS0_4lessIvEEbEEEE10hipError_tPvRmT1_T2_T3_mmT4_T5_P12ihipStream_tbEUlRKiE_EESO_SS_ST_mSU_SX_bEUlT_E_NS1_11comp_targetILNS1_3genE5ELNS1_11target_archE942ELNS1_3gpuE9ELNS1_3repE0EEENS1_30default_config_static_selectorELNS0_4arch9wavefront6targetE0EEEvSR_: ; @_ZN7rocprim17ROCPRIM_400000_NS6detail17trampoline_kernelINS0_14default_configENS1_27upper_bound_config_selectorIiN6thrust23THRUST_200600_302600_NS6detail10any_assignEEEZNS1_14transform_implILb0ES3_S9_NS7_15normal_iteratorINS6_10device_ptrIiEEEENS6_16discard_iteratorINS6_11use_defaultEEEZNS1_13binary_searchIS3_S9_SE_SE_SH_NS1_21upper_bound_search_opENS7_16wrapped_functionINS0_4lessIvEEbEEEE10hipError_tPvRmT1_T2_T3_mmT4_T5_P12ihipStream_tbEUlRKiE_EESO_SS_ST_mSU_SX_bEUlT_E_NS1_11comp_targetILNS1_3genE5ELNS1_11target_archE942ELNS1_3gpuE9ELNS1_3repE0EEENS1_30default_config_static_selectorELNS0_4arch9wavefront6targetE0EEEvSR_
; %bb.0:
	.section	.rodata,"a",@progbits
	.p2align	6, 0x0
	.amdhsa_kernel _ZN7rocprim17ROCPRIM_400000_NS6detail17trampoline_kernelINS0_14default_configENS1_27upper_bound_config_selectorIiN6thrust23THRUST_200600_302600_NS6detail10any_assignEEEZNS1_14transform_implILb0ES3_S9_NS7_15normal_iteratorINS6_10device_ptrIiEEEENS6_16discard_iteratorINS6_11use_defaultEEEZNS1_13binary_searchIS3_S9_SE_SE_SH_NS1_21upper_bound_search_opENS7_16wrapped_functionINS0_4lessIvEEbEEEE10hipError_tPvRmT1_T2_T3_mmT4_T5_P12ihipStream_tbEUlRKiE_EESO_SS_ST_mSU_SX_bEUlT_E_NS1_11comp_targetILNS1_3genE5ELNS1_11target_archE942ELNS1_3gpuE9ELNS1_3repE0EEENS1_30default_config_static_selectorELNS0_4arch9wavefront6targetE0EEEvSR_
		.amdhsa_group_segment_fixed_size 0
		.amdhsa_private_segment_fixed_size 0
		.amdhsa_kernarg_size 64
		.amdhsa_user_sgpr_count 15
		.amdhsa_user_sgpr_dispatch_ptr 0
		.amdhsa_user_sgpr_queue_ptr 0
		.amdhsa_user_sgpr_kernarg_segment_ptr 1
		.amdhsa_user_sgpr_dispatch_id 0
		.amdhsa_user_sgpr_private_segment_size 0
		.amdhsa_wavefront_size32 1
		.amdhsa_uses_dynamic_stack 0
		.amdhsa_enable_private_segment 0
		.amdhsa_system_sgpr_workgroup_id_x 1
		.amdhsa_system_sgpr_workgroup_id_y 0
		.amdhsa_system_sgpr_workgroup_id_z 0
		.amdhsa_system_sgpr_workgroup_info 0
		.amdhsa_system_vgpr_workitem_id 0
		.amdhsa_next_free_vgpr 1
		.amdhsa_next_free_sgpr 1
		.amdhsa_reserve_vcc 0
		.amdhsa_float_round_mode_32 0
		.amdhsa_float_round_mode_16_64 0
		.amdhsa_float_denorm_mode_32 3
		.amdhsa_float_denorm_mode_16_64 3
		.amdhsa_dx10_clamp 1
		.amdhsa_ieee_mode 1
		.amdhsa_fp16_overflow 0
		.amdhsa_workgroup_processor_mode 1
		.amdhsa_memory_ordered 1
		.amdhsa_forward_progress 0
		.amdhsa_shared_vgpr_count 0
		.amdhsa_exception_fp_ieee_invalid_op 0
		.amdhsa_exception_fp_denorm_src 0
		.amdhsa_exception_fp_ieee_div_zero 0
		.amdhsa_exception_fp_ieee_overflow 0
		.amdhsa_exception_fp_ieee_underflow 0
		.amdhsa_exception_fp_ieee_inexact 0
		.amdhsa_exception_int_div_zero 0
	.end_amdhsa_kernel
	.section	.text._ZN7rocprim17ROCPRIM_400000_NS6detail17trampoline_kernelINS0_14default_configENS1_27upper_bound_config_selectorIiN6thrust23THRUST_200600_302600_NS6detail10any_assignEEEZNS1_14transform_implILb0ES3_S9_NS7_15normal_iteratorINS6_10device_ptrIiEEEENS6_16discard_iteratorINS6_11use_defaultEEEZNS1_13binary_searchIS3_S9_SE_SE_SH_NS1_21upper_bound_search_opENS7_16wrapped_functionINS0_4lessIvEEbEEEE10hipError_tPvRmT1_T2_T3_mmT4_T5_P12ihipStream_tbEUlRKiE_EESO_SS_ST_mSU_SX_bEUlT_E_NS1_11comp_targetILNS1_3genE5ELNS1_11target_archE942ELNS1_3gpuE9ELNS1_3repE0EEENS1_30default_config_static_selectorELNS0_4arch9wavefront6targetE0EEEvSR_,"axG",@progbits,_ZN7rocprim17ROCPRIM_400000_NS6detail17trampoline_kernelINS0_14default_configENS1_27upper_bound_config_selectorIiN6thrust23THRUST_200600_302600_NS6detail10any_assignEEEZNS1_14transform_implILb0ES3_S9_NS7_15normal_iteratorINS6_10device_ptrIiEEEENS6_16discard_iteratorINS6_11use_defaultEEEZNS1_13binary_searchIS3_S9_SE_SE_SH_NS1_21upper_bound_search_opENS7_16wrapped_functionINS0_4lessIvEEbEEEE10hipError_tPvRmT1_T2_T3_mmT4_T5_P12ihipStream_tbEUlRKiE_EESO_SS_ST_mSU_SX_bEUlT_E_NS1_11comp_targetILNS1_3genE5ELNS1_11target_archE942ELNS1_3gpuE9ELNS1_3repE0EEENS1_30default_config_static_selectorELNS0_4arch9wavefront6targetE0EEEvSR_,comdat
.Lfunc_end583:
	.size	_ZN7rocprim17ROCPRIM_400000_NS6detail17trampoline_kernelINS0_14default_configENS1_27upper_bound_config_selectorIiN6thrust23THRUST_200600_302600_NS6detail10any_assignEEEZNS1_14transform_implILb0ES3_S9_NS7_15normal_iteratorINS6_10device_ptrIiEEEENS6_16discard_iteratorINS6_11use_defaultEEEZNS1_13binary_searchIS3_S9_SE_SE_SH_NS1_21upper_bound_search_opENS7_16wrapped_functionINS0_4lessIvEEbEEEE10hipError_tPvRmT1_T2_T3_mmT4_T5_P12ihipStream_tbEUlRKiE_EESO_SS_ST_mSU_SX_bEUlT_E_NS1_11comp_targetILNS1_3genE5ELNS1_11target_archE942ELNS1_3gpuE9ELNS1_3repE0EEENS1_30default_config_static_selectorELNS0_4arch9wavefront6targetE0EEEvSR_, .Lfunc_end583-_ZN7rocprim17ROCPRIM_400000_NS6detail17trampoline_kernelINS0_14default_configENS1_27upper_bound_config_selectorIiN6thrust23THRUST_200600_302600_NS6detail10any_assignEEEZNS1_14transform_implILb0ES3_S9_NS7_15normal_iteratorINS6_10device_ptrIiEEEENS6_16discard_iteratorINS6_11use_defaultEEEZNS1_13binary_searchIS3_S9_SE_SE_SH_NS1_21upper_bound_search_opENS7_16wrapped_functionINS0_4lessIvEEbEEEE10hipError_tPvRmT1_T2_T3_mmT4_T5_P12ihipStream_tbEUlRKiE_EESO_SS_ST_mSU_SX_bEUlT_E_NS1_11comp_targetILNS1_3genE5ELNS1_11target_archE942ELNS1_3gpuE9ELNS1_3repE0EEENS1_30default_config_static_selectorELNS0_4arch9wavefront6targetE0EEEvSR_
                                        ; -- End function
	.section	.AMDGPU.csdata,"",@progbits
; Kernel info:
; codeLenInByte = 0
; NumSgprs: 0
; NumVgprs: 0
; ScratchSize: 0
; MemoryBound: 0
; FloatMode: 240
; IeeeMode: 1
; LDSByteSize: 0 bytes/workgroup (compile time only)
; SGPRBlocks: 0
; VGPRBlocks: 0
; NumSGPRsForWavesPerEU: 1
; NumVGPRsForWavesPerEU: 1
; Occupancy: 16
; WaveLimiterHint : 0
; COMPUTE_PGM_RSRC2:SCRATCH_EN: 0
; COMPUTE_PGM_RSRC2:USER_SGPR: 15
; COMPUTE_PGM_RSRC2:TRAP_HANDLER: 0
; COMPUTE_PGM_RSRC2:TGID_X_EN: 1
; COMPUTE_PGM_RSRC2:TGID_Y_EN: 0
; COMPUTE_PGM_RSRC2:TGID_Z_EN: 0
; COMPUTE_PGM_RSRC2:TIDIG_COMP_CNT: 0
	.section	.text._ZN7rocprim17ROCPRIM_400000_NS6detail17trampoline_kernelINS0_14default_configENS1_27upper_bound_config_selectorIiN6thrust23THRUST_200600_302600_NS6detail10any_assignEEEZNS1_14transform_implILb0ES3_S9_NS7_15normal_iteratorINS6_10device_ptrIiEEEENS6_16discard_iteratorINS6_11use_defaultEEEZNS1_13binary_searchIS3_S9_SE_SE_SH_NS1_21upper_bound_search_opENS7_16wrapped_functionINS0_4lessIvEEbEEEE10hipError_tPvRmT1_T2_T3_mmT4_T5_P12ihipStream_tbEUlRKiE_EESO_SS_ST_mSU_SX_bEUlT_E_NS1_11comp_targetILNS1_3genE4ELNS1_11target_archE910ELNS1_3gpuE8ELNS1_3repE0EEENS1_30default_config_static_selectorELNS0_4arch9wavefront6targetE0EEEvSR_,"axG",@progbits,_ZN7rocprim17ROCPRIM_400000_NS6detail17trampoline_kernelINS0_14default_configENS1_27upper_bound_config_selectorIiN6thrust23THRUST_200600_302600_NS6detail10any_assignEEEZNS1_14transform_implILb0ES3_S9_NS7_15normal_iteratorINS6_10device_ptrIiEEEENS6_16discard_iteratorINS6_11use_defaultEEEZNS1_13binary_searchIS3_S9_SE_SE_SH_NS1_21upper_bound_search_opENS7_16wrapped_functionINS0_4lessIvEEbEEEE10hipError_tPvRmT1_T2_T3_mmT4_T5_P12ihipStream_tbEUlRKiE_EESO_SS_ST_mSU_SX_bEUlT_E_NS1_11comp_targetILNS1_3genE4ELNS1_11target_archE910ELNS1_3gpuE8ELNS1_3repE0EEENS1_30default_config_static_selectorELNS0_4arch9wavefront6targetE0EEEvSR_,comdat
	.protected	_ZN7rocprim17ROCPRIM_400000_NS6detail17trampoline_kernelINS0_14default_configENS1_27upper_bound_config_selectorIiN6thrust23THRUST_200600_302600_NS6detail10any_assignEEEZNS1_14transform_implILb0ES3_S9_NS7_15normal_iteratorINS6_10device_ptrIiEEEENS6_16discard_iteratorINS6_11use_defaultEEEZNS1_13binary_searchIS3_S9_SE_SE_SH_NS1_21upper_bound_search_opENS7_16wrapped_functionINS0_4lessIvEEbEEEE10hipError_tPvRmT1_T2_T3_mmT4_T5_P12ihipStream_tbEUlRKiE_EESO_SS_ST_mSU_SX_bEUlT_E_NS1_11comp_targetILNS1_3genE4ELNS1_11target_archE910ELNS1_3gpuE8ELNS1_3repE0EEENS1_30default_config_static_selectorELNS0_4arch9wavefront6targetE0EEEvSR_ ; -- Begin function _ZN7rocprim17ROCPRIM_400000_NS6detail17trampoline_kernelINS0_14default_configENS1_27upper_bound_config_selectorIiN6thrust23THRUST_200600_302600_NS6detail10any_assignEEEZNS1_14transform_implILb0ES3_S9_NS7_15normal_iteratorINS6_10device_ptrIiEEEENS6_16discard_iteratorINS6_11use_defaultEEEZNS1_13binary_searchIS3_S9_SE_SE_SH_NS1_21upper_bound_search_opENS7_16wrapped_functionINS0_4lessIvEEbEEEE10hipError_tPvRmT1_T2_T3_mmT4_T5_P12ihipStream_tbEUlRKiE_EESO_SS_ST_mSU_SX_bEUlT_E_NS1_11comp_targetILNS1_3genE4ELNS1_11target_archE910ELNS1_3gpuE8ELNS1_3repE0EEENS1_30default_config_static_selectorELNS0_4arch9wavefront6targetE0EEEvSR_
	.globl	_ZN7rocprim17ROCPRIM_400000_NS6detail17trampoline_kernelINS0_14default_configENS1_27upper_bound_config_selectorIiN6thrust23THRUST_200600_302600_NS6detail10any_assignEEEZNS1_14transform_implILb0ES3_S9_NS7_15normal_iteratorINS6_10device_ptrIiEEEENS6_16discard_iteratorINS6_11use_defaultEEEZNS1_13binary_searchIS3_S9_SE_SE_SH_NS1_21upper_bound_search_opENS7_16wrapped_functionINS0_4lessIvEEbEEEE10hipError_tPvRmT1_T2_T3_mmT4_T5_P12ihipStream_tbEUlRKiE_EESO_SS_ST_mSU_SX_bEUlT_E_NS1_11comp_targetILNS1_3genE4ELNS1_11target_archE910ELNS1_3gpuE8ELNS1_3repE0EEENS1_30default_config_static_selectorELNS0_4arch9wavefront6targetE0EEEvSR_
	.p2align	8
	.type	_ZN7rocprim17ROCPRIM_400000_NS6detail17trampoline_kernelINS0_14default_configENS1_27upper_bound_config_selectorIiN6thrust23THRUST_200600_302600_NS6detail10any_assignEEEZNS1_14transform_implILb0ES3_S9_NS7_15normal_iteratorINS6_10device_ptrIiEEEENS6_16discard_iteratorINS6_11use_defaultEEEZNS1_13binary_searchIS3_S9_SE_SE_SH_NS1_21upper_bound_search_opENS7_16wrapped_functionINS0_4lessIvEEbEEEE10hipError_tPvRmT1_T2_T3_mmT4_T5_P12ihipStream_tbEUlRKiE_EESO_SS_ST_mSU_SX_bEUlT_E_NS1_11comp_targetILNS1_3genE4ELNS1_11target_archE910ELNS1_3gpuE8ELNS1_3repE0EEENS1_30default_config_static_selectorELNS0_4arch9wavefront6targetE0EEEvSR_,@function
_ZN7rocprim17ROCPRIM_400000_NS6detail17trampoline_kernelINS0_14default_configENS1_27upper_bound_config_selectorIiN6thrust23THRUST_200600_302600_NS6detail10any_assignEEEZNS1_14transform_implILb0ES3_S9_NS7_15normal_iteratorINS6_10device_ptrIiEEEENS6_16discard_iteratorINS6_11use_defaultEEEZNS1_13binary_searchIS3_S9_SE_SE_SH_NS1_21upper_bound_search_opENS7_16wrapped_functionINS0_4lessIvEEbEEEE10hipError_tPvRmT1_T2_T3_mmT4_T5_P12ihipStream_tbEUlRKiE_EESO_SS_ST_mSU_SX_bEUlT_E_NS1_11comp_targetILNS1_3genE4ELNS1_11target_archE910ELNS1_3gpuE8ELNS1_3repE0EEENS1_30default_config_static_selectorELNS0_4arch9wavefront6targetE0EEEvSR_: ; @_ZN7rocprim17ROCPRIM_400000_NS6detail17trampoline_kernelINS0_14default_configENS1_27upper_bound_config_selectorIiN6thrust23THRUST_200600_302600_NS6detail10any_assignEEEZNS1_14transform_implILb0ES3_S9_NS7_15normal_iteratorINS6_10device_ptrIiEEEENS6_16discard_iteratorINS6_11use_defaultEEEZNS1_13binary_searchIS3_S9_SE_SE_SH_NS1_21upper_bound_search_opENS7_16wrapped_functionINS0_4lessIvEEbEEEE10hipError_tPvRmT1_T2_T3_mmT4_T5_P12ihipStream_tbEUlRKiE_EESO_SS_ST_mSU_SX_bEUlT_E_NS1_11comp_targetILNS1_3genE4ELNS1_11target_archE910ELNS1_3gpuE8ELNS1_3repE0EEENS1_30default_config_static_selectorELNS0_4arch9wavefront6targetE0EEEvSR_
; %bb.0:
	.section	.rodata,"a",@progbits
	.p2align	6, 0x0
	.amdhsa_kernel _ZN7rocprim17ROCPRIM_400000_NS6detail17trampoline_kernelINS0_14default_configENS1_27upper_bound_config_selectorIiN6thrust23THRUST_200600_302600_NS6detail10any_assignEEEZNS1_14transform_implILb0ES3_S9_NS7_15normal_iteratorINS6_10device_ptrIiEEEENS6_16discard_iteratorINS6_11use_defaultEEEZNS1_13binary_searchIS3_S9_SE_SE_SH_NS1_21upper_bound_search_opENS7_16wrapped_functionINS0_4lessIvEEbEEEE10hipError_tPvRmT1_T2_T3_mmT4_T5_P12ihipStream_tbEUlRKiE_EESO_SS_ST_mSU_SX_bEUlT_E_NS1_11comp_targetILNS1_3genE4ELNS1_11target_archE910ELNS1_3gpuE8ELNS1_3repE0EEENS1_30default_config_static_selectorELNS0_4arch9wavefront6targetE0EEEvSR_
		.amdhsa_group_segment_fixed_size 0
		.amdhsa_private_segment_fixed_size 0
		.amdhsa_kernarg_size 64
		.amdhsa_user_sgpr_count 15
		.amdhsa_user_sgpr_dispatch_ptr 0
		.amdhsa_user_sgpr_queue_ptr 0
		.amdhsa_user_sgpr_kernarg_segment_ptr 1
		.amdhsa_user_sgpr_dispatch_id 0
		.amdhsa_user_sgpr_private_segment_size 0
		.amdhsa_wavefront_size32 1
		.amdhsa_uses_dynamic_stack 0
		.amdhsa_enable_private_segment 0
		.amdhsa_system_sgpr_workgroup_id_x 1
		.amdhsa_system_sgpr_workgroup_id_y 0
		.amdhsa_system_sgpr_workgroup_id_z 0
		.amdhsa_system_sgpr_workgroup_info 0
		.amdhsa_system_vgpr_workitem_id 0
		.amdhsa_next_free_vgpr 1
		.amdhsa_next_free_sgpr 1
		.amdhsa_reserve_vcc 0
		.amdhsa_float_round_mode_32 0
		.amdhsa_float_round_mode_16_64 0
		.amdhsa_float_denorm_mode_32 3
		.amdhsa_float_denorm_mode_16_64 3
		.amdhsa_dx10_clamp 1
		.amdhsa_ieee_mode 1
		.amdhsa_fp16_overflow 0
		.amdhsa_workgroup_processor_mode 1
		.amdhsa_memory_ordered 1
		.amdhsa_forward_progress 0
		.amdhsa_shared_vgpr_count 0
		.amdhsa_exception_fp_ieee_invalid_op 0
		.amdhsa_exception_fp_denorm_src 0
		.amdhsa_exception_fp_ieee_div_zero 0
		.amdhsa_exception_fp_ieee_overflow 0
		.amdhsa_exception_fp_ieee_underflow 0
		.amdhsa_exception_fp_ieee_inexact 0
		.amdhsa_exception_int_div_zero 0
	.end_amdhsa_kernel
	.section	.text._ZN7rocprim17ROCPRIM_400000_NS6detail17trampoline_kernelINS0_14default_configENS1_27upper_bound_config_selectorIiN6thrust23THRUST_200600_302600_NS6detail10any_assignEEEZNS1_14transform_implILb0ES3_S9_NS7_15normal_iteratorINS6_10device_ptrIiEEEENS6_16discard_iteratorINS6_11use_defaultEEEZNS1_13binary_searchIS3_S9_SE_SE_SH_NS1_21upper_bound_search_opENS7_16wrapped_functionINS0_4lessIvEEbEEEE10hipError_tPvRmT1_T2_T3_mmT4_T5_P12ihipStream_tbEUlRKiE_EESO_SS_ST_mSU_SX_bEUlT_E_NS1_11comp_targetILNS1_3genE4ELNS1_11target_archE910ELNS1_3gpuE8ELNS1_3repE0EEENS1_30default_config_static_selectorELNS0_4arch9wavefront6targetE0EEEvSR_,"axG",@progbits,_ZN7rocprim17ROCPRIM_400000_NS6detail17trampoline_kernelINS0_14default_configENS1_27upper_bound_config_selectorIiN6thrust23THRUST_200600_302600_NS6detail10any_assignEEEZNS1_14transform_implILb0ES3_S9_NS7_15normal_iteratorINS6_10device_ptrIiEEEENS6_16discard_iteratorINS6_11use_defaultEEEZNS1_13binary_searchIS3_S9_SE_SE_SH_NS1_21upper_bound_search_opENS7_16wrapped_functionINS0_4lessIvEEbEEEE10hipError_tPvRmT1_T2_T3_mmT4_T5_P12ihipStream_tbEUlRKiE_EESO_SS_ST_mSU_SX_bEUlT_E_NS1_11comp_targetILNS1_3genE4ELNS1_11target_archE910ELNS1_3gpuE8ELNS1_3repE0EEENS1_30default_config_static_selectorELNS0_4arch9wavefront6targetE0EEEvSR_,comdat
.Lfunc_end584:
	.size	_ZN7rocprim17ROCPRIM_400000_NS6detail17trampoline_kernelINS0_14default_configENS1_27upper_bound_config_selectorIiN6thrust23THRUST_200600_302600_NS6detail10any_assignEEEZNS1_14transform_implILb0ES3_S9_NS7_15normal_iteratorINS6_10device_ptrIiEEEENS6_16discard_iteratorINS6_11use_defaultEEEZNS1_13binary_searchIS3_S9_SE_SE_SH_NS1_21upper_bound_search_opENS7_16wrapped_functionINS0_4lessIvEEbEEEE10hipError_tPvRmT1_T2_T3_mmT4_T5_P12ihipStream_tbEUlRKiE_EESO_SS_ST_mSU_SX_bEUlT_E_NS1_11comp_targetILNS1_3genE4ELNS1_11target_archE910ELNS1_3gpuE8ELNS1_3repE0EEENS1_30default_config_static_selectorELNS0_4arch9wavefront6targetE0EEEvSR_, .Lfunc_end584-_ZN7rocprim17ROCPRIM_400000_NS6detail17trampoline_kernelINS0_14default_configENS1_27upper_bound_config_selectorIiN6thrust23THRUST_200600_302600_NS6detail10any_assignEEEZNS1_14transform_implILb0ES3_S9_NS7_15normal_iteratorINS6_10device_ptrIiEEEENS6_16discard_iteratorINS6_11use_defaultEEEZNS1_13binary_searchIS3_S9_SE_SE_SH_NS1_21upper_bound_search_opENS7_16wrapped_functionINS0_4lessIvEEbEEEE10hipError_tPvRmT1_T2_T3_mmT4_T5_P12ihipStream_tbEUlRKiE_EESO_SS_ST_mSU_SX_bEUlT_E_NS1_11comp_targetILNS1_3genE4ELNS1_11target_archE910ELNS1_3gpuE8ELNS1_3repE0EEENS1_30default_config_static_selectorELNS0_4arch9wavefront6targetE0EEEvSR_
                                        ; -- End function
	.section	.AMDGPU.csdata,"",@progbits
; Kernel info:
; codeLenInByte = 0
; NumSgprs: 0
; NumVgprs: 0
; ScratchSize: 0
; MemoryBound: 0
; FloatMode: 240
; IeeeMode: 1
; LDSByteSize: 0 bytes/workgroup (compile time only)
; SGPRBlocks: 0
; VGPRBlocks: 0
; NumSGPRsForWavesPerEU: 1
; NumVGPRsForWavesPerEU: 1
; Occupancy: 16
; WaveLimiterHint : 0
; COMPUTE_PGM_RSRC2:SCRATCH_EN: 0
; COMPUTE_PGM_RSRC2:USER_SGPR: 15
; COMPUTE_PGM_RSRC2:TRAP_HANDLER: 0
; COMPUTE_PGM_RSRC2:TGID_X_EN: 1
; COMPUTE_PGM_RSRC2:TGID_Y_EN: 0
; COMPUTE_PGM_RSRC2:TGID_Z_EN: 0
; COMPUTE_PGM_RSRC2:TIDIG_COMP_CNT: 0
	.section	.text._ZN7rocprim17ROCPRIM_400000_NS6detail17trampoline_kernelINS0_14default_configENS1_27upper_bound_config_selectorIiN6thrust23THRUST_200600_302600_NS6detail10any_assignEEEZNS1_14transform_implILb0ES3_S9_NS7_15normal_iteratorINS6_10device_ptrIiEEEENS6_16discard_iteratorINS6_11use_defaultEEEZNS1_13binary_searchIS3_S9_SE_SE_SH_NS1_21upper_bound_search_opENS7_16wrapped_functionINS0_4lessIvEEbEEEE10hipError_tPvRmT1_T2_T3_mmT4_T5_P12ihipStream_tbEUlRKiE_EESO_SS_ST_mSU_SX_bEUlT_E_NS1_11comp_targetILNS1_3genE3ELNS1_11target_archE908ELNS1_3gpuE7ELNS1_3repE0EEENS1_30default_config_static_selectorELNS0_4arch9wavefront6targetE0EEEvSR_,"axG",@progbits,_ZN7rocprim17ROCPRIM_400000_NS6detail17trampoline_kernelINS0_14default_configENS1_27upper_bound_config_selectorIiN6thrust23THRUST_200600_302600_NS6detail10any_assignEEEZNS1_14transform_implILb0ES3_S9_NS7_15normal_iteratorINS6_10device_ptrIiEEEENS6_16discard_iteratorINS6_11use_defaultEEEZNS1_13binary_searchIS3_S9_SE_SE_SH_NS1_21upper_bound_search_opENS7_16wrapped_functionINS0_4lessIvEEbEEEE10hipError_tPvRmT1_T2_T3_mmT4_T5_P12ihipStream_tbEUlRKiE_EESO_SS_ST_mSU_SX_bEUlT_E_NS1_11comp_targetILNS1_3genE3ELNS1_11target_archE908ELNS1_3gpuE7ELNS1_3repE0EEENS1_30default_config_static_selectorELNS0_4arch9wavefront6targetE0EEEvSR_,comdat
	.protected	_ZN7rocprim17ROCPRIM_400000_NS6detail17trampoline_kernelINS0_14default_configENS1_27upper_bound_config_selectorIiN6thrust23THRUST_200600_302600_NS6detail10any_assignEEEZNS1_14transform_implILb0ES3_S9_NS7_15normal_iteratorINS6_10device_ptrIiEEEENS6_16discard_iteratorINS6_11use_defaultEEEZNS1_13binary_searchIS3_S9_SE_SE_SH_NS1_21upper_bound_search_opENS7_16wrapped_functionINS0_4lessIvEEbEEEE10hipError_tPvRmT1_T2_T3_mmT4_T5_P12ihipStream_tbEUlRKiE_EESO_SS_ST_mSU_SX_bEUlT_E_NS1_11comp_targetILNS1_3genE3ELNS1_11target_archE908ELNS1_3gpuE7ELNS1_3repE0EEENS1_30default_config_static_selectorELNS0_4arch9wavefront6targetE0EEEvSR_ ; -- Begin function _ZN7rocprim17ROCPRIM_400000_NS6detail17trampoline_kernelINS0_14default_configENS1_27upper_bound_config_selectorIiN6thrust23THRUST_200600_302600_NS6detail10any_assignEEEZNS1_14transform_implILb0ES3_S9_NS7_15normal_iteratorINS6_10device_ptrIiEEEENS6_16discard_iteratorINS6_11use_defaultEEEZNS1_13binary_searchIS3_S9_SE_SE_SH_NS1_21upper_bound_search_opENS7_16wrapped_functionINS0_4lessIvEEbEEEE10hipError_tPvRmT1_T2_T3_mmT4_T5_P12ihipStream_tbEUlRKiE_EESO_SS_ST_mSU_SX_bEUlT_E_NS1_11comp_targetILNS1_3genE3ELNS1_11target_archE908ELNS1_3gpuE7ELNS1_3repE0EEENS1_30default_config_static_selectorELNS0_4arch9wavefront6targetE0EEEvSR_
	.globl	_ZN7rocprim17ROCPRIM_400000_NS6detail17trampoline_kernelINS0_14default_configENS1_27upper_bound_config_selectorIiN6thrust23THRUST_200600_302600_NS6detail10any_assignEEEZNS1_14transform_implILb0ES3_S9_NS7_15normal_iteratorINS6_10device_ptrIiEEEENS6_16discard_iteratorINS6_11use_defaultEEEZNS1_13binary_searchIS3_S9_SE_SE_SH_NS1_21upper_bound_search_opENS7_16wrapped_functionINS0_4lessIvEEbEEEE10hipError_tPvRmT1_T2_T3_mmT4_T5_P12ihipStream_tbEUlRKiE_EESO_SS_ST_mSU_SX_bEUlT_E_NS1_11comp_targetILNS1_3genE3ELNS1_11target_archE908ELNS1_3gpuE7ELNS1_3repE0EEENS1_30default_config_static_selectorELNS0_4arch9wavefront6targetE0EEEvSR_
	.p2align	8
	.type	_ZN7rocprim17ROCPRIM_400000_NS6detail17trampoline_kernelINS0_14default_configENS1_27upper_bound_config_selectorIiN6thrust23THRUST_200600_302600_NS6detail10any_assignEEEZNS1_14transform_implILb0ES3_S9_NS7_15normal_iteratorINS6_10device_ptrIiEEEENS6_16discard_iteratorINS6_11use_defaultEEEZNS1_13binary_searchIS3_S9_SE_SE_SH_NS1_21upper_bound_search_opENS7_16wrapped_functionINS0_4lessIvEEbEEEE10hipError_tPvRmT1_T2_T3_mmT4_T5_P12ihipStream_tbEUlRKiE_EESO_SS_ST_mSU_SX_bEUlT_E_NS1_11comp_targetILNS1_3genE3ELNS1_11target_archE908ELNS1_3gpuE7ELNS1_3repE0EEENS1_30default_config_static_selectorELNS0_4arch9wavefront6targetE0EEEvSR_,@function
_ZN7rocprim17ROCPRIM_400000_NS6detail17trampoline_kernelINS0_14default_configENS1_27upper_bound_config_selectorIiN6thrust23THRUST_200600_302600_NS6detail10any_assignEEEZNS1_14transform_implILb0ES3_S9_NS7_15normal_iteratorINS6_10device_ptrIiEEEENS6_16discard_iteratorINS6_11use_defaultEEEZNS1_13binary_searchIS3_S9_SE_SE_SH_NS1_21upper_bound_search_opENS7_16wrapped_functionINS0_4lessIvEEbEEEE10hipError_tPvRmT1_T2_T3_mmT4_T5_P12ihipStream_tbEUlRKiE_EESO_SS_ST_mSU_SX_bEUlT_E_NS1_11comp_targetILNS1_3genE3ELNS1_11target_archE908ELNS1_3gpuE7ELNS1_3repE0EEENS1_30default_config_static_selectorELNS0_4arch9wavefront6targetE0EEEvSR_: ; @_ZN7rocprim17ROCPRIM_400000_NS6detail17trampoline_kernelINS0_14default_configENS1_27upper_bound_config_selectorIiN6thrust23THRUST_200600_302600_NS6detail10any_assignEEEZNS1_14transform_implILb0ES3_S9_NS7_15normal_iteratorINS6_10device_ptrIiEEEENS6_16discard_iteratorINS6_11use_defaultEEEZNS1_13binary_searchIS3_S9_SE_SE_SH_NS1_21upper_bound_search_opENS7_16wrapped_functionINS0_4lessIvEEbEEEE10hipError_tPvRmT1_T2_T3_mmT4_T5_P12ihipStream_tbEUlRKiE_EESO_SS_ST_mSU_SX_bEUlT_E_NS1_11comp_targetILNS1_3genE3ELNS1_11target_archE908ELNS1_3gpuE7ELNS1_3repE0EEENS1_30default_config_static_selectorELNS0_4arch9wavefront6targetE0EEEvSR_
; %bb.0:
	.section	.rodata,"a",@progbits
	.p2align	6, 0x0
	.amdhsa_kernel _ZN7rocprim17ROCPRIM_400000_NS6detail17trampoline_kernelINS0_14default_configENS1_27upper_bound_config_selectorIiN6thrust23THRUST_200600_302600_NS6detail10any_assignEEEZNS1_14transform_implILb0ES3_S9_NS7_15normal_iteratorINS6_10device_ptrIiEEEENS6_16discard_iteratorINS6_11use_defaultEEEZNS1_13binary_searchIS3_S9_SE_SE_SH_NS1_21upper_bound_search_opENS7_16wrapped_functionINS0_4lessIvEEbEEEE10hipError_tPvRmT1_T2_T3_mmT4_T5_P12ihipStream_tbEUlRKiE_EESO_SS_ST_mSU_SX_bEUlT_E_NS1_11comp_targetILNS1_3genE3ELNS1_11target_archE908ELNS1_3gpuE7ELNS1_3repE0EEENS1_30default_config_static_selectorELNS0_4arch9wavefront6targetE0EEEvSR_
		.amdhsa_group_segment_fixed_size 0
		.amdhsa_private_segment_fixed_size 0
		.amdhsa_kernarg_size 64
		.amdhsa_user_sgpr_count 15
		.amdhsa_user_sgpr_dispatch_ptr 0
		.amdhsa_user_sgpr_queue_ptr 0
		.amdhsa_user_sgpr_kernarg_segment_ptr 1
		.amdhsa_user_sgpr_dispatch_id 0
		.amdhsa_user_sgpr_private_segment_size 0
		.amdhsa_wavefront_size32 1
		.amdhsa_uses_dynamic_stack 0
		.amdhsa_enable_private_segment 0
		.amdhsa_system_sgpr_workgroup_id_x 1
		.amdhsa_system_sgpr_workgroup_id_y 0
		.amdhsa_system_sgpr_workgroup_id_z 0
		.amdhsa_system_sgpr_workgroup_info 0
		.amdhsa_system_vgpr_workitem_id 0
		.amdhsa_next_free_vgpr 1
		.amdhsa_next_free_sgpr 1
		.amdhsa_reserve_vcc 0
		.amdhsa_float_round_mode_32 0
		.amdhsa_float_round_mode_16_64 0
		.amdhsa_float_denorm_mode_32 3
		.amdhsa_float_denorm_mode_16_64 3
		.amdhsa_dx10_clamp 1
		.amdhsa_ieee_mode 1
		.amdhsa_fp16_overflow 0
		.amdhsa_workgroup_processor_mode 1
		.amdhsa_memory_ordered 1
		.amdhsa_forward_progress 0
		.amdhsa_shared_vgpr_count 0
		.amdhsa_exception_fp_ieee_invalid_op 0
		.amdhsa_exception_fp_denorm_src 0
		.amdhsa_exception_fp_ieee_div_zero 0
		.amdhsa_exception_fp_ieee_overflow 0
		.amdhsa_exception_fp_ieee_underflow 0
		.amdhsa_exception_fp_ieee_inexact 0
		.amdhsa_exception_int_div_zero 0
	.end_amdhsa_kernel
	.section	.text._ZN7rocprim17ROCPRIM_400000_NS6detail17trampoline_kernelINS0_14default_configENS1_27upper_bound_config_selectorIiN6thrust23THRUST_200600_302600_NS6detail10any_assignEEEZNS1_14transform_implILb0ES3_S9_NS7_15normal_iteratorINS6_10device_ptrIiEEEENS6_16discard_iteratorINS6_11use_defaultEEEZNS1_13binary_searchIS3_S9_SE_SE_SH_NS1_21upper_bound_search_opENS7_16wrapped_functionINS0_4lessIvEEbEEEE10hipError_tPvRmT1_T2_T3_mmT4_T5_P12ihipStream_tbEUlRKiE_EESO_SS_ST_mSU_SX_bEUlT_E_NS1_11comp_targetILNS1_3genE3ELNS1_11target_archE908ELNS1_3gpuE7ELNS1_3repE0EEENS1_30default_config_static_selectorELNS0_4arch9wavefront6targetE0EEEvSR_,"axG",@progbits,_ZN7rocprim17ROCPRIM_400000_NS6detail17trampoline_kernelINS0_14default_configENS1_27upper_bound_config_selectorIiN6thrust23THRUST_200600_302600_NS6detail10any_assignEEEZNS1_14transform_implILb0ES3_S9_NS7_15normal_iteratorINS6_10device_ptrIiEEEENS6_16discard_iteratorINS6_11use_defaultEEEZNS1_13binary_searchIS3_S9_SE_SE_SH_NS1_21upper_bound_search_opENS7_16wrapped_functionINS0_4lessIvEEbEEEE10hipError_tPvRmT1_T2_T3_mmT4_T5_P12ihipStream_tbEUlRKiE_EESO_SS_ST_mSU_SX_bEUlT_E_NS1_11comp_targetILNS1_3genE3ELNS1_11target_archE908ELNS1_3gpuE7ELNS1_3repE0EEENS1_30default_config_static_selectorELNS0_4arch9wavefront6targetE0EEEvSR_,comdat
.Lfunc_end585:
	.size	_ZN7rocprim17ROCPRIM_400000_NS6detail17trampoline_kernelINS0_14default_configENS1_27upper_bound_config_selectorIiN6thrust23THRUST_200600_302600_NS6detail10any_assignEEEZNS1_14transform_implILb0ES3_S9_NS7_15normal_iteratorINS6_10device_ptrIiEEEENS6_16discard_iteratorINS6_11use_defaultEEEZNS1_13binary_searchIS3_S9_SE_SE_SH_NS1_21upper_bound_search_opENS7_16wrapped_functionINS0_4lessIvEEbEEEE10hipError_tPvRmT1_T2_T3_mmT4_T5_P12ihipStream_tbEUlRKiE_EESO_SS_ST_mSU_SX_bEUlT_E_NS1_11comp_targetILNS1_3genE3ELNS1_11target_archE908ELNS1_3gpuE7ELNS1_3repE0EEENS1_30default_config_static_selectorELNS0_4arch9wavefront6targetE0EEEvSR_, .Lfunc_end585-_ZN7rocprim17ROCPRIM_400000_NS6detail17trampoline_kernelINS0_14default_configENS1_27upper_bound_config_selectorIiN6thrust23THRUST_200600_302600_NS6detail10any_assignEEEZNS1_14transform_implILb0ES3_S9_NS7_15normal_iteratorINS6_10device_ptrIiEEEENS6_16discard_iteratorINS6_11use_defaultEEEZNS1_13binary_searchIS3_S9_SE_SE_SH_NS1_21upper_bound_search_opENS7_16wrapped_functionINS0_4lessIvEEbEEEE10hipError_tPvRmT1_T2_T3_mmT4_T5_P12ihipStream_tbEUlRKiE_EESO_SS_ST_mSU_SX_bEUlT_E_NS1_11comp_targetILNS1_3genE3ELNS1_11target_archE908ELNS1_3gpuE7ELNS1_3repE0EEENS1_30default_config_static_selectorELNS0_4arch9wavefront6targetE0EEEvSR_
                                        ; -- End function
	.section	.AMDGPU.csdata,"",@progbits
; Kernel info:
; codeLenInByte = 0
; NumSgprs: 0
; NumVgprs: 0
; ScratchSize: 0
; MemoryBound: 0
; FloatMode: 240
; IeeeMode: 1
; LDSByteSize: 0 bytes/workgroup (compile time only)
; SGPRBlocks: 0
; VGPRBlocks: 0
; NumSGPRsForWavesPerEU: 1
; NumVGPRsForWavesPerEU: 1
; Occupancy: 16
; WaveLimiterHint : 0
; COMPUTE_PGM_RSRC2:SCRATCH_EN: 0
; COMPUTE_PGM_RSRC2:USER_SGPR: 15
; COMPUTE_PGM_RSRC2:TRAP_HANDLER: 0
; COMPUTE_PGM_RSRC2:TGID_X_EN: 1
; COMPUTE_PGM_RSRC2:TGID_Y_EN: 0
; COMPUTE_PGM_RSRC2:TGID_Z_EN: 0
; COMPUTE_PGM_RSRC2:TIDIG_COMP_CNT: 0
	.section	.text._ZN7rocprim17ROCPRIM_400000_NS6detail17trampoline_kernelINS0_14default_configENS1_27upper_bound_config_selectorIiN6thrust23THRUST_200600_302600_NS6detail10any_assignEEEZNS1_14transform_implILb0ES3_S9_NS7_15normal_iteratorINS6_10device_ptrIiEEEENS6_16discard_iteratorINS6_11use_defaultEEEZNS1_13binary_searchIS3_S9_SE_SE_SH_NS1_21upper_bound_search_opENS7_16wrapped_functionINS0_4lessIvEEbEEEE10hipError_tPvRmT1_T2_T3_mmT4_T5_P12ihipStream_tbEUlRKiE_EESO_SS_ST_mSU_SX_bEUlT_E_NS1_11comp_targetILNS1_3genE2ELNS1_11target_archE906ELNS1_3gpuE6ELNS1_3repE0EEENS1_30default_config_static_selectorELNS0_4arch9wavefront6targetE0EEEvSR_,"axG",@progbits,_ZN7rocprim17ROCPRIM_400000_NS6detail17trampoline_kernelINS0_14default_configENS1_27upper_bound_config_selectorIiN6thrust23THRUST_200600_302600_NS6detail10any_assignEEEZNS1_14transform_implILb0ES3_S9_NS7_15normal_iteratorINS6_10device_ptrIiEEEENS6_16discard_iteratorINS6_11use_defaultEEEZNS1_13binary_searchIS3_S9_SE_SE_SH_NS1_21upper_bound_search_opENS7_16wrapped_functionINS0_4lessIvEEbEEEE10hipError_tPvRmT1_T2_T3_mmT4_T5_P12ihipStream_tbEUlRKiE_EESO_SS_ST_mSU_SX_bEUlT_E_NS1_11comp_targetILNS1_3genE2ELNS1_11target_archE906ELNS1_3gpuE6ELNS1_3repE0EEENS1_30default_config_static_selectorELNS0_4arch9wavefront6targetE0EEEvSR_,comdat
	.protected	_ZN7rocprim17ROCPRIM_400000_NS6detail17trampoline_kernelINS0_14default_configENS1_27upper_bound_config_selectorIiN6thrust23THRUST_200600_302600_NS6detail10any_assignEEEZNS1_14transform_implILb0ES3_S9_NS7_15normal_iteratorINS6_10device_ptrIiEEEENS6_16discard_iteratorINS6_11use_defaultEEEZNS1_13binary_searchIS3_S9_SE_SE_SH_NS1_21upper_bound_search_opENS7_16wrapped_functionINS0_4lessIvEEbEEEE10hipError_tPvRmT1_T2_T3_mmT4_T5_P12ihipStream_tbEUlRKiE_EESO_SS_ST_mSU_SX_bEUlT_E_NS1_11comp_targetILNS1_3genE2ELNS1_11target_archE906ELNS1_3gpuE6ELNS1_3repE0EEENS1_30default_config_static_selectorELNS0_4arch9wavefront6targetE0EEEvSR_ ; -- Begin function _ZN7rocprim17ROCPRIM_400000_NS6detail17trampoline_kernelINS0_14default_configENS1_27upper_bound_config_selectorIiN6thrust23THRUST_200600_302600_NS6detail10any_assignEEEZNS1_14transform_implILb0ES3_S9_NS7_15normal_iteratorINS6_10device_ptrIiEEEENS6_16discard_iteratorINS6_11use_defaultEEEZNS1_13binary_searchIS3_S9_SE_SE_SH_NS1_21upper_bound_search_opENS7_16wrapped_functionINS0_4lessIvEEbEEEE10hipError_tPvRmT1_T2_T3_mmT4_T5_P12ihipStream_tbEUlRKiE_EESO_SS_ST_mSU_SX_bEUlT_E_NS1_11comp_targetILNS1_3genE2ELNS1_11target_archE906ELNS1_3gpuE6ELNS1_3repE0EEENS1_30default_config_static_selectorELNS0_4arch9wavefront6targetE0EEEvSR_
	.globl	_ZN7rocprim17ROCPRIM_400000_NS6detail17trampoline_kernelINS0_14default_configENS1_27upper_bound_config_selectorIiN6thrust23THRUST_200600_302600_NS6detail10any_assignEEEZNS1_14transform_implILb0ES3_S9_NS7_15normal_iteratorINS6_10device_ptrIiEEEENS6_16discard_iteratorINS6_11use_defaultEEEZNS1_13binary_searchIS3_S9_SE_SE_SH_NS1_21upper_bound_search_opENS7_16wrapped_functionINS0_4lessIvEEbEEEE10hipError_tPvRmT1_T2_T3_mmT4_T5_P12ihipStream_tbEUlRKiE_EESO_SS_ST_mSU_SX_bEUlT_E_NS1_11comp_targetILNS1_3genE2ELNS1_11target_archE906ELNS1_3gpuE6ELNS1_3repE0EEENS1_30default_config_static_selectorELNS0_4arch9wavefront6targetE0EEEvSR_
	.p2align	8
	.type	_ZN7rocprim17ROCPRIM_400000_NS6detail17trampoline_kernelINS0_14default_configENS1_27upper_bound_config_selectorIiN6thrust23THRUST_200600_302600_NS6detail10any_assignEEEZNS1_14transform_implILb0ES3_S9_NS7_15normal_iteratorINS6_10device_ptrIiEEEENS6_16discard_iteratorINS6_11use_defaultEEEZNS1_13binary_searchIS3_S9_SE_SE_SH_NS1_21upper_bound_search_opENS7_16wrapped_functionINS0_4lessIvEEbEEEE10hipError_tPvRmT1_T2_T3_mmT4_T5_P12ihipStream_tbEUlRKiE_EESO_SS_ST_mSU_SX_bEUlT_E_NS1_11comp_targetILNS1_3genE2ELNS1_11target_archE906ELNS1_3gpuE6ELNS1_3repE0EEENS1_30default_config_static_selectorELNS0_4arch9wavefront6targetE0EEEvSR_,@function
_ZN7rocprim17ROCPRIM_400000_NS6detail17trampoline_kernelINS0_14default_configENS1_27upper_bound_config_selectorIiN6thrust23THRUST_200600_302600_NS6detail10any_assignEEEZNS1_14transform_implILb0ES3_S9_NS7_15normal_iteratorINS6_10device_ptrIiEEEENS6_16discard_iteratorINS6_11use_defaultEEEZNS1_13binary_searchIS3_S9_SE_SE_SH_NS1_21upper_bound_search_opENS7_16wrapped_functionINS0_4lessIvEEbEEEE10hipError_tPvRmT1_T2_T3_mmT4_T5_P12ihipStream_tbEUlRKiE_EESO_SS_ST_mSU_SX_bEUlT_E_NS1_11comp_targetILNS1_3genE2ELNS1_11target_archE906ELNS1_3gpuE6ELNS1_3repE0EEENS1_30default_config_static_selectorELNS0_4arch9wavefront6targetE0EEEvSR_: ; @_ZN7rocprim17ROCPRIM_400000_NS6detail17trampoline_kernelINS0_14default_configENS1_27upper_bound_config_selectorIiN6thrust23THRUST_200600_302600_NS6detail10any_assignEEEZNS1_14transform_implILb0ES3_S9_NS7_15normal_iteratorINS6_10device_ptrIiEEEENS6_16discard_iteratorINS6_11use_defaultEEEZNS1_13binary_searchIS3_S9_SE_SE_SH_NS1_21upper_bound_search_opENS7_16wrapped_functionINS0_4lessIvEEbEEEE10hipError_tPvRmT1_T2_T3_mmT4_T5_P12ihipStream_tbEUlRKiE_EESO_SS_ST_mSU_SX_bEUlT_E_NS1_11comp_targetILNS1_3genE2ELNS1_11target_archE906ELNS1_3gpuE6ELNS1_3repE0EEENS1_30default_config_static_selectorELNS0_4arch9wavefront6targetE0EEEvSR_
; %bb.0:
	.section	.rodata,"a",@progbits
	.p2align	6, 0x0
	.amdhsa_kernel _ZN7rocprim17ROCPRIM_400000_NS6detail17trampoline_kernelINS0_14default_configENS1_27upper_bound_config_selectorIiN6thrust23THRUST_200600_302600_NS6detail10any_assignEEEZNS1_14transform_implILb0ES3_S9_NS7_15normal_iteratorINS6_10device_ptrIiEEEENS6_16discard_iteratorINS6_11use_defaultEEEZNS1_13binary_searchIS3_S9_SE_SE_SH_NS1_21upper_bound_search_opENS7_16wrapped_functionINS0_4lessIvEEbEEEE10hipError_tPvRmT1_T2_T3_mmT4_T5_P12ihipStream_tbEUlRKiE_EESO_SS_ST_mSU_SX_bEUlT_E_NS1_11comp_targetILNS1_3genE2ELNS1_11target_archE906ELNS1_3gpuE6ELNS1_3repE0EEENS1_30default_config_static_selectorELNS0_4arch9wavefront6targetE0EEEvSR_
		.amdhsa_group_segment_fixed_size 0
		.amdhsa_private_segment_fixed_size 0
		.amdhsa_kernarg_size 64
		.amdhsa_user_sgpr_count 15
		.amdhsa_user_sgpr_dispatch_ptr 0
		.amdhsa_user_sgpr_queue_ptr 0
		.amdhsa_user_sgpr_kernarg_segment_ptr 1
		.amdhsa_user_sgpr_dispatch_id 0
		.amdhsa_user_sgpr_private_segment_size 0
		.amdhsa_wavefront_size32 1
		.amdhsa_uses_dynamic_stack 0
		.amdhsa_enable_private_segment 0
		.amdhsa_system_sgpr_workgroup_id_x 1
		.amdhsa_system_sgpr_workgroup_id_y 0
		.amdhsa_system_sgpr_workgroup_id_z 0
		.amdhsa_system_sgpr_workgroup_info 0
		.amdhsa_system_vgpr_workitem_id 0
		.amdhsa_next_free_vgpr 1
		.amdhsa_next_free_sgpr 1
		.amdhsa_reserve_vcc 0
		.amdhsa_float_round_mode_32 0
		.amdhsa_float_round_mode_16_64 0
		.amdhsa_float_denorm_mode_32 3
		.amdhsa_float_denorm_mode_16_64 3
		.amdhsa_dx10_clamp 1
		.amdhsa_ieee_mode 1
		.amdhsa_fp16_overflow 0
		.amdhsa_workgroup_processor_mode 1
		.amdhsa_memory_ordered 1
		.amdhsa_forward_progress 0
		.amdhsa_shared_vgpr_count 0
		.amdhsa_exception_fp_ieee_invalid_op 0
		.amdhsa_exception_fp_denorm_src 0
		.amdhsa_exception_fp_ieee_div_zero 0
		.amdhsa_exception_fp_ieee_overflow 0
		.amdhsa_exception_fp_ieee_underflow 0
		.amdhsa_exception_fp_ieee_inexact 0
		.amdhsa_exception_int_div_zero 0
	.end_amdhsa_kernel
	.section	.text._ZN7rocprim17ROCPRIM_400000_NS6detail17trampoline_kernelINS0_14default_configENS1_27upper_bound_config_selectorIiN6thrust23THRUST_200600_302600_NS6detail10any_assignEEEZNS1_14transform_implILb0ES3_S9_NS7_15normal_iteratorINS6_10device_ptrIiEEEENS6_16discard_iteratorINS6_11use_defaultEEEZNS1_13binary_searchIS3_S9_SE_SE_SH_NS1_21upper_bound_search_opENS7_16wrapped_functionINS0_4lessIvEEbEEEE10hipError_tPvRmT1_T2_T3_mmT4_T5_P12ihipStream_tbEUlRKiE_EESO_SS_ST_mSU_SX_bEUlT_E_NS1_11comp_targetILNS1_3genE2ELNS1_11target_archE906ELNS1_3gpuE6ELNS1_3repE0EEENS1_30default_config_static_selectorELNS0_4arch9wavefront6targetE0EEEvSR_,"axG",@progbits,_ZN7rocprim17ROCPRIM_400000_NS6detail17trampoline_kernelINS0_14default_configENS1_27upper_bound_config_selectorIiN6thrust23THRUST_200600_302600_NS6detail10any_assignEEEZNS1_14transform_implILb0ES3_S9_NS7_15normal_iteratorINS6_10device_ptrIiEEEENS6_16discard_iteratorINS6_11use_defaultEEEZNS1_13binary_searchIS3_S9_SE_SE_SH_NS1_21upper_bound_search_opENS7_16wrapped_functionINS0_4lessIvEEbEEEE10hipError_tPvRmT1_T2_T3_mmT4_T5_P12ihipStream_tbEUlRKiE_EESO_SS_ST_mSU_SX_bEUlT_E_NS1_11comp_targetILNS1_3genE2ELNS1_11target_archE906ELNS1_3gpuE6ELNS1_3repE0EEENS1_30default_config_static_selectorELNS0_4arch9wavefront6targetE0EEEvSR_,comdat
.Lfunc_end586:
	.size	_ZN7rocprim17ROCPRIM_400000_NS6detail17trampoline_kernelINS0_14default_configENS1_27upper_bound_config_selectorIiN6thrust23THRUST_200600_302600_NS6detail10any_assignEEEZNS1_14transform_implILb0ES3_S9_NS7_15normal_iteratorINS6_10device_ptrIiEEEENS6_16discard_iteratorINS6_11use_defaultEEEZNS1_13binary_searchIS3_S9_SE_SE_SH_NS1_21upper_bound_search_opENS7_16wrapped_functionINS0_4lessIvEEbEEEE10hipError_tPvRmT1_T2_T3_mmT4_T5_P12ihipStream_tbEUlRKiE_EESO_SS_ST_mSU_SX_bEUlT_E_NS1_11comp_targetILNS1_3genE2ELNS1_11target_archE906ELNS1_3gpuE6ELNS1_3repE0EEENS1_30default_config_static_selectorELNS0_4arch9wavefront6targetE0EEEvSR_, .Lfunc_end586-_ZN7rocprim17ROCPRIM_400000_NS6detail17trampoline_kernelINS0_14default_configENS1_27upper_bound_config_selectorIiN6thrust23THRUST_200600_302600_NS6detail10any_assignEEEZNS1_14transform_implILb0ES3_S9_NS7_15normal_iteratorINS6_10device_ptrIiEEEENS6_16discard_iteratorINS6_11use_defaultEEEZNS1_13binary_searchIS3_S9_SE_SE_SH_NS1_21upper_bound_search_opENS7_16wrapped_functionINS0_4lessIvEEbEEEE10hipError_tPvRmT1_T2_T3_mmT4_T5_P12ihipStream_tbEUlRKiE_EESO_SS_ST_mSU_SX_bEUlT_E_NS1_11comp_targetILNS1_3genE2ELNS1_11target_archE906ELNS1_3gpuE6ELNS1_3repE0EEENS1_30default_config_static_selectorELNS0_4arch9wavefront6targetE0EEEvSR_
                                        ; -- End function
	.section	.AMDGPU.csdata,"",@progbits
; Kernel info:
; codeLenInByte = 0
; NumSgprs: 0
; NumVgprs: 0
; ScratchSize: 0
; MemoryBound: 0
; FloatMode: 240
; IeeeMode: 1
; LDSByteSize: 0 bytes/workgroup (compile time only)
; SGPRBlocks: 0
; VGPRBlocks: 0
; NumSGPRsForWavesPerEU: 1
; NumVGPRsForWavesPerEU: 1
; Occupancy: 16
; WaveLimiterHint : 0
; COMPUTE_PGM_RSRC2:SCRATCH_EN: 0
; COMPUTE_PGM_RSRC2:USER_SGPR: 15
; COMPUTE_PGM_RSRC2:TRAP_HANDLER: 0
; COMPUTE_PGM_RSRC2:TGID_X_EN: 1
; COMPUTE_PGM_RSRC2:TGID_Y_EN: 0
; COMPUTE_PGM_RSRC2:TGID_Z_EN: 0
; COMPUTE_PGM_RSRC2:TIDIG_COMP_CNT: 0
	.section	.text._ZN7rocprim17ROCPRIM_400000_NS6detail17trampoline_kernelINS0_14default_configENS1_27upper_bound_config_selectorIiN6thrust23THRUST_200600_302600_NS6detail10any_assignEEEZNS1_14transform_implILb0ES3_S9_NS7_15normal_iteratorINS6_10device_ptrIiEEEENS6_16discard_iteratorINS6_11use_defaultEEEZNS1_13binary_searchIS3_S9_SE_SE_SH_NS1_21upper_bound_search_opENS7_16wrapped_functionINS0_4lessIvEEbEEEE10hipError_tPvRmT1_T2_T3_mmT4_T5_P12ihipStream_tbEUlRKiE_EESO_SS_ST_mSU_SX_bEUlT_E_NS1_11comp_targetILNS1_3genE10ELNS1_11target_archE1201ELNS1_3gpuE5ELNS1_3repE0EEENS1_30default_config_static_selectorELNS0_4arch9wavefront6targetE0EEEvSR_,"axG",@progbits,_ZN7rocprim17ROCPRIM_400000_NS6detail17trampoline_kernelINS0_14default_configENS1_27upper_bound_config_selectorIiN6thrust23THRUST_200600_302600_NS6detail10any_assignEEEZNS1_14transform_implILb0ES3_S9_NS7_15normal_iteratorINS6_10device_ptrIiEEEENS6_16discard_iteratorINS6_11use_defaultEEEZNS1_13binary_searchIS3_S9_SE_SE_SH_NS1_21upper_bound_search_opENS7_16wrapped_functionINS0_4lessIvEEbEEEE10hipError_tPvRmT1_T2_T3_mmT4_T5_P12ihipStream_tbEUlRKiE_EESO_SS_ST_mSU_SX_bEUlT_E_NS1_11comp_targetILNS1_3genE10ELNS1_11target_archE1201ELNS1_3gpuE5ELNS1_3repE0EEENS1_30default_config_static_selectorELNS0_4arch9wavefront6targetE0EEEvSR_,comdat
	.protected	_ZN7rocprim17ROCPRIM_400000_NS6detail17trampoline_kernelINS0_14default_configENS1_27upper_bound_config_selectorIiN6thrust23THRUST_200600_302600_NS6detail10any_assignEEEZNS1_14transform_implILb0ES3_S9_NS7_15normal_iteratorINS6_10device_ptrIiEEEENS6_16discard_iteratorINS6_11use_defaultEEEZNS1_13binary_searchIS3_S9_SE_SE_SH_NS1_21upper_bound_search_opENS7_16wrapped_functionINS0_4lessIvEEbEEEE10hipError_tPvRmT1_T2_T3_mmT4_T5_P12ihipStream_tbEUlRKiE_EESO_SS_ST_mSU_SX_bEUlT_E_NS1_11comp_targetILNS1_3genE10ELNS1_11target_archE1201ELNS1_3gpuE5ELNS1_3repE0EEENS1_30default_config_static_selectorELNS0_4arch9wavefront6targetE0EEEvSR_ ; -- Begin function _ZN7rocprim17ROCPRIM_400000_NS6detail17trampoline_kernelINS0_14default_configENS1_27upper_bound_config_selectorIiN6thrust23THRUST_200600_302600_NS6detail10any_assignEEEZNS1_14transform_implILb0ES3_S9_NS7_15normal_iteratorINS6_10device_ptrIiEEEENS6_16discard_iteratorINS6_11use_defaultEEEZNS1_13binary_searchIS3_S9_SE_SE_SH_NS1_21upper_bound_search_opENS7_16wrapped_functionINS0_4lessIvEEbEEEE10hipError_tPvRmT1_T2_T3_mmT4_T5_P12ihipStream_tbEUlRKiE_EESO_SS_ST_mSU_SX_bEUlT_E_NS1_11comp_targetILNS1_3genE10ELNS1_11target_archE1201ELNS1_3gpuE5ELNS1_3repE0EEENS1_30default_config_static_selectorELNS0_4arch9wavefront6targetE0EEEvSR_
	.globl	_ZN7rocprim17ROCPRIM_400000_NS6detail17trampoline_kernelINS0_14default_configENS1_27upper_bound_config_selectorIiN6thrust23THRUST_200600_302600_NS6detail10any_assignEEEZNS1_14transform_implILb0ES3_S9_NS7_15normal_iteratorINS6_10device_ptrIiEEEENS6_16discard_iteratorINS6_11use_defaultEEEZNS1_13binary_searchIS3_S9_SE_SE_SH_NS1_21upper_bound_search_opENS7_16wrapped_functionINS0_4lessIvEEbEEEE10hipError_tPvRmT1_T2_T3_mmT4_T5_P12ihipStream_tbEUlRKiE_EESO_SS_ST_mSU_SX_bEUlT_E_NS1_11comp_targetILNS1_3genE10ELNS1_11target_archE1201ELNS1_3gpuE5ELNS1_3repE0EEENS1_30default_config_static_selectorELNS0_4arch9wavefront6targetE0EEEvSR_
	.p2align	8
	.type	_ZN7rocprim17ROCPRIM_400000_NS6detail17trampoline_kernelINS0_14default_configENS1_27upper_bound_config_selectorIiN6thrust23THRUST_200600_302600_NS6detail10any_assignEEEZNS1_14transform_implILb0ES3_S9_NS7_15normal_iteratorINS6_10device_ptrIiEEEENS6_16discard_iteratorINS6_11use_defaultEEEZNS1_13binary_searchIS3_S9_SE_SE_SH_NS1_21upper_bound_search_opENS7_16wrapped_functionINS0_4lessIvEEbEEEE10hipError_tPvRmT1_T2_T3_mmT4_T5_P12ihipStream_tbEUlRKiE_EESO_SS_ST_mSU_SX_bEUlT_E_NS1_11comp_targetILNS1_3genE10ELNS1_11target_archE1201ELNS1_3gpuE5ELNS1_3repE0EEENS1_30default_config_static_selectorELNS0_4arch9wavefront6targetE0EEEvSR_,@function
_ZN7rocprim17ROCPRIM_400000_NS6detail17trampoline_kernelINS0_14default_configENS1_27upper_bound_config_selectorIiN6thrust23THRUST_200600_302600_NS6detail10any_assignEEEZNS1_14transform_implILb0ES3_S9_NS7_15normal_iteratorINS6_10device_ptrIiEEEENS6_16discard_iteratorINS6_11use_defaultEEEZNS1_13binary_searchIS3_S9_SE_SE_SH_NS1_21upper_bound_search_opENS7_16wrapped_functionINS0_4lessIvEEbEEEE10hipError_tPvRmT1_T2_T3_mmT4_T5_P12ihipStream_tbEUlRKiE_EESO_SS_ST_mSU_SX_bEUlT_E_NS1_11comp_targetILNS1_3genE10ELNS1_11target_archE1201ELNS1_3gpuE5ELNS1_3repE0EEENS1_30default_config_static_selectorELNS0_4arch9wavefront6targetE0EEEvSR_: ; @_ZN7rocprim17ROCPRIM_400000_NS6detail17trampoline_kernelINS0_14default_configENS1_27upper_bound_config_selectorIiN6thrust23THRUST_200600_302600_NS6detail10any_assignEEEZNS1_14transform_implILb0ES3_S9_NS7_15normal_iteratorINS6_10device_ptrIiEEEENS6_16discard_iteratorINS6_11use_defaultEEEZNS1_13binary_searchIS3_S9_SE_SE_SH_NS1_21upper_bound_search_opENS7_16wrapped_functionINS0_4lessIvEEbEEEE10hipError_tPvRmT1_T2_T3_mmT4_T5_P12ihipStream_tbEUlRKiE_EESO_SS_ST_mSU_SX_bEUlT_E_NS1_11comp_targetILNS1_3genE10ELNS1_11target_archE1201ELNS1_3gpuE5ELNS1_3repE0EEENS1_30default_config_static_selectorELNS0_4arch9wavefront6targetE0EEEvSR_
; %bb.0:
	.section	.rodata,"a",@progbits
	.p2align	6, 0x0
	.amdhsa_kernel _ZN7rocprim17ROCPRIM_400000_NS6detail17trampoline_kernelINS0_14default_configENS1_27upper_bound_config_selectorIiN6thrust23THRUST_200600_302600_NS6detail10any_assignEEEZNS1_14transform_implILb0ES3_S9_NS7_15normal_iteratorINS6_10device_ptrIiEEEENS6_16discard_iteratorINS6_11use_defaultEEEZNS1_13binary_searchIS3_S9_SE_SE_SH_NS1_21upper_bound_search_opENS7_16wrapped_functionINS0_4lessIvEEbEEEE10hipError_tPvRmT1_T2_T3_mmT4_T5_P12ihipStream_tbEUlRKiE_EESO_SS_ST_mSU_SX_bEUlT_E_NS1_11comp_targetILNS1_3genE10ELNS1_11target_archE1201ELNS1_3gpuE5ELNS1_3repE0EEENS1_30default_config_static_selectorELNS0_4arch9wavefront6targetE0EEEvSR_
		.amdhsa_group_segment_fixed_size 0
		.amdhsa_private_segment_fixed_size 0
		.amdhsa_kernarg_size 64
		.amdhsa_user_sgpr_count 15
		.amdhsa_user_sgpr_dispatch_ptr 0
		.amdhsa_user_sgpr_queue_ptr 0
		.amdhsa_user_sgpr_kernarg_segment_ptr 1
		.amdhsa_user_sgpr_dispatch_id 0
		.amdhsa_user_sgpr_private_segment_size 0
		.amdhsa_wavefront_size32 1
		.amdhsa_uses_dynamic_stack 0
		.amdhsa_enable_private_segment 0
		.amdhsa_system_sgpr_workgroup_id_x 1
		.amdhsa_system_sgpr_workgroup_id_y 0
		.amdhsa_system_sgpr_workgroup_id_z 0
		.amdhsa_system_sgpr_workgroup_info 0
		.amdhsa_system_vgpr_workitem_id 0
		.amdhsa_next_free_vgpr 1
		.amdhsa_next_free_sgpr 1
		.amdhsa_reserve_vcc 0
		.amdhsa_float_round_mode_32 0
		.amdhsa_float_round_mode_16_64 0
		.amdhsa_float_denorm_mode_32 3
		.amdhsa_float_denorm_mode_16_64 3
		.amdhsa_dx10_clamp 1
		.amdhsa_ieee_mode 1
		.amdhsa_fp16_overflow 0
		.amdhsa_workgroup_processor_mode 1
		.amdhsa_memory_ordered 1
		.amdhsa_forward_progress 0
		.amdhsa_shared_vgpr_count 0
		.amdhsa_exception_fp_ieee_invalid_op 0
		.amdhsa_exception_fp_denorm_src 0
		.amdhsa_exception_fp_ieee_div_zero 0
		.amdhsa_exception_fp_ieee_overflow 0
		.amdhsa_exception_fp_ieee_underflow 0
		.amdhsa_exception_fp_ieee_inexact 0
		.amdhsa_exception_int_div_zero 0
	.end_amdhsa_kernel
	.section	.text._ZN7rocprim17ROCPRIM_400000_NS6detail17trampoline_kernelINS0_14default_configENS1_27upper_bound_config_selectorIiN6thrust23THRUST_200600_302600_NS6detail10any_assignEEEZNS1_14transform_implILb0ES3_S9_NS7_15normal_iteratorINS6_10device_ptrIiEEEENS6_16discard_iteratorINS6_11use_defaultEEEZNS1_13binary_searchIS3_S9_SE_SE_SH_NS1_21upper_bound_search_opENS7_16wrapped_functionINS0_4lessIvEEbEEEE10hipError_tPvRmT1_T2_T3_mmT4_T5_P12ihipStream_tbEUlRKiE_EESO_SS_ST_mSU_SX_bEUlT_E_NS1_11comp_targetILNS1_3genE10ELNS1_11target_archE1201ELNS1_3gpuE5ELNS1_3repE0EEENS1_30default_config_static_selectorELNS0_4arch9wavefront6targetE0EEEvSR_,"axG",@progbits,_ZN7rocprim17ROCPRIM_400000_NS6detail17trampoline_kernelINS0_14default_configENS1_27upper_bound_config_selectorIiN6thrust23THRUST_200600_302600_NS6detail10any_assignEEEZNS1_14transform_implILb0ES3_S9_NS7_15normal_iteratorINS6_10device_ptrIiEEEENS6_16discard_iteratorINS6_11use_defaultEEEZNS1_13binary_searchIS3_S9_SE_SE_SH_NS1_21upper_bound_search_opENS7_16wrapped_functionINS0_4lessIvEEbEEEE10hipError_tPvRmT1_T2_T3_mmT4_T5_P12ihipStream_tbEUlRKiE_EESO_SS_ST_mSU_SX_bEUlT_E_NS1_11comp_targetILNS1_3genE10ELNS1_11target_archE1201ELNS1_3gpuE5ELNS1_3repE0EEENS1_30default_config_static_selectorELNS0_4arch9wavefront6targetE0EEEvSR_,comdat
.Lfunc_end587:
	.size	_ZN7rocprim17ROCPRIM_400000_NS6detail17trampoline_kernelINS0_14default_configENS1_27upper_bound_config_selectorIiN6thrust23THRUST_200600_302600_NS6detail10any_assignEEEZNS1_14transform_implILb0ES3_S9_NS7_15normal_iteratorINS6_10device_ptrIiEEEENS6_16discard_iteratorINS6_11use_defaultEEEZNS1_13binary_searchIS3_S9_SE_SE_SH_NS1_21upper_bound_search_opENS7_16wrapped_functionINS0_4lessIvEEbEEEE10hipError_tPvRmT1_T2_T3_mmT4_T5_P12ihipStream_tbEUlRKiE_EESO_SS_ST_mSU_SX_bEUlT_E_NS1_11comp_targetILNS1_3genE10ELNS1_11target_archE1201ELNS1_3gpuE5ELNS1_3repE0EEENS1_30default_config_static_selectorELNS0_4arch9wavefront6targetE0EEEvSR_, .Lfunc_end587-_ZN7rocprim17ROCPRIM_400000_NS6detail17trampoline_kernelINS0_14default_configENS1_27upper_bound_config_selectorIiN6thrust23THRUST_200600_302600_NS6detail10any_assignEEEZNS1_14transform_implILb0ES3_S9_NS7_15normal_iteratorINS6_10device_ptrIiEEEENS6_16discard_iteratorINS6_11use_defaultEEEZNS1_13binary_searchIS3_S9_SE_SE_SH_NS1_21upper_bound_search_opENS7_16wrapped_functionINS0_4lessIvEEbEEEE10hipError_tPvRmT1_T2_T3_mmT4_T5_P12ihipStream_tbEUlRKiE_EESO_SS_ST_mSU_SX_bEUlT_E_NS1_11comp_targetILNS1_3genE10ELNS1_11target_archE1201ELNS1_3gpuE5ELNS1_3repE0EEENS1_30default_config_static_selectorELNS0_4arch9wavefront6targetE0EEEvSR_
                                        ; -- End function
	.section	.AMDGPU.csdata,"",@progbits
; Kernel info:
; codeLenInByte = 0
; NumSgprs: 0
; NumVgprs: 0
; ScratchSize: 0
; MemoryBound: 0
; FloatMode: 240
; IeeeMode: 1
; LDSByteSize: 0 bytes/workgroup (compile time only)
; SGPRBlocks: 0
; VGPRBlocks: 0
; NumSGPRsForWavesPerEU: 1
; NumVGPRsForWavesPerEU: 1
; Occupancy: 16
; WaveLimiterHint : 0
; COMPUTE_PGM_RSRC2:SCRATCH_EN: 0
; COMPUTE_PGM_RSRC2:USER_SGPR: 15
; COMPUTE_PGM_RSRC2:TRAP_HANDLER: 0
; COMPUTE_PGM_RSRC2:TGID_X_EN: 1
; COMPUTE_PGM_RSRC2:TGID_Y_EN: 0
; COMPUTE_PGM_RSRC2:TGID_Z_EN: 0
; COMPUTE_PGM_RSRC2:TIDIG_COMP_CNT: 0
	.section	.text._ZN7rocprim17ROCPRIM_400000_NS6detail17trampoline_kernelINS0_14default_configENS1_27upper_bound_config_selectorIiN6thrust23THRUST_200600_302600_NS6detail10any_assignEEEZNS1_14transform_implILb0ES3_S9_NS7_15normal_iteratorINS6_10device_ptrIiEEEENS6_16discard_iteratorINS6_11use_defaultEEEZNS1_13binary_searchIS3_S9_SE_SE_SH_NS1_21upper_bound_search_opENS7_16wrapped_functionINS0_4lessIvEEbEEEE10hipError_tPvRmT1_T2_T3_mmT4_T5_P12ihipStream_tbEUlRKiE_EESO_SS_ST_mSU_SX_bEUlT_E_NS1_11comp_targetILNS1_3genE10ELNS1_11target_archE1200ELNS1_3gpuE4ELNS1_3repE0EEENS1_30default_config_static_selectorELNS0_4arch9wavefront6targetE0EEEvSR_,"axG",@progbits,_ZN7rocprim17ROCPRIM_400000_NS6detail17trampoline_kernelINS0_14default_configENS1_27upper_bound_config_selectorIiN6thrust23THRUST_200600_302600_NS6detail10any_assignEEEZNS1_14transform_implILb0ES3_S9_NS7_15normal_iteratorINS6_10device_ptrIiEEEENS6_16discard_iteratorINS6_11use_defaultEEEZNS1_13binary_searchIS3_S9_SE_SE_SH_NS1_21upper_bound_search_opENS7_16wrapped_functionINS0_4lessIvEEbEEEE10hipError_tPvRmT1_T2_T3_mmT4_T5_P12ihipStream_tbEUlRKiE_EESO_SS_ST_mSU_SX_bEUlT_E_NS1_11comp_targetILNS1_3genE10ELNS1_11target_archE1200ELNS1_3gpuE4ELNS1_3repE0EEENS1_30default_config_static_selectorELNS0_4arch9wavefront6targetE0EEEvSR_,comdat
	.protected	_ZN7rocprim17ROCPRIM_400000_NS6detail17trampoline_kernelINS0_14default_configENS1_27upper_bound_config_selectorIiN6thrust23THRUST_200600_302600_NS6detail10any_assignEEEZNS1_14transform_implILb0ES3_S9_NS7_15normal_iteratorINS6_10device_ptrIiEEEENS6_16discard_iteratorINS6_11use_defaultEEEZNS1_13binary_searchIS3_S9_SE_SE_SH_NS1_21upper_bound_search_opENS7_16wrapped_functionINS0_4lessIvEEbEEEE10hipError_tPvRmT1_T2_T3_mmT4_T5_P12ihipStream_tbEUlRKiE_EESO_SS_ST_mSU_SX_bEUlT_E_NS1_11comp_targetILNS1_3genE10ELNS1_11target_archE1200ELNS1_3gpuE4ELNS1_3repE0EEENS1_30default_config_static_selectorELNS0_4arch9wavefront6targetE0EEEvSR_ ; -- Begin function _ZN7rocprim17ROCPRIM_400000_NS6detail17trampoline_kernelINS0_14default_configENS1_27upper_bound_config_selectorIiN6thrust23THRUST_200600_302600_NS6detail10any_assignEEEZNS1_14transform_implILb0ES3_S9_NS7_15normal_iteratorINS6_10device_ptrIiEEEENS6_16discard_iteratorINS6_11use_defaultEEEZNS1_13binary_searchIS3_S9_SE_SE_SH_NS1_21upper_bound_search_opENS7_16wrapped_functionINS0_4lessIvEEbEEEE10hipError_tPvRmT1_T2_T3_mmT4_T5_P12ihipStream_tbEUlRKiE_EESO_SS_ST_mSU_SX_bEUlT_E_NS1_11comp_targetILNS1_3genE10ELNS1_11target_archE1200ELNS1_3gpuE4ELNS1_3repE0EEENS1_30default_config_static_selectorELNS0_4arch9wavefront6targetE0EEEvSR_
	.globl	_ZN7rocprim17ROCPRIM_400000_NS6detail17trampoline_kernelINS0_14default_configENS1_27upper_bound_config_selectorIiN6thrust23THRUST_200600_302600_NS6detail10any_assignEEEZNS1_14transform_implILb0ES3_S9_NS7_15normal_iteratorINS6_10device_ptrIiEEEENS6_16discard_iteratorINS6_11use_defaultEEEZNS1_13binary_searchIS3_S9_SE_SE_SH_NS1_21upper_bound_search_opENS7_16wrapped_functionINS0_4lessIvEEbEEEE10hipError_tPvRmT1_T2_T3_mmT4_T5_P12ihipStream_tbEUlRKiE_EESO_SS_ST_mSU_SX_bEUlT_E_NS1_11comp_targetILNS1_3genE10ELNS1_11target_archE1200ELNS1_3gpuE4ELNS1_3repE0EEENS1_30default_config_static_selectorELNS0_4arch9wavefront6targetE0EEEvSR_
	.p2align	8
	.type	_ZN7rocprim17ROCPRIM_400000_NS6detail17trampoline_kernelINS0_14default_configENS1_27upper_bound_config_selectorIiN6thrust23THRUST_200600_302600_NS6detail10any_assignEEEZNS1_14transform_implILb0ES3_S9_NS7_15normal_iteratorINS6_10device_ptrIiEEEENS6_16discard_iteratorINS6_11use_defaultEEEZNS1_13binary_searchIS3_S9_SE_SE_SH_NS1_21upper_bound_search_opENS7_16wrapped_functionINS0_4lessIvEEbEEEE10hipError_tPvRmT1_T2_T3_mmT4_T5_P12ihipStream_tbEUlRKiE_EESO_SS_ST_mSU_SX_bEUlT_E_NS1_11comp_targetILNS1_3genE10ELNS1_11target_archE1200ELNS1_3gpuE4ELNS1_3repE0EEENS1_30default_config_static_selectorELNS0_4arch9wavefront6targetE0EEEvSR_,@function
_ZN7rocprim17ROCPRIM_400000_NS6detail17trampoline_kernelINS0_14default_configENS1_27upper_bound_config_selectorIiN6thrust23THRUST_200600_302600_NS6detail10any_assignEEEZNS1_14transform_implILb0ES3_S9_NS7_15normal_iteratorINS6_10device_ptrIiEEEENS6_16discard_iteratorINS6_11use_defaultEEEZNS1_13binary_searchIS3_S9_SE_SE_SH_NS1_21upper_bound_search_opENS7_16wrapped_functionINS0_4lessIvEEbEEEE10hipError_tPvRmT1_T2_T3_mmT4_T5_P12ihipStream_tbEUlRKiE_EESO_SS_ST_mSU_SX_bEUlT_E_NS1_11comp_targetILNS1_3genE10ELNS1_11target_archE1200ELNS1_3gpuE4ELNS1_3repE0EEENS1_30default_config_static_selectorELNS0_4arch9wavefront6targetE0EEEvSR_: ; @_ZN7rocprim17ROCPRIM_400000_NS6detail17trampoline_kernelINS0_14default_configENS1_27upper_bound_config_selectorIiN6thrust23THRUST_200600_302600_NS6detail10any_assignEEEZNS1_14transform_implILb0ES3_S9_NS7_15normal_iteratorINS6_10device_ptrIiEEEENS6_16discard_iteratorINS6_11use_defaultEEEZNS1_13binary_searchIS3_S9_SE_SE_SH_NS1_21upper_bound_search_opENS7_16wrapped_functionINS0_4lessIvEEbEEEE10hipError_tPvRmT1_T2_T3_mmT4_T5_P12ihipStream_tbEUlRKiE_EESO_SS_ST_mSU_SX_bEUlT_E_NS1_11comp_targetILNS1_3genE10ELNS1_11target_archE1200ELNS1_3gpuE4ELNS1_3repE0EEENS1_30default_config_static_selectorELNS0_4arch9wavefront6targetE0EEEvSR_
; %bb.0:
	.section	.rodata,"a",@progbits
	.p2align	6, 0x0
	.amdhsa_kernel _ZN7rocprim17ROCPRIM_400000_NS6detail17trampoline_kernelINS0_14default_configENS1_27upper_bound_config_selectorIiN6thrust23THRUST_200600_302600_NS6detail10any_assignEEEZNS1_14transform_implILb0ES3_S9_NS7_15normal_iteratorINS6_10device_ptrIiEEEENS6_16discard_iteratorINS6_11use_defaultEEEZNS1_13binary_searchIS3_S9_SE_SE_SH_NS1_21upper_bound_search_opENS7_16wrapped_functionINS0_4lessIvEEbEEEE10hipError_tPvRmT1_T2_T3_mmT4_T5_P12ihipStream_tbEUlRKiE_EESO_SS_ST_mSU_SX_bEUlT_E_NS1_11comp_targetILNS1_3genE10ELNS1_11target_archE1200ELNS1_3gpuE4ELNS1_3repE0EEENS1_30default_config_static_selectorELNS0_4arch9wavefront6targetE0EEEvSR_
		.amdhsa_group_segment_fixed_size 0
		.amdhsa_private_segment_fixed_size 0
		.amdhsa_kernarg_size 64
		.amdhsa_user_sgpr_count 15
		.amdhsa_user_sgpr_dispatch_ptr 0
		.amdhsa_user_sgpr_queue_ptr 0
		.amdhsa_user_sgpr_kernarg_segment_ptr 1
		.amdhsa_user_sgpr_dispatch_id 0
		.amdhsa_user_sgpr_private_segment_size 0
		.amdhsa_wavefront_size32 1
		.amdhsa_uses_dynamic_stack 0
		.amdhsa_enable_private_segment 0
		.amdhsa_system_sgpr_workgroup_id_x 1
		.amdhsa_system_sgpr_workgroup_id_y 0
		.amdhsa_system_sgpr_workgroup_id_z 0
		.amdhsa_system_sgpr_workgroup_info 0
		.amdhsa_system_vgpr_workitem_id 0
		.amdhsa_next_free_vgpr 1
		.amdhsa_next_free_sgpr 1
		.amdhsa_reserve_vcc 0
		.amdhsa_float_round_mode_32 0
		.amdhsa_float_round_mode_16_64 0
		.amdhsa_float_denorm_mode_32 3
		.amdhsa_float_denorm_mode_16_64 3
		.amdhsa_dx10_clamp 1
		.amdhsa_ieee_mode 1
		.amdhsa_fp16_overflow 0
		.amdhsa_workgroup_processor_mode 1
		.amdhsa_memory_ordered 1
		.amdhsa_forward_progress 0
		.amdhsa_shared_vgpr_count 0
		.amdhsa_exception_fp_ieee_invalid_op 0
		.amdhsa_exception_fp_denorm_src 0
		.amdhsa_exception_fp_ieee_div_zero 0
		.amdhsa_exception_fp_ieee_overflow 0
		.amdhsa_exception_fp_ieee_underflow 0
		.amdhsa_exception_fp_ieee_inexact 0
		.amdhsa_exception_int_div_zero 0
	.end_amdhsa_kernel
	.section	.text._ZN7rocprim17ROCPRIM_400000_NS6detail17trampoline_kernelINS0_14default_configENS1_27upper_bound_config_selectorIiN6thrust23THRUST_200600_302600_NS6detail10any_assignEEEZNS1_14transform_implILb0ES3_S9_NS7_15normal_iteratorINS6_10device_ptrIiEEEENS6_16discard_iteratorINS6_11use_defaultEEEZNS1_13binary_searchIS3_S9_SE_SE_SH_NS1_21upper_bound_search_opENS7_16wrapped_functionINS0_4lessIvEEbEEEE10hipError_tPvRmT1_T2_T3_mmT4_T5_P12ihipStream_tbEUlRKiE_EESO_SS_ST_mSU_SX_bEUlT_E_NS1_11comp_targetILNS1_3genE10ELNS1_11target_archE1200ELNS1_3gpuE4ELNS1_3repE0EEENS1_30default_config_static_selectorELNS0_4arch9wavefront6targetE0EEEvSR_,"axG",@progbits,_ZN7rocprim17ROCPRIM_400000_NS6detail17trampoline_kernelINS0_14default_configENS1_27upper_bound_config_selectorIiN6thrust23THRUST_200600_302600_NS6detail10any_assignEEEZNS1_14transform_implILb0ES3_S9_NS7_15normal_iteratorINS6_10device_ptrIiEEEENS6_16discard_iteratorINS6_11use_defaultEEEZNS1_13binary_searchIS3_S9_SE_SE_SH_NS1_21upper_bound_search_opENS7_16wrapped_functionINS0_4lessIvEEbEEEE10hipError_tPvRmT1_T2_T3_mmT4_T5_P12ihipStream_tbEUlRKiE_EESO_SS_ST_mSU_SX_bEUlT_E_NS1_11comp_targetILNS1_3genE10ELNS1_11target_archE1200ELNS1_3gpuE4ELNS1_3repE0EEENS1_30default_config_static_selectorELNS0_4arch9wavefront6targetE0EEEvSR_,comdat
.Lfunc_end588:
	.size	_ZN7rocprim17ROCPRIM_400000_NS6detail17trampoline_kernelINS0_14default_configENS1_27upper_bound_config_selectorIiN6thrust23THRUST_200600_302600_NS6detail10any_assignEEEZNS1_14transform_implILb0ES3_S9_NS7_15normal_iteratorINS6_10device_ptrIiEEEENS6_16discard_iteratorINS6_11use_defaultEEEZNS1_13binary_searchIS3_S9_SE_SE_SH_NS1_21upper_bound_search_opENS7_16wrapped_functionINS0_4lessIvEEbEEEE10hipError_tPvRmT1_T2_T3_mmT4_T5_P12ihipStream_tbEUlRKiE_EESO_SS_ST_mSU_SX_bEUlT_E_NS1_11comp_targetILNS1_3genE10ELNS1_11target_archE1200ELNS1_3gpuE4ELNS1_3repE0EEENS1_30default_config_static_selectorELNS0_4arch9wavefront6targetE0EEEvSR_, .Lfunc_end588-_ZN7rocprim17ROCPRIM_400000_NS6detail17trampoline_kernelINS0_14default_configENS1_27upper_bound_config_selectorIiN6thrust23THRUST_200600_302600_NS6detail10any_assignEEEZNS1_14transform_implILb0ES3_S9_NS7_15normal_iteratorINS6_10device_ptrIiEEEENS6_16discard_iteratorINS6_11use_defaultEEEZNS1_13binary_searchIS3_S9_SE_SE_SH_NS1_21upper_bound_search_opENS7_16wrapped_functionINS0_4lessIvEEbEEEE10hipError_tPvRmT1_T2_T3_mmT4_T5_P12ihipStream_tbEUlRKiE_EESO_SS_ST_mSU_SX_bEUlT_E_NS1_11comp_targetILNS1_3genE10ELNS1_11target_archE1200ELNS1_3gpuE4ELNS1_3repE0EEENS1_30default_config_static_selectorELNS0_4arch9wavefront6targetE0EEEvSR_
                                        ; -- End function
	.section	.AMDGPU.csdata,"",@progbits
; Kernel info:
; codeLenInByte = 0
; NumSgprs: 0
; NumVgprs: 0
; ScratchSize: 0
; MemoryBound: 0
; FloatMode: 240
; IeeeMode: 1
; LDSByteSize: 0 bytes/workgroup (compile time only)
; SGPRBlocks: 0
; VGPRBlocks: 0
; NumSGPRsForWavesPerEU: 1
; NumVGPRsForWavesPerEU: 1
; Occupancy: 16
; WaveLimiterHint : 0
; COMPUTE_PGM_RSRC2:SCRATCH_EN: 0
; COMPUTE_PGM_RSRC2:USER_SGPR: 15
; COMPUTE_PGM_RSRC2:TRAP_HANDLER: 0
; COMPUTE_PGM_RSRC2:TGID_X_EN: 1
; COMPUTE_PGM_RSRC2:TGID_Y_EN: 0
; COMPUTE_PGM_RSRC2:TGID_Z_EN: 0
; COMPUTE_PGM_RSRC2:TIDIG_COMP_CNT: 0
	.section	.text._ZN7rocprim17ROCPRIM_400000_NS6detail17trampoline_kernelINS0_14default_configENS1_27upper_bound_config_selectorIiN6thrust23THRUST_200600_302600_NS6detail10any_assignEEEZNS1_14transform_implILb0ES3_S9_NS7_15normal_iteratorINS6_10device_ptrIiEEEENS6_16discard_iteratorINS6_11use_defaultEEEZNS1_13binary_searchIS3_S9_SE_SE_SH_NS1_21upper_bound_search_opENS7_16wrapped_functionINS0_4lessIvEEbEEEE10hipError_tPvRmT1_T2_T3_mmT4_T5_P12ihipStream_tbEUlRKiE_EESO_SS_ST_mSU_SX_bEUlT_E_NS1_11comp_targetILNS1_3genE9ELNS1_11target_archE1100ELNS1_3gpuE3ELNS1_3repE0EEENS1_30default_config_static_selectorELNS0_4arch9wavefront6targetE0EEEvSR_,"axG",@progbits,_ZN7rocprim17ROCPRIM_400000_NS6detail17trampoline_kernelINS0_14default_configENS1_27upper_bound_config_selectorIiN6thrust23THRUST_200600_302600_NS6detail10any_assignEEEZNS1_14transform_implILb0ES3_S9_NS7_15normal_iteratorINS6_10device_ptrIiEEEENS6_16discard_iteratorINS6_11use_defaultEEEZNS1_13binary_searchIS3_S9_SE_SE_SH_NS1_21upper_bound_search_opENS7_16wrapped_functionINS0_4lessIvEEbEEEE10hipError_tPvRmT1_T2_T3_mmT4_T5_P12ihipStream_tbEUlRKiE_EESO_SS_ST_mSU_SX_bEUlT_E_NS1_11comp_targetILNS1_3genE9ELNS1_11target_archE1100ELNS1_3gpuE3ELNS1_3repE0EEENS1_30default_config_static_selectorELNS0_4arch9wavefront6targetE0EEEvSR_,comdat
	.protected	_ZN7rocprim17ROCPRIM_400000_NS6detail17trampoline_kernelINS0_14default_configENS1_27upper_bound_config_selectorIiN6thrust23THRUST_200600_302600_NS6detail10any_assignEEEZNS1_14transform_implILb0ES3_S9_NS7_15normal_iteratorINS6_10device_ptrIiEEEENS6_16discard_iteratorINS6_11use_defaultEEEZNS1_13binary_searchIS3_S9_SE_SE_SH_NS1_21upper_bound_search_opENS7_16wrapped_functionINS0_4lessIvEEbEEEE10hipError_tPvRmT1_T2_T3_mmT4_T5_P12ihipStream_tbEUlRKiE_EESO_SS_ST_mSU_SX_bEUlT_E_NS1_11comp_targetILNS1_3genE9ELNS1_11target_archE1100ELNS1_3gpuE3ELNS1_3repE0EEENS1_30default_config_static_selectorELNS0_4arch9wavefront6targetE0EEEvSR_ ; -- Begin function _ZN7rocprim17ROCPRIM_400000_NS6detail17trampoline_kernelINS0_14default_configENS1_27upper_bound_config_selectorIiN6thrust23THRUST_200600_302600_NS6detail10any_assignEEEZNS1_14transform_implILb0ES3_S9_NS7_15normal_iteratorINS6_10device_ptrIiEEEENS6_16discard_iteratorINS6_11use_defaultEEEZNS1_13binary_searchIS3_S9_SE_SE_SH_NS1_21upper_bound_search_opENS7_16wrapped_functionINS0_4lessIvEEbEEEE10hipError_tPvRmT1_T2_T3_mmT4_T5_P12ihipStream_tbEUlRKiE_EESO_SS_ST_mSU_SX_bEUlT_E_NS1_11comp_targetILNS1_3genE9ELNS1_11target_archE1100ELNS1_3gpuE3ELNS1_3repE0EEENS1_30default_config_static_selectorELNS0_4arch9wavefront6targetE0EEEvSR_
	.globl	_ZN7rocprim17ROCPRIM_400000_NS6detail17trampoline_kernelINS0_14default_configENS1_27upper_bound_config_selectorIiN6thrust23THRUST_200600_302600_NS6detail10any_assignEEEZNS1_14transform_implILb0ES3_S9_NS7_15normal_iteratorINS6_10device_ptrIiEEEENS6_16discard_iteratorINS6_11use_defaultEEEZNS1_13binary_searchIS3_S9_SE_SE_SH_NS1_21upper_bound_search_opENS7_16wrapped_functionINS0_4lessIvEEbEEEE10hipError_tPvRmT1_T2_T3_mmT4_T5_P12ihipStream_tbEUlRKiE_EESO_SS_ST_mSU_SX_bEUlT_E_NS1_11comp_targetILNS1_3genE9ELNS1_11target_archE1100ELNS1_3gpuE3ELNS1_3repE0EEENS1_30default_config_static_selectorELNS0_4arch9wavefront6targetE0EEEvSR_
	.p2align	8
	.type	_ZN7rocprim17ROCPRIM_400000_NS6detail17trampoline_kernelINS0_14default_configENS1_27upper_bound_config_selectorIiN6thrust23THRUST_200600_302600_NS6detail10any_assignEEEZNS1_14transform_implILb0ES3_S9_NS7_15normal_iteratorINS6_10device_ptrIiEEEENS6_16discard_iteratorINS6_11use_defaultEEEZNS1_13binary_searchIS3_S9_SE_SE_SH_NS1_21upper_bound_search_opENS7_16wrapped_functionINS0_4lessIvEEbEEEE10hipError_tPvRmT1_T2_T3_mmT4_T5_P12ihipStream_tbEUlRKiE_EESO_SS_ST_mSU_SX_bEUlT_E_NS1_11comp_targetILNS1_3genE9ELNS1_11target_archE1100ELNS1_3gpuE3ELNS1_3repE0EEENS1_30default_config_static_selectorELNS0_4arch9wavefront6targetE0EEEvSR_,@function
_ZN7rocprim17ROCPRIM_400000_NS6detail17trampoline_kernelINS0_14default_configENS1_27upper_bound_config_selectorIiN6thrust23THRUST_200600_302600_NS6detail10any_assignEEEZNS1_14transform_implILb0ES3_S9_NS7_15normal_iteratorINS6_10device_ptrIiEEEENS6_16discard_iteratorINS6_11use_defaultEEEZNS1_13binary_searchIS3_S9_SE_SE_SH_NS1_21upper_bound_search_opENS7_16wrapped_functionINS0_4lessIvEEbEEEE10hipError_tPvRmT1_T2_T3_mmT4_T5_P12ihipStream_tbEUlRKiE_EESO_SS_ST_mSU_SX_bEUlT_E_NS1_11comp_targetILNS1_3genE9ELNS1_11target_archE1100ELNS1_3gpuE3ELNS1_3repE0EEENS1_30default_config_static_selectorELNS0_4arch9wavefront6targetE0EEEvSR_: ; @_ZN7rocprim17ROCPRIM_400000_NS6detail17trampoline_kernelINS0_14default_configENS1_27upper_bound_config_selectorIiN6thrust23THRUST_200600_302600_NS6detail10any_assignEEEZNS1_14transform_implILb0ES3_S9_NS7_15normal_iteratorINS6_10device_ptrIiEEEENS6_16discard_iteratorINS6_11use_defaultEEEZNS1_13binary_searchIS3_S9_SE_SE_SH_NS1_21upper_bound_search_opENS7_16wrapped_functionINS0_4lessIvEEbEEEE10hipError_tPvRmT1_T2_T3_mmT4_T5_P12ihipStream_tbEUlRKiE_EESO_SS_ST_mSU_SX_bEUlT_E_NS1_11comp_targetILNS1_3genE9ELNS1_11target_archE1100ELNS1_3gpuE3ELNS1_3repE0EEENS1_30default_config_static_selectorELNS0_4arch9wavefront6targetE0EEEvSR_
; %bb.0:
	s_endpgm
	.section	.rodata,"a",@progbits
	.p2align	6, 0x0
	.amdhsa_kernel _ZN7rocprim17ROCPRIM_400000_NS6detail17trampoline_kernelINS0_14default_configENS1_27upper_bound_config_selectorIiN6thrust23THRUST_200600_302600_NS6detail10any_assignEEEZNS1_14transform_implILb0ES3_S9_NS7_15normal_iteratorINS6_10device_ptrIiEEEENS6_16discard_iteratorINS6_11use_defaultEEEZNS1_13binary_searchIS3_S9_SE_SE_SH_NS1_21upper_bound_search_opENS7_16wrapped_functionINS0_4lessIvEEbEEEE10hipError_tPvRmT1_T2_T3_mmT4_T5_P12ihipStream_tbEUlRKiE_EESO_SS_ST_mSU_SX_bEUlT_E_NS1_11comp_targetILNS1_3genE9ELNS1_11target_archE1100ELNS1_3gpuE3ELNS1_3repE0EEENS1_30default_config_static_selectorELNS0_4arch9wavefront6targetE0EEEvSR_
		.amdhsa_group_segment_fixed_size 0
		.amdhsa_private_segment_fixed_size 0
		.amdhsa_kernarg_size 64
		.amdhsa_user_sgpr_count 15
		.amdhsa_user_sgpr_dispatch_ptr 0
		.amdhsa_user_sgpr_queue_ptr 0
		.amdhsa_user_sgpr_kernarg_segment_ptr 1
		.amdhsa_user_sgpr_dispatch_id 0
		.amdhsa_user_sgpr_private_segment_size 0
		.amdhsa_wavefront_size32 1
		.amdhsa_uses_dynamic_stack 0
		.amdhsa_enable_private_segment 0
		.amdhsa_system_sgpr_workgroup_id_x 1
		.amdhsa_system_sgpr_workgroup_id_y 0
		.amdhsa_system_sgpr_workgroup_id_z 0
		.amdhsa_system_sgpr_workgroup_info 0
		.amdhsa_system_vgpr_workitem_id 0
		.amdhsa_next_free_vgpr 1
		.amdhsa_next_free_sgpr 1
		.amdhsa_reserve_vcc 0
		.amdhsa_float_round_mode_32 0
		.amdhsa_float_round_mode_16_64 0
		.amdhsa_float_denorm_mode_32 3
		.amdhsa_float_denorm_mode_16_64 3
		.amdhsa_dx10_clamp 1
		.amdhsa_ieee_mode 1
		.amdhsa_fp16_overflow 0
		.amdhsa_workgroup_processor_mode 1
		.amdhsa_memory_ordered 1
		.amdhsa_forward_progress 0
		.amdhsa_shared_vgpr_count 0
		.amdhsa_exception_fp_ieee_invalid_op 0
		.amdhsa_exception_fp_denorm_src 0
		.amdhsa_exception_fp_ieee_div_zero 0
		.amdhsa_exception_fp_ieee_overflow 0
		.amdhsa_exception_fp_ieee_underflow 0
		.amdhsa_exception_fp_ieee_inexact 0
		.amdhsa_exception_int_div_zero 0
	.end_amdhsa_kernel
	.section	.text._ZN7rocprim17ROCPRIM_400000_NS6detail17trampoline_kernelINS0_14default_configENS1_27upper_bound_config_selectorIiN6thrust23THRUST_200600_302600_NS6detail10any_assignEEEZNS1_14transform_implILb0ES3_S9_NS7_15normal_iteratorINS6_10device_ptrIiEEEENS6_16discard_iteratorINS6_11use_defaultEEEZNS1_13binary_searchIS3_S9_SE_SE_SH_NS1_21upper_bound_search_opENS7_16wrapped_functionINS0_4lessIvEEbEEEE10hipError_tPvRmT1_T2_T3_mmT4_T5_P12ihipStream_tbEUlRKiE_EESO_SS_ST_mSU_SX_bEUlT_E_NS1_11comp_targetILNS1_3genE9ELNS1_11target_archE1100ELNS1_3gpuE3ELNS1_3repE0EEENS1_30default_config_static_selectorELNS0_4arch9wavefront6targetE0EEEvSR_,"axG",@progbits,_ZN7rocprim17ROCPRIM_400000_NS6detail17trampoline_kernelINS0_14default_configENS1_27upper_bound_config_selectorIiN6thrust23THRUST_200600_302600_NS6detail10any_assignEEEZNS1_14transform_implILb0ES3_S9_NS7_15normal_iteratorINS6_10device_ptrIiEEEENS6_16discard_iteratorINS6_11use_defaultEEEZNS1_13binary_searchIS3_S9_SE_SE_SH_NS1_21upper_bound_search_opENS7_16wrapped_functionINS0_4lessIvEEbEEEE10hipError_tPvRmT1_T2_T3_mmT4_T5_P12ihipStream_tbEUlRKiE_EESO_SS_ST_mSU_SX_bEUlT_E_NS1_11comp_targetILNS1_3genE9ELNS1_11target_archE1100ELNS1_3gpuE3ELNS1_3repE0EEENS1_30default_config_static_selectorELNS0_4arch9wavefront6targetE0EEEvSR_,comdat
.Lfunc_end589:
	.size	_ZN7rocprim17ROCPRIM_400000_NS6detail17trampoline_kernelINS0_14default_configENS1_27upper_bound_config_selectorIiN6thrust23THRUST_200600_302600_NS6detail10any_assignEEEZNS1_14transform_implILb0ES3_S9_NS7_15normal_iteratorINS6_10device_ptrIiEEEENS6_16discard_iteratorINS6_11use_defaultEEEZNS1_13binary_searchIS3_S9_SE_SE_SH_NS1_21upper_bound_search_opENS7_16wrapped_functionINS0_4lessIvEEbEEEE10hipError_tPvRmT1_T2_T3_mmT4_T5_P12ihipStream_tbEUlRKiE_EESO_SS_ST_mSU_SX_bEUlT_E_NS1_11comp_targetILNS1_3genE9ELNS1_11target_archE1100ELNS1_3gpuE3ELNS1_3repE0EEENS1_30default_config_static_selectorELNS0_4arch9wavefront6targetE0EEEvSR_, .Lfunc_end589-_ZN7rocprim17ROCPRIM_400000_NS6detail17trampoline_kernelINS0_14default_configENS1_27upper_bound_config_selectorIiN6thrust23THRUST_200600_302600_NS6detail10any_assignEEEZNS1_14transform_implILb0ES3_S9_NS7_15normal_iteratorINS6_10device_ptrIiEEEENS6_16discard_iteratorINS6_11use_defaultEEEZNS1_13binary_searchIS3_S9_SE_SE_SH_NS1_21upper_bound_search_opENS7_16wrapped_functionINS0_4lessIvEEbEEEE10hipError_tPvRmT1_T2_T3_mmT4_T5_P12ihipStream_tbEUlRKiE_EESO_SS_ST_mSU_SX_bEUlT_E_NS1_11comp_targetILNS1_3genE9ELNS1_11target_archE1100ELNS1_3gpuE3ELNS1_3repE0EEENS1_30default_config_static_selectorELNS0_4arch9wavefront6targetE0EEEvSR_
                                        ; -- End function
	.section	.AMDGPU.csdata,"",@progbits
; Kernel info:
; codeLenInByte = 4
; NumSgprs: 0
; NumVgprs: 0
; ScratchSize: 0
; MemoryBound: 0
; FloatMode: 240
; IeeeMode: 1
; LDSByteSize: 0 bytes/workgroup (compile time only)
; SGPRBlocks: 0
; VGPRBlocks: 0
; NumSGPRsForWavesPerEU: 1
; NumVGPRsForWavesPerEU: 1
; Occupancy: 16
; WaveLimiterHint : 0
; COMPUTE_PGM_RSRC2:SCRATCH_EN: 0
; COMPUTE_PGM_RSRC2:USER_SGPR: 15
; COMPUTE_PGM_RSRC2:TRAP_HANDLER: 0
; COMPUTE_PGM_RSRC2:TGID_X_EN: 1
; COMPUTE_PGM_RSRC2:TGID_Y_EN: 0
; COMPUTE_PGM_RSRC2:TGID_Z_EN: 0
; COMPUTE_PGM_RSRC2:TIDIG_COMP_CNT: 0
	.section	.text._ZN7rocprim17ROCPRIM_400000_NS6detail17trampoline_kernelINS0_14default_configENS1_27upper_bound_config_selectorIiN6thrust23THRUST_200600_302600_NS6detail10any_assignEEEZNS1_14transform_implILb0ES3_S9_NS7_15normal_iteratorINS6_10device_ptrIiEEEENS6_16discard_iteratorINS6_11use_defaultEEEZNS1_13binary_searchIS3_S9_SE_SE_SH_NS1_21upper_bound_search_opENS7_16wrapped_functionINS0_4lessIvEEbEEEE10hipError_tPvRmT1_T2_T3_mmT4_T5_P12ihipStream_tbEUlRKiE_EESO_SS_ST_mSU_SX_bEUlT_E_NS1_11comp_targetILNS1_3genE8ELNS1_11target_archE1030ELNS1_3gpuE2ELNS1_3repE0EEENS1_30default_config_static_selectorELNS0_4arch9wavefront6targetE0EEEvSR_,"axG",@progbits,_ZN7rocprim17ROCPRIM_400000_NS6detail17trampoline_kernelINS0_14default_configENS1_27upper_bound_config_selectorIiN6thrust23THRUST_200600_302600_NS6detail10any_assignEEEZNS1_14transform_implILb0ES3_S9_NS7_15normal_iteratorINS6_10device_ptrIiEEEENS6_16discard_iteratorINS6_11use_defaultEEEZNS1_13binary_searchIS3_S9_SE_SE_SH_NS1_21upper_bound_search_opENS7_16wrapped_functionINS0_4lessIvEEbEEEE10hipError_tPvRmT1_T2_T3_mmT4_T5_P12ihipStream_tbEUlRKiE_EESO_SS_ST_mSU_SX_bEUlT_E_NS1_11comp_targetILNS1_3genE8ELNS1_11target_archE1030ELNS1_3gpuE2ELNS1_3repE0EEENS1_30default_config_static_selectorELNS0_4arch9wavefront6targetE0EEEvSR_,comdat
	.protected	_ZN7rocprim17ROCPRIM_400000_NS6detail17trampoline_kernelINS0_14default_configENS1_27upper_bound_config_selectorIiN6thrust23THRUST_200600_302600_NS6detail10any_assignEEEZNS1_14transform_implILb0ES3_S9_NS7_15normal_iteratorINS6_10device_ptrIiEEEENS6_16discard_iteratorINS6_11use_defaultEEEZNS1_13binary_searchIS3_S9_SE_SE_SH_NS1_21upper_bound_search_opENS7_16wrapped_functionINS0_4lessIvEEbEEEE10hipError_tPvRmT1_T2_T3_mmT4_T5_P12ihipStream_tbEUlRKiE_EESO_SS_ST_mSU_SX_bEUlT_E_NS1_11comp_targetILNS1_3genE8ELNS1_11target_archE1030ELNS1_3gpuE2ELNS1_3repE0EEENS1_30default_config_static_selectorELNS0_4arch9wavefront6targetE0EEEvSR_ ; -- Begin function _ZN7rocprim17ROCPRIM_400000_NS6detail17trampoline_kernelINS0_14default_configENS1_27upper_bound_config_selectorIiN6thrust23THRUST_200600_302600_NS6detail10any_assignEEEZNS1_14transform_implILb0ES3_S9_NS7_15normal_iteratorINS6_10device_ptrIiEEEENS6_16discard_iteratorINS6_11use_defaultEEEZNS1_13binary_searchIS3_S9_SE_SE_SH_NS1_21upper_bound_search_opENS7_16wrapped_functionINS0_4lessIvEEbEEEE10hipError_tPvRmT1_T2_T3_mmT4_T5_P12ihipStream_tbEUlRKiE_EESO_SS_ST_mSU_SX_bEUlT_E_NS1_11comp_targetILNS1_3genE8ELNS1_11target_archE1030ELNS1_3gpuE2ELNS1_3repE0EEENS1_30default_config_static_selectorELNS0_4arch9wavefront6targetE0EEEvSR_
	.globl	_ZN7rocprim17ROCPRIM_400000_NS6detail17trampoline_kernelINS0_14default_configENS1_27upper_bound_config_selectorIiN6thrust23THRUST_200600_302600_NS6detail10any_assignEEEZNS1_14transform_implILb0ES3_S9_NS7_15normal_iteratorINS6_10device_ptrIiEEEENS6_16discard_iteratorINS6_11use_defaultEEEZNS1_13binary_searchIS3_S9_SE_SE_SH_NS1_21upper_bound_search_opENS7_16wrapped_functionINS0_4lessIvEEbEEEE10hipError_tPvRmT1_T2_T3_mmT4_T5_P12ihipStream_tbEUlRKiE_EESO_SS_ST_mSU_SX_bEUlT_E_NS1_11comp_targetILNS1_3genE8ELNS1_11target_archE1030ELNS1_3gpuE2ELNS1_3repE0EEENS1_30default_config_static_selectorELNS0_4arch9wavefront6targetE0EEEvSR_
	.p2align	8
	.type	_ZN7rocprim17ROCPRIM_400000_NS6detail17trampoline_kernelINS0_14default_configENS1_27upper_bound_config_selectorIiN6thrust23THRUST_200600_302600_NS6detail10any_assignEEEZNS1_14transform_implILb0ES3_S9_NS7_15normal_iteratorINS6_10device_ptrIiEEEENS6_16discard_iteratorINS6_11use_defaultEEEZNS1_13binary_searchIS3_S9_SE_SE_SH_NS1_21upper_bound_search_opENS7_16wrapped_functionINS0_4lessIvEEbEEEE10hipError_tPvRmT1_T2_T3_mmT4_T5_P12ihipStream_tbEUlRKiE_EESO_SS_ST_mSU_SX_bEUlT_E_NS1_11comp_targetILNS1_3genE8ELNS1_11target_archE1030ELNS1_3gpuE2ELNS1_3repE0EEENS1_30default_config_static_selectorELNS0_4arch9wavefront6targetE0EEEvSR_,@function
_ZN7rocprim17ROCPRIM_400000_NS6detail17trampoline_kernelINS0_14default_configENS1_27upper_bound_config_selectorIiN6thrust23THRUST_200600_302600_NS6detail10any_assignEEEZNS1_14transform_implILb0ES3_S9_NS7_15normal_iteratorINS6_10device_ptrIiEEEENS6_16discard_iteratorINS6_11use_defaultEEEZNS1_13binary_searchIS3_S9_SE_SE_SH_NS1_21upper_bound_search_opENS7_16wrapped_functionINS0_4lessIvEEbEEEE10hipError_tPvRmT1_T2_T3_mmT4_T5_P12ihipStream_tbEUlRKiE_EESO_SS_ST_mSU_SX_bEUlT_E_NS1_11comp_targetILNS1_3genE8ELNS1_11target_archE1030ELNS1_3gpuE2ELNS1_3repE0EEENS1_30default_config_static_selectorELNS0_4arch9wavefront6targetE0EEEvSR_: ; @_ZN7rocprim17ROCPRIM_400000_NS6detail17trampoline_kernelINS0_14default_configENS1_27upper_bound_config_selectorIiN6thrust23THRUST_200600_302600_NS6detail10any_assignEEEZNS1_14transform_implILb0ES3_S9_NS7_15normal_iteratorINS6_10device_ptrIiEEEENS6_16discard_iteratorINS6_11use_defaultEEEZNS1_13binary_searchIS3_S9_SE_SE_SH_NS1_21upper_bound_search_opENS7_16wrapped_functionINS0_4lessIvEEbEEEE10hipError_tPvRmT1_T2_T3_mmT4_T5_P12ihipStream_tbEUlRKiE_EESO_SS_ST_mSU_SX_bEUlT_E_NS1_11comp_targetILNS1_3genE8ELNS1_11target_archE1030ELNS1_3gpuE2ELNS1_3repE0EEENS1_30default_config_static_selectorELNS0_4arch9wavefront6targetE0EEEvSR_
; %bb.0:
	.section	.rodata,"a",@progbits
	.p2align	6, 0x0
	.amdhsa_kernel _ZN7rocprim17ROCPRIM_400000_NS6detail17trampoline_kernelINS0_14default_configENS1_27upper_bound_config_selectorIiN6thrust23THRUST_200600_302600_NS6detail10any_assignEEEZNS1_14transform_implILb0ES3_S9_NS7_15normal_iteratorINS6_10device_ptrIiEEEENS6_16discard_iteratorINS6_11use_defaultEEEZNS1_13binary_searchIS3_S9_SE_SE_SH_NS1_21upper_bound_search_opENS7_16wrapped_functionINS0_4lessIvEEbEEEE10hipError_tPvRmT1_T2_T3_mmT4_T5_P12ihipStream_tbEUlRKiE_EESO_SS_ST_mSU_SX_bEUlT_E_NS1_11comp_targetILNS1_3genE8ELNS1_11target_archE1030ELNS1_3gpuE2ELNS1_3repE0EEENS1_30default_config_static_selectorELNS0_4arch9wavefront6targetE0EEEvSR_
		.amdhsa_group_segment_fixed_size 0
		.amdhsa_private_segment_fixed_size 0
		.amdhsa_kernarg_size 64
		.amdhsa_user_sgpr_count 15
		.amdhsa_user_sgpr_dispatch_ptr 0
		.amdhsa_user_sgpr_queue_ptr 0
		.amdhsa_user_sgpr_kernarg_segment_ptr 1
		.amdhsa_user_sgpr_dispatch_id 0
		.amdhsa_user_sgpr_private_segment_size 0
		.amdhsa_wavefront_size32 1
		.amdhsa_uses_dynamic_stack 0
		.amdhsa_enable_private_segment 0
		.amdhsa_system_sgpr_workgroup_id_x 1
		.amdhsa_system_sgpr_workgroup_id_y 0
		.amdhsa_system_sgpr_workgroup_id_z 0
		.amdhsa_system_sgpr_workgroup_info 0
		.amdhsa_system_vgpr_workitem_id 0
		.amdhsa_next_free_vgpr 1
		.amdhsa_next_free_sgpr 1
		.amdhsa_reserve_vcc 0
		.amdhsa_float_round_mode_32 0
		.amdhsa_float_round_mode_16_64 0
		.amdhsa_float_denorm_mode_32 3
		.amdhsa_float_denorm_mode_16_64 3
		.amdhsa_dx10_clamp 1
		.amdhsa_ieee_mode 1
		.amdhsa_fp16_overflow 0
		.amdhsa_workgroup_processor_mode 1
		.amdhsa_memory_ordered 1
		.amdhsa_forward_progress 0
		.amdhsa_shared_vgpr_count 0
		.amdhsa_exception_fp_ieee_invalid_op 0
		.amdhsa_exception_fp_denorm_src 0
		.amdhsa_exception_fp_ieee_div_zero 0
		.amdhsa_exception_fp_ieee_overflow 0
		.amdhsa_exception_fp_ieee_underflow 0
		.amdhsa_exception_fp_ieee_inexact 0
		.amdhsa_exception_int_div_zero 0
	.end_amdhsa_kernel
	.section	.text._ZN7rocprim17ROCPRIM_400000_NS6detail17trampoline_kernelINS0_14default_configENS1_27upper_bound_config_selectorIiN6thrust23THRUST_200600_302600_NS6detail10any_assignEEEZNS1_14transform_implILb0ES3_S9_NS7_15normal_iteratorINS6_10device_ptrIiEEEENS6_16discard_iteratorINS6_11use_defaultEEEZNS1_13binary_searchIS3_S9_SE_SE_SH_NS1_21upper_bound_search_opENS7_16wrapped_functionINS0_4lessIvEEbEEEE10hipError_tPvRmT1_T2_T3_mmT4_T5_P12ihipStream_tbEUlRKiE_EESO_SS_ST_mSU_SX_bEUlT_E_NS1_11comp_targetILNS1_3genE8ELNS1_11target_archE1030ELNS1_3gpuE2ELNS1_3repE0EEENS1_30default_config_static_selectorELNS0_4arch9wavefront6targetE0EEEvSR_,"axG",@progbits,_ZN7rocprim17ROCPRIM_400000_NS6detail17trampoline_kernelINS0_14default_configENS1_27upper_bound_config_selectorIiN6thrust23THRUST_200600_302600_NS6detail10any_assignEEEZNS1_14transform_implILb0ES3_S9_NS7_15normal_iteratorINS6_10device_ptrIiEEEENS6_16discard_iteratorINS6_11use_defaultEEEZNS1_13binary_searchIS3_S9_SE_SE_SH_NS1_21upper_bound_search_opENS7_16wrapped_functionINS0_4lessIvEEbEEEE10hipError_tPvRmT1_T2_T3_mmT4_T5_P12ihipStream_tbEUlRKiE_EESO_SS_ST_mSU_SX_bEUlT_E_NS1_11comp_targetILNS1_3genE8ELNS1_11target_archE1030ELNS1_3gpuE2ELNS1_3repE0EEENS1_30default_config_static_selectorELNS0_4arch9wavefront6targetE0EEEvSR_,comdat
.Lfunc_end590:
	.size	_ZN7rocprim17ROCPRIM_400000_NS6detail17trampoline_kernelINS0_14default_configENS1_27upper_bound_config_selectorIiN6thrust23THRUST_200600_302600_NS6detail10any_assignEEEZNS1_14transform_implILb0ES3_S9_NS7_15normal_iteratorINS6_10device_ptrIiEEEENS6_16discard_iteratorINS6_11use_defaultEEEZNS1_13binary_searchIS3_S9_SE_SE_SH_NS1_21upper_bound_search_opENS7_16wrapped_functionINS0_4lessIvEEbEEEE10hipError_tPvRmT1_T2_T3_mmT4_T5_P12ihipStream_tbEUlRKiE_EESO_SS_ST_mSU_SX_bEUlT_E_NS1_11comp_targetILNS1_3genE8ELNS1_11target_archE1030ELNS1_3gpuE2ELNS1_3repE0EEENS1_30default_config_static_selectorELNS0_4arch9wavefront6targetE0EEEvSR_, .Lfunc_end590-_ZN7rocprim17ROCPRIM_400000_NS6detail17trampoline_kernelINS0_14default_configENS1_27upper_bound_config_selectorIiN6thrust23THRUST_200600_302600_NS6detail10any_assignEEEZNS1_14transform_implILb0ES3_S9_NS7_15normal_iteratorINS6_10device_ptrIiEEEENS6_16discard_iteratorINS6_11use_defaultEEEZNS1_13binary_searchIS3_S9_SE_SE_SH_NS1_21upper_bound_search_opENS7_16wrapped_functionINS0_4lessIvEEbEEEE10hipError_tPvRmT1_T2_T3_mmT4_T5_P12ihipStream_tbEUlRKiE_EESO_SS_ST_mSU_SX_bEUlT_E_NS1_11comp_targetILNS1_3genE8ELNS1_11target_archE1030ELNS1_3gpuE2ELNS1_3repE0EEENS1_30default_config_static_selectorELNS0_4arch9wavefront6targetE0EEEvSR_
                                        ; -- End function
	.section	.AMDGPU.csdata,"",@progbits
; Kernel info:
; codeLenInByte = 0
; NumSgprs: 0
; NumVgprs: 0
; ScratchSize: 0
; MemoryBound: 0
; FloatMode: 240
; IeeeMode: 1
; LDSByteSize: 0 bytes/workgroup (compile time only)
; SGPRBlocks: 0
; VGPRBlocks: 0
; NumSGPRsForWavesPerEU: 1
; NumVGPRsForWavesPerEU: 1
; Occupancy: 16
; WaveLimiterHint : 0
; COMPUTE_PGM_RSRC2:SCRATCH_EN: 0
; COMPUTE_PGM_RSRC2:USER_SGPR: 15
; COMPUTE_PGM_RSRC2:TRAP_HANDLER: 0
; COMPUTE_PGM_RSRC2:TGID_X_EN: 1
; COMPUTE_PGM_RSRC2:TGID_Y_EN: 0
; COMPUTE_PGM_RSRC2:TGID_Z_EN: 0
; COMPUTE_PGM_RSRC2:TIDIG_COMP_CNT: 0
	.section	.text._ZN7rocprim17ROCPRIM_400000_NS6detail17trampoline_kernelINS0_14default_configENS1_27upper_bound_config_selectorIsN6thrust23THRUST_200600_302600_NS6detail10any_assignEEEZNS1_14transform_implILb0ES3_S9_NS7_15normal_iteratorINS6_10device_ptrIsEEEENS6_16discard_iteratorINS6_11use_defaultEEEZNS1_13binary_searchIS3_S9_SE_SE_SH_NS1_21upper_bound_search_opENS7_16wrapped_functionINS0_4lessIvEEbEEEE10hipError_tPvRmT1_T2_T3_mmT4_T5_P12ihipStream_tbEUlRKsE_EESO_SS_ST_mSU_SX_bEUlT_E_NS1_11comp_targetILNS1_3genE0ELNS1_11target_archE4294967295ELNS1_3gpuE0ELNS1_3repE0EEENS1_30default_config_static_selectorELNS0_4arch9wavefront6targetE0EEEvSR_,"axG",@progbits,_ZN7rocprim17ROCPRIM_400000_NS6detail17trampoline_kernelINS0_14default_configENS1_27upper_bound_config_selectorIsN6thrust23THRUST_200600_302600_NS6detail10any_assignEEEZNS1_14transform_implILb0ES3_S9_NS7_15normal_iteratorINS6_10device_ptrIsEEEENS6_16discard_iteratorINS6_11use_defaultEEEZNS1_13binary_searchIS3_S9_SE_SE_SH_NS1_21upper_bound_search_opENS7_16wrapped_functionINS0_4lessIvEEbEEEE10hipError_tPvRmT1_T2_T3_mmT4_T5_P12ihipStream_tbEUlRKsE_EESO_SS_ST_mSU_SX_bEUlT_E_NS1_11comp_targetILNS1_3genE0ELNS1_11target_archE4294967295ELNS1_3gpuE0ELNS1_3repE0EEENS1_30default_config_static_selectorELNS0_4arch9wavefront6targetE0EEEvSR_,comdat
	.protected	_ZN7rocprim17ROCPRIM_400000_NS6detail17trampoline_kernelINS0_14default_configENS1_27upper_bound_config_selectorIsN6thrust23THRUST_200600_302600_NS6detail10any_assignEEEZNS1_14transform_implILb0ES3_S9_NS7_15normal_iteratorINS6_10device_ptrIsEEEENS6_16discard_iteratorINS6_11use_defaultEEEZNS1_13binary_searchIS3_S9_SE_SE_SH_NS1_21upper_bound_search_opENS7_16wrapped_functionINS0_4lessIvEEbEEEE10hipError_tPvRmT1_T2_T3_mmT4_T5_P12ihipStream_tbEUlRKsE_EESO_SS_ST_mSU_SX_bEUlT_E_NS1_11comp_targetILNS1_3genE0ELNS1_11target_archE4294967295ELNS1_3gpuE0ELNS1_3repE0EEENS1_30default_config_static_selectorELNS0_4arch9wavefront6targetE0EEEvSR_ ; -- Begin function _ZN7rocprim17ROCPRIM_400000_NS6detail17trampoline_kernelINS0_14default_configENS1_27upper_bound_config_selectorIsN6thrust23THRUST_200600_302600_NS6detail10any_assignEEEZNS1_14transform_implILb0ES3_S9_NS7_15normal_iteratorINS6_10device_ptrIsEEEENS6_16discard_iteratorINS6_11use_defaultEEEZNS1_13binary_searchIS3_S9_SE_SE_SH_NS1_21upper_bound_search_opENS7_16wrapped_functionINS0_4lessIvEEbEEEE10hipError_tPvRmT1_T2_T3_mmT4_T5_P12ihipStream_tbEUlRKsE_EESO_SS_ST_mSU_SX_bEUlT_E_NS1_11comp_targetILNS1_3genE0ELNS1_11target_archE4294967295ELNS1_3gpuE0ELNS1_3repE0EEENS1_30default_config_static_selectorELNS0_4arch9wavefront6targetE0EEEvSR_
	.globl	_ZN7rocprim17ROCPRIM_400000_NS6detail17trampoline_kernelINS0_14default_configENS1_27upper_bound_config_selectorIsN6thrust23THRUST_200600_302600_NS6detail10any_assignEEEZNS1_14transform_implILb0ES3_S9_NS7_15normal_iteratorINS6_10device_ptrIsEEEENS6_16discard_iteratorINS6_11use_defaultEEEZNS1_13binary_searchIS3_S9_SE_SE_SH_NS1_21upper_bound_search_opENS7_16wrapped_functionINS0_4lessIvEEbEEEE10hipError_tPvRmT1_T2_T3_mmT4_T5_P12ihipStream_tbEUlRKsE_EESO_SS_ST_mSU_SX_bEUlT_E_NS1_11comp_targetILNS1_3genE0ELNS1_11target_archE4294967295ELNS1_3gpuE0ELNS1_3repE0EEENS1_30default_config_static_selectorELNS0_4arch9wavefront6targetE0EEEvSR_
	.p2align	8
	.type	_ZN7rocprim17ROCPRIM_400000_NS6detail17trampoline_kernelINS0_14default_configENS1_27upper_bound_config_selectorIsN6thrust23THRUST_200600_302600_NS6detail10any_assignEEEZNS1_14transform_implILb0ES3_S9_NS7_15normal_iteratorINS6_10device_ptrIsEEEENS6_16discard_iteratorINS6_11use_defaultEEEZNS1_13binary_searchIS3_S9_SE_SE_SH_NS1_21upper_bound_search_opENS7_16wrapped_functionINS0_4lessIvEEbEEEE10hipError_tPvRmT1_T2_T3_mmT4_T5_P12ihipStream_tbEUlRKsE_EESO_SS_ST_mSU_SX_bEUlT_E_NS1_11comp_targetILNS1_3genE0ELNS1_11target_archE4294967295ELNS1_3gpuE0ELNS1_3repE0EEENS1_30default_config_static_selectorELNS0_4arch9wavefront6targetE0EEEvSR_,@function
_ZN7rocprim17ROCPRIM_400000_NS6detail17trampoline_kernelINS0_14default_configENS1_27upper_bound_config_selectorIsN6thrust23THRUST_200600_302600_NS6detail10any_assignEEEZNS1_14transform_implILb0ES3_S9_NS7_15normal_iteratorINS6_10device_ptrIsEEEENS6_16discard_iteratorINS6_11use_defaultEEEZNS1_13binary_searchIS3_S9_SE_SE_SH_NS1_21upper_bound_search_opENS7_16wrapped_functionINS0_4lessIvEEbEEEE10hipError_tPvRmT1_T2_T3_mmT4_T5_P12ihipStream_tbEUlRKsE_EESO_SS_ST_mSU_SX_bEUlT_E_NS1_11comp_targetILNS1_3genE0ELNS1_11target_archE4294967295ELNS1_3gpuE0ELNS1_3repE0EEENS1_30default_config_static_selectorELNS0_4arch9wavefront6targetE0EEEvSR_: ; @_ZN7rocprim17ROCPRIM_400000_NS6detail17trampoline_kernelINS0_14default_configENS1_27upper_bound_config_selectorIsN6thrust23THRUST_200600_302600_NS6detail10any_assignEEEZNS1_14transform_implILb0ES3_S9_NS7_15normal_iteratorINS6_10device_ptrIsEEEENS6_16discard_iteratorINS6_11use_defaultEEEZNS1_13binary_searchIS3_S9_SE_SE_SH_NS1_21upper_bound_search_opENS7_16wrapped_functionINS0_4lessIvEEbEEEE10hipError_tPvRmT1_T2_T3_mmT4_T5_P12ihipStream_tbEUlRKsE_EESO_SS_ST_mSU_SX_bEUlT_E_NS1_11comp_targetILNS1_3genE0ELNS1_11target_archE4294967295ELNS1_3gpuE0ELNS1_3repE0EEENS1_30default_config_static_selectorELNS0_4arch9wavefront6targetE0EEEvSR_
; %bb.0:
	.section	.rodata,"a",@progbits
	.p2align	6, 0x0
	.amdhsa_kernel _ZN7rocprim17ROCPRIM_400000_NS6detail17trampoline_kernelINS0_14default_configENS1_27upper_bound_config_selectorIsN6thrust23THRUST_200600_302600_NS6detail10any_assignEEEZNS1_14transform_implILb0ES3_S9_NS7_15normal_iteratorINS6_10device_ptrIsEEEENS6_16discard_iteratorINS6_11use_defaultEEEZNS1_13binary_searchIS3_S9_SE_SE_SH_NS1_21upper_bound_search_opENS7_16wrapped_functionINS0_4lessIvEEbEEEE10hipError_tPvRmT1_T2_T3_mmT4_T5_P12ihipStream_tbEUlRKsE_EESO_SS_ST_mSU_SX_bEUlT_E_NS1_11comp_targetILNS1_3genE0ELNS1_11target_archE4294967295ELNS1_3gpuE0ELNS1_3repE0EEENS1_30default_config_static_selectorELNS0_4arch9wavefront6targetE0EEEvSR_
		.amdhsa_group_segment_fixed_size 0
		.amdhsa_private_segment_fixed_size 0
		.amdhsa_kernarg_size 64
		.amdhsa_user_sgpr_count 15
		.amdhsa_user_sgpr_dispatch_ptr 0
		.amdhsa_user_sgpr_queue_ptr 0
		.amdhsa_user_sgpr_kernarg_segment_ptr 1
		.amdhsa_user_sgpr_dispatch_id 0
		.amdhsa_user_sgpr_private_segment_size 0
		.amdhsa_wavefront_size32 1
		.amdhsa_uses_dynamic_stack 0
		.amdhsa_enable_private_segment 0
		.amdhsa_system_sgpr_workgroup_id_x 1
		.amdhsa_system_sgpr_workgroup_id_y 0
		.amdhsa_system_sgpr_workgroup_id_z 0
		.amdhsa_system_sgpr_workgroup_info 0
		.amdhsa_system_vgpr_workitem_id 0
		.amdhsa_next_free_vgpr 1
		.amdhsa_next_free_sgpr 1
		.amdhsa_reserve_vcc 0
		.amdhsa_float_round_mode_32 0
		.amdhsa_float_round_mode_16_64 0
		.amdhsa_float_denorm_mode_32 3
		.amdhsa_float_denorm_mode_16_64 3
		.amdhsa_dx10_clamp 1
		.amdhsa_ieee_mode 1
		.amdhsa_fp16_overflow 0
		.amdhsa_workgroup_processor_mode 1
		.amdhsa_memory_ordered 1
		.amdhsa_forward_progress 0
		.amdhsa_shared_vgpr_count 0
		.amdhsa_exception_fp_ieee_invalid_op 0
		.amdhsa_exception_fp_denorm_src 0
		.amdhsa_exception_fp_ieee_div_zero 0
		.amdhsa_exception_fp_ieee_overflow 0
		.amdhsa_exception_fp_ieee_underflow 0
		.amdhsa_exception_fp_ieee_inexact 0
		.amdhsa_exception_int_div_zero 0
	.end_amdhsa_kernel
	.section	.text._ZN7rocprim17ROCPRIM_400000_NS6detail17trampoline_kernelINS0_14default_configENS1_27upper_bound_config_selectorIsN6thrust23THRUST_200600_302600_NS6detail10any_assignEEEZNS1_14transform_implILb0ES3_S9_NS7_15normal_iteratorINS6_10device_ptrIsEEEENS6_16discard_iteratorINS6_11use_defaultEEEZNS1_13binary_searchIS3_S9_SE_SE_SH_NS1_21upper_bound_search_opENS7_16wrapped_functionINS0_4lessIvEEbEEEE10hipError_tPvRmT1_T2_T3_mmT4_T5_P12ihipStream_tbEUlRKsE_EESO_SS_ST_mSU_SX_bEUlT_E_NS1_11comp_targetILNS1_3genE0ELNS1_11target_archE4294967295ELNS1_3gpuE0ELNS1_3repE0EEENS1_30default_config_static_selectorELNS0_4arch9wavefront6targetE0EEEvSR_,"axG",@progbits,_ZN7rocprim17ROCPRIM_400000_NS6detail17trampoline_kernelINS0_14default_configENS1_27upper_bound_config_selectorIsN6thrust23THRUST_200600_302600_NS6detail10any_assignEEEZNS1_14transform_implILb0ES3_S9_NS7_15normal_iteratorINS6_10device_ptrIsEEEENS6_16discard_iteratorINS6_11use_defaultEEEZNS1_13binary_searchIS3_S9_SE_SE_SH_NS1_21upper_bound_search_opENS7_16wrapped_functionINS0_4lessIvEEbEEEE10hipError_tPvRmT1_T2_T3_mmT4_T5_P12ihipStream_tbEUlRKsE_EESO_SS_ST_mSU_SX_bEUlT_E_NS1_11comp_targetILNS1_3genE0ELNS1_11target_archE4294967295ELNS1_3gpuE0ELNS1_3repE0EEENS1_30default_config_static_selectorELNS0_4arch9wavefront6targetE0EEEvSR_,comdat
.Lfunc_end591:
	.size	_ZN7rocprim17ROCPRIM_400000_NS6detail17trampoline_kernelINS0_14default_configENS1_27upper_bound_config_selectorIsN6thrust23THRUST_200600_302600_NS6detail10any_assignEEEZNS1_14transform_implILb0ES3_S9_NS7_15normal_iteratorINS6_10device_ptrIsEEEENS6_16discard_iteratorINS6_11use_defaultEEEZNS1_13binary_searchIS3_S9_SE_SE_SH_NS1_21upper_bound_search_opENS7_16wrapped_functionINS0_4lessIvEEbEEEE10hipError_tPvRmT1_T2_T3_mmT4_T5_P12ihipStream_tbEUlRKsE_EESO_SS_ST_mSU_SX_bEUlT_E_NS1_11comp_targetILNS1_3genE0ELNS1_11target_archE4294967295ELNS1_3gpuE0ELNS1_3repE0EEENS1_30default_config_static_selectorELNS0_4arch9wavefront6targetE0EEEvSR_, .Lfunc_end591-_ZN7rocprim17ROCPRIM_400000_NS6detail17trampoline_kernelINS0_14default_configENS1_27upper_bound_config_selectorIsN6thrust23THRUST_200600_302600_NS6detail10any_assignEEEZNS1_14transform_implILb0ES3_S9_NS7_15normal_iteratorINS6_10device_ptrIsEEEENS6_16discard_iteratorINS6_11use_defaultEEEZNS1_13binary_searchIS3_S9_SE_SE_SH_NS1_21upper_bound_search_opENS7_16wrapped_functionINS0_4lessIvEEbEEEE10hipError_tPvRmT1_T2_T3_mmT4_T5_P12ihipStream_tbEUlRKsE_EESO_SS_ST_mSU_SX_bEUlT_E_NS1_11comp_targetILNS1_3genE0ELNS1_11target_archE4294967295ELNS1_3gpuE0ELNS1_3repE0EEENS1_30default_config_static_selectorELNS0_4arch9wavefront6targetE0EEEvSR_
                                        ; -- End function
	.section	.AMDGPU.csdata,"",@progbits
; Kernel info:
; codeLenInByte = 0
; NumSgprs: 0
; NumVgprs: 0
; ScratchSize: 0
; MemoryBound: 0
; FloatMode: 240
; IeeeMode: 1
; LDSByteSize: 0 bytes/workgroup (compile time only)
; SGPRBlocks: 0
; VGPRBlocks: 0
; NumSGPRsForWavesPerEU: 1
; NumVGPRsForWavesPerEU: 1
; Occupancy: 16
; WaveLimiterHint : 0
; COMPUTE_PGM_RSRC2:SCRATCH_EN: 0
; COMPUTE_PGM_RSRC2:USER_SGPR: 15
; COMPUTE_PGM_RSRC2:TRAP_HANDLER: 0
; COMPUTE_PGM_RSRC2:TGID_X_EN: 1
; COMPUTE_PGM_RSRC2:TGID_Y_EN: 0
; COMPUTE_PGM_RSRC2:TGID_Z_EN: 0
; COMPUTE_PGM_RSRC2:TIDIG_COMP_CNT: 0
	.section	.text._ZN7rocprim17ROCPRIM_400000_NS6detail17trampoline_kernelINS0_14default_configENS1_27upper_bound_config_selectorIsN6thrust23THRUST_200600_302600_NS6detail10any_assignEEEZNS1_14transform_implILb0ES3_S9_NS7_15normal_iteratorINS6_10device_ptrIsEEEENS6_16discard_iteratorINS6_11use_defaultEEEZNS1_13binary_searchIS3_S9_SE_SE_SH_NS1_21upper_bound_search_opENS7_16wrapped_functionINS0_4lessIvEEbEEEE10hipError_tPvRmT1_T2_T3_mmT4_T5_P12ihipStream_tbEUlRKsE_EESO_SS_ST_mSU_SX_bEUlT_E_NS1_11comp_targetILNS1_3genE5ELNS1_11target_archE942ELNS1_3gpuE9ELNS1_3repE0EEENS1_30default_config_static_selectorELNS0_4arch9wavefront6targetE0EEEvSR_,"axG",@progbits,_ZN7rocprim17ROCPRIM_400000_NS6detail17trampoline_kernelINS0_14default_configENS1_27upper_bound_config_selectorIsN6thrust23THRUST_200600_302600_NS6detail10any_assignEEEZNS1_14transform_implILb0ES3_S9_NS7_15normal_iteratorINS6_10device_ptrIsEEEENS6_16discard_iteratorINS6_11use_defaultEEEZNS1_13binary_searchIS3_S9_SE_SE_SH_NS1_21upper_bound_search_opENS7_16wrapped_functionINS0_4lessIvEEbEEEE10hipError_tPvRmT1_T2_T3_mmT4_T5_P12ihipStream_tbEUlRKsE_EESO_SS_ST_mSU_SX_bEUlT_E_NS1_11comp_targetILNS1_3genE5ELNS1_11target_archE942ELNS1_3gpuE9ELNS1_3repE0EEENS1_30default_config_static_selectorELNS0_4arch9wavefront6targetE0EEEvSR_,comdat
	.protected	_ZN7rocprim17ROCPRIM_400000_NS6detail17trampoline_kernelINS0_14default_configENS1_27upper_bound_config_selectorIsN6thrust23THRUST_200600_302600_NS6detail10any_assignEEEZNS1_14transform_implILb0ES3_S9_NS7_15normal_iteratorINS6_10device_ptrIsEEEENS6_16discard_iteratorINS6_11use_defaultEEEZNS1_13binary_searchIS3_S9_SE_SE_SH_NS1_21upper_bound_search_opENS7_16wrapped_functionINS0_4lessIvEEbEEEE10hipError_tPvRmT1_T2_T3_mmT4_T5_P12ihipStream_tbEUlRKsE_EESO_SS_ST_mSU_SX_bEUlT_E_NS1_11comp_targetILNS1_3genE5ELNS1_11target_archE942ELNS1_3gpuE9ELNS1_3repE0EEENS1_30default_config_static_selectorELNS0_4arch9wavefront6targetE0EEEvSR_ ; -- Begin function _ZN7rocprim17ROCPRIM_400000_NS6detail17trampoline_kernelINS0_14default_configENS1_27upper_bound_config_selectorIsN6thrust23THRUST_200600_302600_NS6detail10any_assignEEEZNS1_14transform_implILb0ES3_S9_NS7_15normal_iteratorINS6_10device_ptrIsEEEENS6_16discard_iteratorINS6_11use_defaultEEEZNS1_13binary_searchIS3_S9_SE_SE_SH_NS1_21upper_bound_search_opENS7_16wrapped_functionINS0_4lessIvEEbEEEE10hipError_tPvRmT1_T2_T3_mmT4_T5_P12ihipStream_tbEUlRKsE_EESO_SS_ST_mSU_SX_bEUlT_E_NS1_11comp_targetILNS1_3genE5ELNS1_11target_archE942ELNS1_3gpuE9ELNS1_3repE0EEENS1_30default_config_static_selectorELNS0_4arch9wavefront6targetE0EEEvSR_
	.globl	_ZN7rocprim17ROCPRIM_400000_NS6detail17trampoline_kernelINS0_14default_configENS1_27upper_bound_config_selectorIsN6thrust23THRUST_200600_302600_NS6detail10any_assignEEEZNS1_14transform_implILb0ES3_S9_NS7_15normal_iteratorINS6_10device_ptrIsEEEENS6_16discard_iteratorINS6_11use_defaultEEEZNS1_13binary_searchIS3_S9_SE_SE_SH_NS1_21upper_bound_search_opENS7_16wrapped_functionINS0_4lessIvEEbEEEE10hipError_tPvRmT1_T2_T3_mmT4_T5_P12ihipStream_tbEUlRKsE_EESO_SS_ST_mSU_SX_bEUlT_E_NS1_11comp_targetILNS1_3genE5ELNS1_11target_archE942ELNS1_3gpuE9ELNS1_3repE0EEENS1_30default_config_static_selectorELNS0_4arch9wavefront6targetE0EEEvSR_
	.p2align	8
	.type	_ZN7rocprim17ROCPRIM_400000_NS6detail17trampoline_kernelINS0_14default_configENS1_27upper_bound_config_selectorIsN6thrust23THRUST_200600_302600_NS6detail10any_assignEEEZNS1_14transform_implILb0ES3_S9_NS7_15normal_iteratorINS6_10device_ptrIsEEEENS6_16discard_iteratorINS6_11use_defaultEEEZNS1_13binary_searchIS3_S9_SE_SE_SH_NS1_21upper_bound_search_opENS7_16wrapped_functionINS0_4lessIvEEbEEEE10hipError_tPvRmT1_T2_T3_mmT4_T5_P12ihipStream_tbEUlRKsE_EESO_SS_ST_mSU_SX_bEUlT_E_NS1_11comp_targetILNS1_3genE5ELNS1_11target_archE942ELNS1_3gpuE9ELNS1_3repE0EEENS1_30default_config_static_selectorELNS0_4arch9wavefront6targetE0EEEvSR_,@function
_ZN7rocprim17ROCPRIM_400000_NS6detail17trampoline_kernelINS0_14default_configENS1_27upper_bound_config_selectorIsN6thrust23THRUST_200600_302600_NS6detail10any_assignEEEZNS1_14transform_implILb0ES3_S9_NS7_15normal_iteratorINS6_10device_ptrIsEEEENS6_16discard_iteratorINS6_11use_defaultEEEZNS1_13binary_searchIS3_S9_SE_SE_SH_NS1_21upper_bound_search_opENS7_16wrapped_functionINS0_4lessIvEEbEEEE10hipError_tPvRmT1_T2_T3_mmT4_T5_P12ihipStream_tbEUlRKsE_EESO_SS_ST_mSU_SX_bEUlT_E_NS1_11comp_targetILNS1_3genE5ELNS1_11target_archE942ELNS1_3gpuE9ELNS1_3repE0EEENS1_30default_config_static_selectorELNS0_4arch9wavefront6targetE0EEEvSR_: ; @_ZN7rocprim17ROCPRIM_400000_NS6detail17trampoline_kernelINS0_14default_configENS1_27upper_bound_config_selectorIsN6thrust23THRUST_200600_302600_NS6detail10any_assignEEEZNS1_14transform_implILb0ES3_S9_NS7_15normal_iteratorINS6_10device_ptrIsEEEENS6_16discard_iteratorINS6_11use_defaultEEEZNS1_13binary_searchIS3_S9_SE_SE_SH_NS1_21upper_bound_search_opENS7_16wrapped_functionINS0_4lessIvEEbEEEE10hipError_tPvRmT1_T2_T3_mmT4_T5_P12ihipStream_tbEUlRKsE_EESO_SS_ST_mSU_SX_bEUlT_E_NS1_11comp_targetILNS1_3genE5ELNS1_11target_archE942ELNS1_3gpuE9ELNS1_3repE0EEENS1_30default_config_static_selectorELNS0_4arch9wavefront6targetE0EEEvSR_
; %bb.0:
	.section	.rodata,"a",@progbits
	.p2align	6, 0x0
	.amdhsa_kernel _ZN7rocprim17ROCPRIM_400000_NS6detail17trampoline_kernelINS0_14default_configENS1_27upper_bound_config_selectorIsN6thrust23THRUST_200600_302600_NS6detail10any_assignEEEZNS1_14transform_implILb0ES3_S9_NS7_15normal_iteratorINS6_10device_ptrIsEEEENS6_16discard_iteratorINS6_11use_defaultEEEZNS1_13binary_searchIS3_S9_SE_SE_SH_NS1_21upper_bound_search_opENS7_16wrapped_functionINS0_4lessIvEEbEEEE10hipError_tPvRmT1_T2_T3_mmT4_T5_P12ihipStream_tbEUlRKsE_EESO_SS_ST_mSU_SX_bEUlT_E_NS1_11comp_targetILNS1_3genE5ELNS1_11target_archE942ELNS1_3gpuE9ELNS1_3repE0EEENS1_30default_config_static_selectorELNS0_4arch9wavefront6targetE0EEEvSR_
		.amdhsa_group_segment_fixed_size 0
		.amdhsa_private_segment_fixed_size 0
		.amdhsa_kernarg_size 64
		.amdhsa_user_sgpr_count 15
		.amdhsa_user_sgpr_dispatch_ptr 0
		.amdhsa_user_sgpr_queue_ptr 0
		.amdhsa_user_sgpr_kernarg_segment_ptr 1
		.amdhsa_user_sgpr_dispatch_id 0
		.amdhsa_user_sgpr_private_segment_size 0
		.amdhsa_wavefront_size32 1
		.amdhsa_uses_dynamic_stack 0
		.amdhsa_enable_private_segment 0
		.amdhsa_system_sgpr_workgroup_id_x 1
		.amdhsa_system_sgpr_workgroup_id_y 0
		.amdhsa_system_sgpr_workgroup_id_z 0
		.amdhsa_system_sgpr_workgroup_info 0
		.amdhsa_system_vgpr_workitem_id 0
		.amdhsa_next_free_vgpr 1
		.amdhsa_next_free_sgpr 1
		.amdhsa_reserve_vcc 0
		.amdhsa_float_round_mode_32 0
		.amdhsa_float_round_mode_16_64 0
		.amdhsa_float_denorm_mode_32 3
		.amdhsa_float_denorm_mode_16_64 3
		.amdhsa_dx10_clamp 1
		.amdhsa_ieee_mode 1
		.amdhsa_fp16_overflow 0
		.amdhsa_workgroup_processor_mode 1
		.amdhsa_memory_ordered 1
		.amdhsa_forward_progress 0
		.amdhsa_shared_vgpr_count 0
		.amdhsa_exception_fp_ieee_invalid_op 0
		.amdhsa_exception_fp_denorm_src 0
		.amdhsa_exception_fp_ieee_div_zero 0
		.amdhsa_exception_fp_ieee_overflow 0
		.amdhsa_exception_fp_ieee_underflow 0
		.amdhsa_exception_fp_ieee_inexact 0
		.amdhsa_exception_int_div_zero 0
	.end_amdhsa_kernel
	.section	.text._ZN7rocprim17ROCPRIM_400000_NS6detail17trampoline_kernelINS0_14default_configENS1_27upper_bound_config_selectorIsN6thrust23THRUST_200600_302600_NS6detail10any_assignEEEZNS1_14transform_implILb0ES3_S9_NS7_15normal_iteratorINS6_10device_ptrIsEEEENS6_16discard_iteratorINS6_11use_defaultEEEZNS1_13binary_searchIS3_S9_SE_SE_SH_NS1_21upper_bound_search_opENS7_16wrapped_functionINS0_4lessIvEEbEEEE10hipError_tPvRmT1_T2_T3_mmT4_T5_P12ihipStream_tbEUlRKsE_EESO_SS_ST_mSU_SX_bEUlT_E_NS1_11comp_targetILNS1_3genE5ELNS1_11target_archE942ELNS1_3gpuE9ELNS1_3repE0EEENS1_30default_config_static_selectorELNS0_4arch9wavefront6targetE0EEEvSR_,"axG",@progbits,_ZN7rocprim17ROCPRIM_400000_NS6detail17trampoline_kernelINS0_14default_configENS1_27upper_bound_config_selectorIsN6thrust23THRUST_200600_302600_NS6detail10any_assignEEEZNS1_14transform_implILb0ES3_S9_NS7_15normal_iteratorINS6_10device_ptrIsEEEENS6_16discard_iteratorINS6_11use_defaultEEEZNS1_13binary_searchIS3_S9_SE_SE_SH_NS1_21upper_bound_search_opENS7_16wrapped_functionINS0_4lessIvEEbEEEE10hipError_tPvRmT1_T2_T3_mmT4_T5_P12ihipStream_tbEUlRKsE_EESO_SS_ST_mSU_SX_bEUlT_E_NS1_11comp_targetILNS1_3genE5ELNS1_11target_archE942ELNS1_3gpuE9ELNS1_3repE0EEENS1_30default_config_static_selectorELNS0_4arch9wavefront6targetE0EEEvSR_,comdat
.Lfunc_end592:
	.size	_ZN7rocprim17ROCPRIM_400000_NS6detail17trampoline_kernelINS0_14default_configENS1_27upper_bound_config_selectorIsN6thrust23THRUST_200600_302600_NS6detail10any_assignEEEZNS1_14transform_implILb0ES3_S9_NS7_15normal_iteratorINS6_10device_ptrIsEEEENS6_16discard_iteratorINS6_11use_defaultEEEZNS1_13binary_searchIS3_S9_SE_SE_SH_NS1_21upper_bound_search_opENS7_16wrapped_functionINS0_4lessIvEEbEEEE10hipError_tPvRmT1_T2_T3_mmT4_T5_P12ihipStream_tbEUlRKsE_EESO_SS_ST_mSU_SX_bEUlT_E_NS1_11comp_targetILNS1_3genE5ELNS1_11target_archE942ELNS1_3gpuE9ELNS1_3repE0EEENS1_30default_config_static_selectorELNS0_4arch9wavefront6targetE0EEEvSR_, .Lfunc_end592-_ZN7rocprim17ROCPRIM_400000_NS6detail17trampoline_kernelINS0_14default_configENS1_27upper_bound_config_selectorIsN6thrust23THRUST_200600_302600_NS6detail10any_assignEEEZNS1_14transform_implILb0ES3_S9_NS7_15normal_iteratorINS6_10device_ptrIsEEEENS6_16discard_iteratorINS6_11use_defaultEEEZNS1_13binary_searchIS3_S9_SE_SE_SH_NS1_21upper_bound_search_opENS7_16wrapped_functionINS0_4lessIvEEbEEEE10hipError_tPvRmT1_T2_T3_mmT4_T5_P12ihipStream_tbEUlRKsE_EESO_SS_ST_mSU_SX_bEUlT_E_NS1_11comp_targetILNS1_3genE5ELNS1_11target_archE942ELNS1_3gpuE9ELNS1_3repE0EEENS1_30default_config_static_selectorELNS0_4arch9wavefront6targetE0EEEvSR_
                                        ; -- End function
	.section	.AMDGPU.csdata,"",@progbits
; Kernel info:
; codeLenInByte = 0
; NumSgprs: 0
; NumVgprs: 0
; ScratchSize: 0
; MemoryBound: 0
; FloatMode: 240
; IeeeMode: 1
; LDSByteSize: 0 bytes/workgroup (compile time only)
; SGPRBlocks: 0
; VGPRBlocks: 0
; NumSGPRsForWavesPerEU: 1
; NumVGPRsForWavesPerEU: 1
; Occupancy: 16
; WaveLimiterHint : 0
; COMPUTE_PGM_RSRC2:SCRATCH_EN: 0
; COMPUTE_PGM_RSRC2:USER_SGPR: 15
; COMPUTE_PGM_RSRC2:TRAP_HANDLER: 0
; COMPUTE_PGM_RSRC2:TGID_X_EN: 1
; COMPUTE_PGM_RSRC2:TGID_Y_EN: 0
; COMPUTE_PGM_RSRC2:TGID_Z_EN: 0
; COMPUTE_PGM_RSRC2:TIDIG_COMP_CNT: 0
	.section	.text._ZN7rocprim17ROCPRIM_400000_NS6detail17trampoline_kernelINS0_14default_configENS1_27upper_bound_config_selectorIsN6thrust23THRUST_200600_302600_NS6detail10any_assignEEEZNS1_14transform_implILb0ES3_S9_NS7_15normal_iteratorINS6_10device_ptrIsEEEENS6_16discard_iteratorINS6_11use_defaultEEEZNS1_13binary_searchIS3_S9_SE_SE_SH_NS1_21upper_bound_search_opENS7_16wrapped_functionINS0_4lessIvEEbEEEE10hipError_tPvRmT1_T2_T3_mmT4_T5_P12ihipStream_tbEUlRKsE_EESO_SS_ST_mSU_SX_bEUlT_E_NS1_11comp_targetILNS1_3genE4ELNS1_11target_archE910ELNS1_3gpuE8ELNS1_3repE0EEENS1_30default_config_static_selectorELNS0_4arch9wavefront6targetE0EEEvSR_,"axG",@progbits,_ZN7rocprim17ROCPRIM_400000_NS6detail17trampoline_kernelINS0_14default_configENS1_27upper_bound_config_selectorIsN6thrust23THRUST_200600_302600_NS6detail10any_assignEEEZNS1_14transform_implILb0ES3_S9_NS7_15normal_iteratorINS6_10device_ptrIsEEEENS6_16discard_iteratorINS6_11use_defaultEEEZNS1_13binary_searchIS3_S9_SE_SE_SH_NS1_21upper_bound_search_opENS7_16wrapped_functionINS0_4lessIvEEbEEEE10hipError_tPvRmT1_T2_T3_mmT4_T5_P12ihipStream_tbEUlRKsE_EESO_SS_ST_mSU_SX_bEUlT_E_NS1_11comp_targetILNS1_3genE4ELNS1_11target_archE910ELNS1_3gpuE8ELNS1_3repE0EEENS1_30default_config_static_selectorELNS0_4arch9wavefront6targetE0EEEvSR_,comdat
	.protected	_ZN7rocprim17ROCPRIM_400000_NS6detail17trampoline_kernelINS0_14default_configENS1_27upper_bound_config_selectorIsN6thrust23THRUST_200600_302600_NS6detail10any_assignEEEZNS1_14transform_implILb0ES3_S9_NS7_15normal_iteratorINS6_10device_ptrIsEEEENS6_16discard_iteratorINS6_11use_defaultEEEZNS1_13binary_searchIS3_S9_SE_SE_SH_NS1_21upper_bound_search_opENS7_16wrapped_functionINS0_4lessIvEEbEEEE10hipError_tPvRmT1_T2_T3_mmT4_T5_P12ihipStream_tbEUlRKsE_EESO_SS_ST_mSU_SX_bEUlT_E_NS1_11comp_targetILNS1_3genE4ELNS1_11target_archE910ELNS1_3gpuE8ELNS1_3repE0EEENS1_30default_config_static_selectorELNS0_4arch9wavefront6targetE0EEEvSR_ ; -- Begin function _ZN7rocprim17ROCPRIM_400000_NS6detail17trampoline_kernelINS0_14default_configENS1_27upper_bound_config_selectorIsN6thrust23THRUST_200600_302600_NS6detail10any_assignEEEZNS1_14transform_implILb0ES3_S9_NS7_15normal_iteratorINS6_10device_ptrIsEEEENS6_16discard_iteratorINS6_11use_defaultEEEZNS1_13binary_searchIS3_S9_SE_SE_SH_NS1_21upper_bound_search_opENS7_16wrapped_functionINS0_4lessIvEEbEEEE10hipError_tPvRmT1_T2_T3_mmT4_T5_P12ihipStream_tbEUlRKsE_EESO_SS_ST_mSU_SX_bEUlT_E_NS1_11comp_targetILNS1_3genE4ELNS1_11target_archE910ELNS1_3gpuE8ELNS1_3repE0EEENS1_30default_config_static_selectorELNS0_4arch9wavefront6targetE0EEEvSR_
	.globl	_ZN7rocprim17ROCPRIM_400000_NS6detail17trampoline_kernelINS0_14default_configENS1_27upper_bound_config_selectorIsN6thrust23THRUST_200600_302600_NS6detail10any_assignEEEZNS1_14transform_implILb0ES3_S9_NS7_15normal_iteratorINS6_10device_ptrIsEEEENS6_16discard_iteratorINS6_11use_defaultEEEZNS1_13binary_searchIS3_S9_SE_SE_SH_NS1_21upper_bound_search_opENS7_16wrapped_functionINS0_4lessIvEEbEEEE10hipError_tPvRmT1_T2_T3_mmT4_T5_P12ihipStream_tbEUlRKsE_EESO_SS_ST_mSU_SX_bEUlT_E_NS1_11comp_targetILNS1_3genE4ELNS1_11target_archE910ELNS1_3gpuE8ELNS1_3repE0EEENS1_30default_config_static_selectorELNS0_4arch9wavefront6targetE0EEEvSR_
	.p2align	8
	.type	_ZN7rocprim17ROCPRIM_400000_NS6detail17trampoline_kernelINS0_14default_configENS1_27upper_bound_config_selectorIsN6thrust23THRUST_200600_302600_NS6detail10any_assignEEEZNS1_14transform_implILb0ES3_S9_NS7_15normal_iteratorINS6_10device_ptrIsEEEENS6_16discard_iteratorINS6_11use_defaultEEEZNS1_13binary_searchIS3_S9_SE_SE_SH_NS1_21upper_bound_search_opENS7_16wrapped_functionINS0_4lessIvEEbEEEE10hipError_tPvRmT1_T2_T3_mmT4_T5_P12ihipStream_tbEUlRKsE_EESO_SS_ST_mSU_SX_bEUlT_E_NS1_11comp_targetILNS1_3genE4ELNS1_11target_archE910ELNS1_3gpuE8ELNS1_3repE0EEENS1_30default_config_static_selectorELNS0_4arch9wavefront6targetE0EEEvSR_,@function
_ZN7rocprim17ROCPRIM_400000_NS6detail17trampoline_kernelINS0_14default_configENS1_27upper_bound_config_selectorIsN6thrust23THRUST_200600_302600_NS6detail10any_assignEEEZNS1_14transform_implILb0ES3_S9_NS7_15normal_iteratorINS6_10device_ptrIsEEEENS6_16discard_iteratorINS6_11use_defaultEEEZNS1_13binary_searchIS3_S9_SE_SE_SH_NS1_21upper_bound_search_opENS7_16wrapped_functionINS0_4lessIvEEbEEEE10hipError_tPvRmT1_T2_T3_mmT4_T5_P12ihipStream_tbEUlRKsE_EESO_SS_ST_mSU_SX_bEUlT_E_NS1_11comp_targetILNS1_3genE4ELNS1_11target_archE910ELNS1_3gpuE8ELNS1_3repE0EEENS1_30default_config_static_selectorELNS0_4arch9wavefront6targetE0EEEvSR_: ; @_ZN7rocprim17ROCPRIM_400000_NS6detail17trampoline_kernelINS0_14default_configENS1_27upper_bound_config_selectorIsN6thrust23THRUST_200600_302600_NS6detail10any_assignEEEZNS1_14transform_implILb0ES3_S9_NS7_15normal_iteratorINS6_10device_ptrIsEEEENS6_16discard_iteratorINS6_11use_defaultEEEZNS1_13binary_searchIS3_S9_SE_SE_SH_NS1_21upper_bound_search_opENS7_16wrapped_functionINS0_4lessIvEEbEEEE10hipError_tPvRmT1_T2_T3_mmT4_T5_P12ihipStream_tbEUlRKsE_EESO_SS_ST_mSU_SX_bEUlT_E_NS1_11comp_targetILNS1_3genE4ELNS1_11target_archE910ELNS1_3gpuE8ELNS1_3repE0EEENS1_30default_config_static_selectorELNS0_4arch9wavefront6targetE0EEEvSR_
; %bb.0:
	.section	.rodata,"a",@progbits
	.p2align	6, 0x0
	.amdhsa_kernel _ZN7rocprim17ROCPRIM_400000_NS6detail17trampoline_kernelINS0_14default_configENS1_27upper_bound_config_selectorIsN6thrust23THRUST_200600_302600_NS6detail10any_assignEEEZNS1_14transform_implILb0ES3_S9_NS7_15normal_iteratorINS6_10device_ptrIsEEEENS6_16discard_iteratorINS6_11use_defaultEEEZNS1_13binary_searchIS3_S9_SE_SE_SH_NS1_21upper_bound_search_opENS7_16wrapped_functionINS0_4lessIvEEbEEEE10hipError_tPvRmT1_T2_T3_mmT4_T5_P12ihipStream_tbEUlRKsE_EESO_SS_ST_mSU_SX_bEUlT_E_NS1_11comp_targetILNS1_3genE4ELNS1_11target_archE910ELNS1_3gpuE8ELNS1_3repE0EEENS1_30default_config_static_selectorELNS0_4arch9wavefront6targetE0EEEvSR_
		.amdhsa_group_segment_fixed_size 0
		.amdhsa_private_segment_fixed_size 0
		.amdhsa_kernarg_size 64
		.amdhsa_user_sgpr_count 15
		.amdhsa_user_sgpr_dispatch_ptr 0
		.amdhsa_user_sgpr_queue_ptr 0
		.amdhsa_user_sgpr_kernarg_segment_ptr 1
		.amdhsa_user_sgpr_dispatch_id 0
		.amdhsa_user_sgpr_private_segment_size 0
		.amdhsa_wavefront_size32 1
		.amdhsa_uses_dynamic_stack 0
		.amdhsa_enable_private_segment 0
		.amdhsa_system_sgpr_workgroup_id_x 1
		.amdhsa_system_sgpr_workgroup_id_y 0
		.amdhsa_system_sgpr_workgroup_id_z 0
		.amdhsa_system_sgpr_workgroup_info 0
		.amdhsa_system_vgpr_workitem_id 0
		.amdhsa_next_free_vgpr 1
		.amdhsa_next_free_sgpr 1
		.amdhsa_reserve_vcc 0
		.amdhsa_float_round_mode_32 0
		.amdhsa_float_round_mode_16_64 0
		.amdhsa_float_denorm_mode_32 3
		.amdhsa_float_denorm_mode_16_64 3
		.amdhsa_dx10_clamp 1
		.amdhsa_ieee_mode 1
		.amdhsa_fp16_overflow 0
		.amdhsa_workgroup_processor_mode 1
		.amdhsa_memory_ordered 1
		.amdhsa_forward_progress 0
		.amdhsa_shared_vgpr_count 0
		.amdhsa_exception_fp_ieee_invalid_op 0
		.amdhsa_exception_fp_denorm_src 0
		.amdhsa_exception_fp_ieee_div_zero 0
		.amdhsa_exception_fp_ieee_overflow 0
		.amdhsa_exception_fp_ieee_underflow 0
		.amdhsa_exception_fp_ieee_inexact 0
		.amdhsa_exception_int_div_zero 0
	.end_amdhsa_kernel
	.section	.text._ZN7rocprim17ROCPRIM_400000_NS6detail17trampoline_kernelINS0_14default_configENS1_27upper_bound_config_selectorIsN6thrust23THRUST_200600_302600_NS6detail10any_assignEEEZNS1_14transform_implILb0ES3_S9_NS7_15normal_iteratorINS6_10device_ptrIsEEEENS6_16discard_iteratorINS6_11use_defaultEEEZNS1_13binary_searchIS3_S9_SE_SE_SH_NS1_21upper_bound_search_opENS7_16wrapped_functionINS0_4lessIvEEbEEEE10hipError_tPvRmT1_T2_T3_mmT4_T5_P12ihipStream_tbEUlRKsE_EESO_SS_ST_mSU_SX_bEUlT_E_NS1_11comp_targetILNS1_3genE4ELNS1_11target_archE910ELNS1_3gpuE8ELNS1_3repE0EEENS1_30default_config_static_selectorELNS0_4arch9wavefront6targetE0EEEvSR_,"axG",@progbits,_ZN7rocprim17ROCPRIM_400000_NS6detail17trampoline_kernelINS0_14default_configENS1_27upper_bound_config_selectorIsN6thrust23THRUST_200600_302600_NS6detail10any_assignEEEZNS1_14transform_implILb0ES3_S9_NS7_15normal_iteratorINS6_10device_ptrIsEEEENS6_16discard_iteratorINS6_11use_defaultEEEZNS1_13binary_searchIS3_S9_SE_SE_SH_NS1_21upper_bound_search_opENS7_16wrapped_functionINS0_4lessIvEEbEEEE10hipError_tPvRmT1_T2_T3_mmT4_T5_P12ihipStream_tbEUlRKsE_EESO_SS_ST_mSU_SX_bEUlT_E_NS1_11comp_targetILNS1_3genE4ELNS1_11target_archE910ELNS1_3gpuE8ELNS1_3repE0EEENS1_30default_config_static_selectorELNS0_4arch9wavefront6targetE0EEEvSR_,comdat
.Lfunc_end593:
	.size	_ZN7rocprim17ROCPRIM_400000_NS6detail17trampoline_kernelINS0_14default_configENS1_27upper_bound_config_selectorIsN6thrust23THRUST_200600_302600_NS6detail10any_assignEEEZNS1_14transform_implILb0ES3_S9_NS7_15normal_iteratorINS6_10device_ptrIsEEEENS6_16discard_iteratorINS6_11use_defaultEEEZNS1_13binary_searchIS3_S9_SE_SE_SH_NS1_21upper_bound_search_opENS7_16wrapped_functionINS0_4lessIvEEbEEEE10hipError_tPvRmT1_T2_T3_mmT4_T5_P12ihipStream_tbEUlRKsE_EESO_SS_ST_mSU_SX_bEUlT_E_NS1_11comp_targetILNS1_3genE4ELNS1_11target_archE910ELNS1_3gpuE8ELNS1_3repE0EEENS1_30default_config_static_selectorELNS0_4arch9wavefront6targetE0EEEvSR_, .Lfunc_end593-_ZN7rocprim17ROCPRIM_400000_NS6detail17trampoline_kernelINS0_14default_configENS1_27upper_bound_config_selectorIsN6thrust23THRUST_200600_302600_NS6detail10any_assignEEEZNS1_14transform_implILb0ES3_S9_NS7_15normal_iteratorINS6_10device_ptrIsEEEENS6_16discard_iteratorINS6_11use_defaultEEEZNS1_13binary_searchIS3_S9_SE_SE_SH_NS1_21upper_bound_search_opENS7_16wrapped_functionINS0_4lessIvEEbEEEE10hipError_tPvRmT1_T2_T3_mmT4_T5_P12ihipStream_tbEUlRKsE_EESO_SS_ST_mSU_SX_bEUlT_E_NS1_11comp_targetILNS1_3genE4ELNS1_11target_archE910ELNS1_3gpuE8ELNS1_3repE0EEENS1_30default_config_static_selectorELNS0_4arch9wavefront6targetE0EEEvSR_
                                        ; -- End function
	.section	.AMDGPU.csdata,"",@progbits
; Kernel info:
; codeLenInByte = 0
; NumSgprs: 0
; NumVgprs: 0
; ScratchSize: 0
; MemoryBound: 0
; FloatMode: 240
; IeeeMode: 1
; LDSByteSize: 0 bytes/workgroup (compile time only)
; SGPRBlocks: 0
; VGPRBlocks: 0
; NumSGPRsForWavesPerEU: 1
; NumVGPRsForWavesPerEU: 1
; Occupancy: 16
; WaveLimiterHint : 0
; COMPUTE_PGM_RSRC2:SCRATCH_EN: 0
; COMPUTE_PGM_RSRC2:USER_SGPR: 15
; COMPUTE_PGM_RSRC2:TRAP_HANDLER: 0
; COMPUTE_PGM_RSRC2:TGID_X_EN: 1
; COMPUTE_PGM_RSRC2:TGID_Y_EN: 0
; COMPUTE_PGM_RSRC2:TGID_Z_EN: 0
; COMPUTE_PGM_RSRC2:TIDIG_COMP_CNT: 0
	.section	.text._ZN7rocprim17ROCPRIM_400000_NS6detail17trampoline_kernelINS0_14default_configENS1_27upper_bound_config_selectorIsN6thrust23THRUST_200600_302600_NS6detail10any_assignEEEZNS1_14transform_implILb0ES3_S9_NS7_15normal_iteratorINS6_10device_ptrIsEEEENS6_16discard_iteratorINS6_11use_defaultEEEZNS1_13binary_searchIS3_S9_SE_SE_SH_NS1_21upper_bound_search_opENS7_16wrapped_functionINS0_4lessIvEEbEEEE10hipError_tPvRmT1_T2_T3_mmT4_T5_P12ihipStream_tbEUlRKsE_EESO_SS_ST_mSU_SX_bEUlT_E_NS1_11comp_targetILNS1_3genE3ELNS1_11target_archE908ELNS1_3gpuE7ELNS1_3repE0EEENS1_30default_config_static_selectorELNS0_4arch9wavefront6targetE0EEEvSR_,"axG",@progbits,_ZN7rocprim17ROCPRIM_400000_NS6detail17trampoline_kernelINS0_14default_configENS1_27upper_bound_config_selectorIsN6thrust23THRUST_200600_302600_NS6detail10any_assignEEEZNS1_14transform_implILb0ES3_S9_NS7_15normal_iteratorINS6_10device_ptrIsEEEENS6_16discard_iteratorINS6_11use_defaultEEEZNS1_13binary_searchIS3_S9_SE_SE_SH_NS1_21upper_bound_search_opENS7_16wrapped_functionINS0_4lessIvEEbEEEE10hipError_tPvRmT1_T2_T3_mmT4_T5_P12ihipStream_tbEUlRKsE_EESO_SS_ST_mSU_SX_bEUlT_E_NS1_11comp_targetILNS1_3genE3ELNS1_11target_archE908ELNS1_3gpuE7ELNS1_3repE0EEENS1_30default_config_static_selectorELNS0_4arch9wavefront6targetE0EEEvSR_,comdat
	.protected	_ZN7rocprim17ROCPRIM_400000_NS6detail17trampoline_kernelINS0_14default_configENS1_27upper_bound_config_selectorIsN6thrust23THRUST_200600_302600_NS6detail10any_assignEEEZNS1_14transform_implILb0ES3_S9_NS7_15normal_iteratorINS6_10device_ptrIsEEEENS6_16discard_iteratorINS6_11use_defaultEEEZNS1_13binary_searchIS3_S9_SE_SE_SH_NS1_21upper_bound_search_opENS7_16wrapped_functionINS0_4lessIvEEbEEEE10hipError_tPvRmT1_T2_T3_mmT4_T5_P12ihipStream_tbEUlRKsE_EESO_SS_ST_mSU_SX_bEUlT_E_NS1_11comp_targetILNS1_3genE3ELNS1_11target_archE908ELNS1_3gpuE7ELNS1_3repE0EEENS1_30default_config_static_selectorELNS0_4arch9wavefront6targetE0EEEvSR_ ; -- Begin function _ZN7rocprim17ROCPRIM_400000_NS6detail17trampoline_kernelINS0_14default_configENS1_27upper_bound_config_selectorIsN6thrust23THRUST_200600_302600_NS6detail10any_assignEEEZNS1_14transform_implILb0ES3_S9_NS7_15normal_iteratorINS6_10device_ptrIsEEEENS6_16discard_iteratorINS6_11use_defaultEEEZNS1_13binary_searchIS3_S9_SE_SE_SH_NS1_21upper_bound_search_opENS7_16wrapped_functionINS0_4lessIvEEbEEEE10hipError_tPvRmT1_T2_T3_mmT4_T5_P12ihipStream_tbEUlRKsE_EESO_SS_ST_mSU_SX_bEUlT_E_NS1_11comp_targetILNS1_3genE3ELNS1_11target_archE908ELNS1_3gpuE7ELNS1_3repE0EEENS1_30default_config_static_selectorELNS0_4arch9wavefront6targetE0EEEvSR_
	.globl	_ZN7rocprim17ROCPRIM_400000_NS6detail17trampoline_kernelINS0_14default_configENS1_27upper_bound_config_selectorIsN6thrust23THRUST_200600_302600_NS6detail10any_assignEEEZNS1_14transform_implILb0ES3_S9_NS7_15normal_iteratorINS6_10device_ptrIsEEEENS6_16discard_iteratorINS6_11use_defaultEEEZNS1_13binary_searchIS3_S9_SE_SE_SH_NS1_21upper_bound_search_opENS7_16wrapped_functionINS0_4lessIvEEbEEEE10hipError_tPvRmT1_T2_T3_mmT4_T5_P12ihipStream_tbEUlRKsE_EESO_SS_ST_mSU_SX_bEUlT_E_NS1_11comp_targetILNS1_3genE3ELNS1_11target_archE908ELNS1_3gpuE7ELNS1_3repE0EEENS1_30default_config_static_selectorELNS0_4arch9wavefront6targetE0EEEvSR_
	.p2align	8
	.type	_ZN7rocprim17ROCPRIM_400000_NS6detail17trampoline_kernelINS0_14default_configENS1_27upper_bound_config_selectorIsN6thrust23THRUST_200600_302600_NS6detail10any_assignEEEZNS1_14transform_implILb0ES3_S9_NS7_15normal_iteratorINS6_10device_ptrIsEEEENS6_16discard_iteratorINS6_11use_defaultEEEZNS1_13binary_searchIS3_S9_SE_SE_SH_NS1_21upper_bound_search_opENS7_16wrapped_functionINS0_4lessIvEEbEEEE10hipError_tPvRmT1_T2_T3_mmT4_T5_P12ihipStream_tbEUlRKsE_EESO_SS_ST_mSU_SX_bEUlT_E_NS1_11comp_targetILNS1_3genE3ELNS1_11target_archE908ELNS1_3gpuE7ELNS1_3repE0EEENS1_30default_config_static_selectorELNS0_4arch9wavefront6targetE0EEEvSR_,@function
_ZN7rocprim17ROCPRIM_400000_NS6detail17trampoline_kernelINS0_14default_configENS1_27upper_bound_config_selectorIsN6thrust23THRUST_200600_302600_NS6detail10any_assignEEEZNS1_14transform_implILb0ES3_S9_NS7_15normal_iteratorINS6_10device_ptrIsEEEENS6_16discard_iteratorINS6_11use_defaultEEEZNS1_13binary_searchIS3_S9_SE_SE_SH_NS1_21upper_bound_search_opENS7_16wrapped_functionINS0_4lessIvEEbEEEE10hipError_tPvRmT1_T2_T3_mmT4_T5_P12ihipStream_tbEUlRKsE_EESO_SS_ST_mSU_SX_bEUlT_E_NS1_11comp_targetILNS1_3genE3ELNS1_11target_archE908ELNS1_3gpuE7ELNS1_3repE0EEENS1_30default_config_static_selectorELNS0_4arch9wavefront6targetE0EEEvSR_: ; @_ZN7rocprim17ROCPRIM_400000_NS6detail17trampoline_kernelINS0_14default_configENS1_27upper_bound_config_selectorIsN6thrust23THRUST_200600_302600_NS6detail10any_assignEEEZNS1_14transform_implILb0ES3_S9_NS7_15normal_iteratorINS6_10device_ptrIsEEEENS6_16discard_iteratorINS6_11use_defaultEEEZNS1_13binary_searchIS3_S9_SE_SE_SH_NS1_21upper_bound_search_opENS7_16wrapped_functionINS0_4lessIvEEbEEEE10hipError_tPvRmT1_T2_T3_mmT4_T5_P12ihipStream_tbEUlRKsE_EESO_SS_ST_mSU_SX_bEUlT_E_NS1_11comp_targetILNS1_3genE3ELNS1_11target_archE908ELNS1_3gpuE7ELNS1_3repE0EEENS1_30default_config_static_selectorELNS0_4arch9wavefront6targetE0EEEvSR_
; %bb.0:
	.section	.rodata,"a",@progbits
	.p2align	6, 0x0
	.amdhsa_kernel _ZN7rocprim17ROCPRIM_400000_NS6detail17trampoline_kernelINS0_14default_configENS1_27upper_bound_config_selectorIsN6thrust23THRUST_200600_302600_NS6detail10any_assignEEEZNS1_14transform_implILb0ES3_S9_NS7_15normal_iteratorINS6_10device_ptrIsEEEENS6_16discard_iteratorINS6_11use_defaultEEEZNS1_13binary_searchIS3_S9_SE_SE_SH_NS1_21upper_bound_search_opENS7_16wrapped_functionINS0_4lessIvEEbEEEE10hipError_tPvRmT1_T2_T3_mmT4_T5_P12ihipStream_tbEUlRKsE_EESO_SS_ST_mSU_SX_bEUlT_E_NS1_11comp_targetILNS1_3genE3ELNS1_11target_archE908ELNS1_3gpuE7ELNS1_3repE0EEENS1_30default_config_static_selectorELNS0_4arch9wavefront6targetE0EEEvSR_
		.amdhsa_group_segment_fixed_size 0
		.amdhsa_private_segment_fixed_size 0
		.amdhsa_kernarg_size 64
		.amdhsa_user_sgpr_count 15
		.amdhsa_user_sgpr_dispatch_ptr 0
		.amdhsa_user_sgpr_queue_ptr 0
		.amdhsa_user_sgpr_kernarg_segment_ptr 1
		.amdhsa_user_sgpr_dispatch_id 0
		.amdhsa_user_sgpr_private_segment_size 0
		.amdhsa_wavefront_size32 1
		.amdhsa_uses_dynamic_stack 0
		.amdhsa_enable_private_segment 0
		.amdhsa_system_sgpr_workgroup_id_x 1
		.amdhsa_system_sgpr_workgroup_id_y 0
		.amdhsa_system_sgpr_workgroup_id_z 0
		.amdhsa_system_sgpr_workgroup_info 0
		.amdhsa_system_vgpr_workitem_id 0
		.amdhsa_next_free_vgpr 1
		.amdhsa_next_free_sgpr 1
		.amdhsa_reserve_vcc 0
		.amdhsa_float_round_mode_32 0
		.amdhsa_float_round_mode_16_64 0
		.amdhsa_float_denorm_mode_32 3
		.amdhsa_float_denorm_mode_16_64 3
		.amdhsa_dx10_clamp 1
		.amdhsa_ieee_mode 1
		.amdhsa_fp16_overflow 0
		.amdhsa_workgroup_processor_mode 1
		.amdhsa_memory_ordered 1
		.amdhsa_forward_progress 0
		.amdhsa_shared_vgpr_count 0
		.amdhsa_exception_fp_ieee_invalid_op 0
		.amdhsa_exception_fp_denorm_src 0
		.amdhsa_exception_fp_ieee_div_zero 0
		.amdhsa_exception_fp_ieee_overflow 0
		.amdhsa_exception_fp_ieee_underflow 0
		.amdhsa_exception_fp_ieee_inexact 0
		.amdhsa_exception_int_div_zero 0
	.end_amdhsa_kernel
	.section	.text._ZN7rocprim17ROCPRIM_400000_NS6detail17trampoline_kernelINS0_14default_configENS1_27upper_bound_config_selectorIsN6thrust23THRUST_200600_302600_NS6detail10any_assignEEEZNS1_14transform_implILb0ES3_S9_NS7_15normal_iteratorINS6_10device_ptrIsEEEENS6_16discard_iteratorINS6_11use_defaultEEEZNS1_13binary_searchIS3_S9_SE_SE_SH_NS1_21upper_bound_search_opENS7_16wrapped_functionINS0_4lessIvEEbEEEE10hipError_tPvRmT1_T2_T3_mmT4_T5_P12ihipStream_tbEUlRKsE_EESO_SS_ST_mSU_SX_bEUlT_E_NS1_11comp_targetILNS1_3genE3ELNS1_11target_archE908ELNS1_3gpuE7ELNS1_3repE0EEENS1_30default_config_static_selectorELNS0_4arch9wavefront6targetE0EEEvSR_,"axG",@progbits,_ZN7rocprim17ROCPRIM_400000_NS6detail17trampoline_kernelINS0_14default_configENS1_27upper_bound_config_selectorIsN6thrust23THRUST_200600_302600_NS6detail10any_assignEEEZNS1_14transform_implILb0ES3_S9_NS7_15normal_iteratorINS6_10device_ptrIsEEEENS6_16discard_iteratorINS6_11use_defaultEEEZNS1_13binary_searchIS3_S9_SE_SE_SH_NS1_21upper_bound_search_opENS7_16wrapped_functionINS0_4lessIvEEbEEEE10hipError_tPvRmT1_T2_T3_mmT4_T5_P12ihipStream_tbEUlRKsE_EESO_SS_ST_mSU_SX_bEUlT_E_NS1_11comp_targetILNS1_3genE3ELNS1_11target_archE908ELNS1_3gpuE7ELNS1_3repE0EEENS1_30default_config_static_selectorELNS0_4arch9wavefront6targetE0EEEvSR_,comdat
.Lfunc_end594:
	.size	_ZN7rocprim17ROCPRIM_400000_NS6detail17trampoline_kernelINS0_14default_configENS1_27upper_bound_config_selectorIsN6thrust23THRUST_200600_302600_NS6detail10any_assignEEEZNS1_14transform_implILb0ES3_S9_NS7_15normal_iteratorINS6_10device_ptrIsEEEENS6_16discard_iteratorINS6_11use_defaultEEEZNS1_13binary_searchIS3_S9_SE_SE_SH_NS1_21upper_bound_search_opENS7_16wrapped_functionINS0_4lessIvEEbEEEE10hipError_tPvRmT1_T2_T3_mmT4_T5_P12ihipStream_tbEUlRKsE_EESO_SS_ST_mSU_SX_bEUlT_E_NS1_11comp_targetILNS1_3genE3ELNS1_11target_archE908ELNS1_3gpuE7ELNS1_3repE0EEENS1_30default_config_static_selectorELNS0_4arch9wavefront6targetE0EEEvSR_, .Lfunc_end594-_ZN7rocprim17ROCPRIM_400000_NS6detail17trampoline_kernelINS0_14default_configENS1_27upper_bound_config_selectorIsN6thrust23THRUST_200600_302600_NS6detail10any_assignEEEZNS1_14transform_implILb0ES3_S9_NS7_15normal_iteratorINS6_10device_ptrIsEEEENS6_16discard_iteratorINS6_11use_defaultEEEZNS1_13binary_searchIS3_S9_SE_SE_SH_NS1_21upper_bound_search_opENS7_16wrapped_functionINS0_4lessIvEEbEEEE10hipError_tPvRmT1_T2_T3_mmT4_T5_P12ihipStream_tbEUlRKsE_EESO_SS_ST_mSU_SX_bEUlT_E_NS1_11comp_targetILNS1_3genE3ELNS1_11target_archE908ELNS1_3gpuE7ELNS1_3repE0EEENS1_30default_config_static_selectorELNS0_4arch9wavefront6targetE0EEEvSR_
                                        ; -- End function
	.section	.AMDGPU.csdata,"",@progbits
; Kernel info:
; codeLenInByte = 0
; NumSgprs: 0
; NumVgprs: 0
; ScratchSize: 0
; MemoryBound: 0
; FloatMode: 240
; IeeeMode: 1
; LDSByteSize: 0 bytes/workgroup (compile time only)
; SGPRBlocks: 0
; VGPRBlocks: 0
; NumSGPRsForWavesPerEU: 1
; NumVGPRsForWavesPerEU: 1
; Occupancy: 16
; WaveLimiterHint : 0
; COMPUTE_PGM_RSRC2:SCRATCH_EN: 0
; COMPUTE_PGM_RSRC2:USER_SGPR: 15
; COMPUTE_PGM_RSRC2:TRAP_HANDLER: 0
; COMPUTE_PGM_RSRC2:TGID_X_EN: 1
; COMPUTE_PGM_RSRC2:TGID_Y_EN: 0
; COMPUTE_PGM_RSRC2:TGID_Z_EN: 0
; COMPUTE_PGM_RSRC2:TIDIG_COMP_CNT: 0
	.section	.text._ZN7rocprim17ROCPRIM_400000_NS6detail17trampoline_kernelINS0_14default_configENS1_27upper_bound_config_selectorIsN6thrust23THRUST_200600_302600_NS6detail10any_assignEEEZNS1_14transform_implILb0ES3_S9_NS7_15normal_iteratorINS6_10device_ptrIsEEEENS6_16discard_iteratorINS6_11use_defaultEEEZNS1_13binary_searchIS3_S9_SE_SE_SH_NS1_21upper_bound_search_opENS7_16wrapped_functionINS0_4lessIvEEbEEEE10hipError_tPvRmT1_T2_T3_mmT4_T5_P12ihipStream_tbEUlRKsE_EESO_SS_ST_mSU_SX_bEUlT_E_NS1_11comp_targetILNS1_3genE2ELNS1_11target_archE906ELNS1_3gpuE6ELNS1_3repE0EEENS1_30default_config_static_selectorELNS0_4arch9wavefront6targetE0EEEvSR_,"axG",@progbits,_ZN7rocprim17ROCPRIM_400000_NS6detail17trampoline_kernelINS0_14default_configENS1_27upper_bound_config_selectorIsN6thrust23THRUST_200600_302600_NS6detail10any_assignEEEZNS1_14transform_implILb0ES3_S9_NS7_15normal_iteratorINS6_10device_ptrIsEEEENS6_16discard_iteratorINS6_11use_defaultEEEZNS1_13binary_searchIS3_S9_SE_SE_SH_NS1_21upper_bound_search_opENS7_16wrapped_functionINS0_4lessIvEEbEEEE10hipError_tPvRmT1_T2_T3_mmT4_T5_P12ihipStream_tbEUlRKsE_EESO_SS_ST_mSU_SX_bEUlT_E_NS1_11comp_targetILNS1_3genE2ELNS1_11target_archE906ELNS1_3gpuE6ELNS1_3repE0EEENS1_30default_config_static_selectorELNS0_4arch9wavefront6targetE0EEEvSR_,comdat
	.protected	_ZN7rocprim17ROCPRIM_400000_NS6detail17trampoline_kernelINS0_14default_configENS1_27upper_bound_config_selectorIsN6thrust23THRUST_200600_302600_NS6detail10any_assignEEEZNS1_14transform_implILb0ES3_S9_NS7_15normal_iteratorINS6_10device_ptrIsEEEENS6_16discard_iteratorINS6_11use_defaultEEEZNS1_13binary_searchIS3_S9_SE_SE_SH_NS1_21upper_bound_search_opENS7_16wrapped_functionINS0_4lessIvEEbEEEE10hipError_tPvRmT1_T2_T3_mmT4_T5_P12ihipStream_tbEUlRKsE_EESO_SS_ST_mSU_SX_bEUlT_E_NS1_11comp_targetILNS1_3genE2ELNS1_11target_archE906ELNS1_3gpuE6ELNS1_3repE0EEENS1_30default_config_static_selectorELNS0_4arch9wavefront6targetE0EEEvSR_ ; -- Begin function _ZN7rocprim17ROCPRIM_400000_NS6detail17trampoline_kernelINS0_14default_configENS1_27upper_bound_config_selectorIsN6thrust23THRUST_200600_302600_NS6detail10any_assignEEEZNS1_14transform_implILb0ES3_S9_NS7_15normal_iteratorINS6_10device_ptrIsEEEENS6_16discard_iteratorINS6_11use_defaultEEEZNS1_13binary_searchIS3_S9_SE_SE_SH_NS1_21upper_bound_search_opENS7_16wrapped_functionINS0_4lessIvEEbEEEE10hipError_tPvRmT1_T2_T3_mmT4_T5_P12ihipStream_tbEUlRKsE_EESO_SS_ST_mSU_SX_bEUlT_E_NS1_11comp_targetILNS1_3genE2ELNS1_11target_archE906ELNS1_3gpuE6ELNS1_3repE0EEENS1_30default_config_static_selectorELNS0_4arch9wavefront6targetE0EEEvSR_
	.globl	_ZN7rocprim17ROCPRIM_400000_NS6detail17trampoline_kernelINS0_14default_configENS1_27upper_bound_config_selectorIsN6thrust23THRUST_200600_302600_NS6detail10any_assignEEEZNS1_14transform_implILb0ES3_S9_NS7_15normal_iteratorINS6_10device_ptrIsEEEENS6_16discard_iteratorINS6_11use_defaultEEEZNS1_13binary_searchIS3_S9_SE_SE_SH_NS1_21upper_bound_search_opENS7_16wrapped_functionINS0_4lessIvEEbEEEE10hipError_tPvRmT1_T2_T3_mmT4_T5_P12ihipStream_tbEUlRKsE_EESO_SS_ST_mSU_SX_bEUlT_E_NS1_11comp_targetILNS1_3genE2ELNS1_11target_archE906ELNS1_3gpuE6ELNS1_3repE0EEENS1_30default_config_static_selectorELNS0_4arch9wavefront6targetE0EEEvSR_
	.p2align	8
	.type	_ZN7rocprim17ROCPRIM_400000_NS6detail17trampoline_kernelINS0_14default_configENS1_27upper_bound_config_selectorIsN6thrust23THRUST_200600_302600_NS6detail10any_assignEEEZNS1_14transform_implILb0ES3_S9_NS7_15normal_iteratorINS6_10device_ptrIsEEEENS6_16discard_iteratorINS6_11use_defaultEEEZNS1_13binary_searchIS3_S9_SE_SE_SH_NS1_21upper_bound_search_opENS7_16wrapped_functionINS0_4lessIvEEbEEEE10hipError_tPvRmT1_T2_T3_mmT4_T5_P12ihipStream_tbEUlRKsE_EESO_SS_ST_mSU_SX_bEUlT_E_NS1_11comp_targetILNS1_3genE2ELNS1_11target_archE906ELNS1_3gpuE6ELNS1_3repE0EEENS1_30default_config_static_selectorELNS0_4arch9wavefront6targetE0EEEvSR_,@function
_ZN7rocprim17ROCPRIM_400000_NS6detail17trampoline_kernelINS0_14default_configENS1_27upper_bound_config_selectorIsN6thrust23THRUST_200600_302600_NS6detail10any_assignEEEZNS1_14transform_implILb0ES3_S9_NS7_15normal_iteratorINS6_10device_ptrIsEEEENS6_16discard_iteratorINS6_11use_defaultEEEZNS1_13binary_searchIS3_S9_SE_SE_SH_NS1_21upper_bound_search_opENS7_16wrapped_functionINS0_4lessIvEEbEEEE10hipError_tPvRmT1_T2_T3_mmT4_T5_P12ihipStream_tbEUlRKsE_EESO_SS_ST_mSU_SX_bEUlT_E_NS1_11comp_targetILNS1_3genE2ELNS1_11target_archE906ELNS1_3gpuE6ELNS1_3repE0EEENS1_30default_config_static_selectorELNS0_4arch9wavefront6targetE0EEEvSR_: ; @_ZN7rocprim17ROCPRIM_400000_NS6detail17trampoline_kernelINS0_14default_configENS1_27upper_bound_config_selectorIsN6thrust23THRUST_200600_302600_NS6detail10any_assignEEEZNS1_14transform_implILb0ES3_S9_NS7_15normal_iteratorINS6_10device_ptrIsEEEENS6_16discard_iteratorINS6_11use_defaultEEEZNS1_13binary_searchIS3_S9_SE_SE_SH_NS1_21upper_bound_search_opENS7_16wrapped_functionINS0_4lessIvEEbEEEE10hipError_tPvRmT1_T2_T3_mmT4_T5_P12ihipStream_tbEUlRKsE_EESO_SS_ST_mSU_SX_bEUlT_E_NS1_11comp_targetILNS1_3genE2ELNS1_11target_archE906ELNS1_3gpuE6ELNS1_3repE0EEENS1_30default_config_static_selectorELNS0_4arch9wavefront6targetE0EEEvSR_
; %bb.0:
	.section	.rodata,"a",@progbits
	.p2align	6, 0x0
	.amdhsa_kernel _ZN7rocprim17ROCPRIM_400000_NS6detail17trampoline_kernelINS0_14default_configENS1_27upper_bound_config_selectorIsN6thrust23THRUST_200600_302600_NS6detail10any_assignEEEZNS1_14transform_implILb0ES3_S9_NS7_15normal_iteratorINS6_10device_ptrIsEEEENS6_16discard_iteratorINS6_11use_defaultEEEZNS1_13binary_searchIS3_S9_SE_SE_SH_NS1_21upper_bound_search_opENS7_16wrapped_functionINS0_4lessIvEEbEEEE10hipError_tPvRmT1_T2_T3_mmT4_T5_P12ihipStream_tbEUlRKsE_EESO_SS_ST_mSU_SX_bEUlT_E_NS1_11comp_targetILNS1_3genE2ELNS1_11target_archE906ELNS1_3gpuE6ELNS1_3repE0EEENS1_30default_config_static_selectorELNS0_4arch9wavefront6targetE0EEEvSR_
		.amdhsa_group_segment_fixed_size 0
		.amdhsa_private_segment_fixed_size 0
		.amdhsa_kernarg_size 64
		.amdhsa_user_sgpr_count 15
		.amdhsa_user_sgpr_dispatch_ptr 0
		.amdhsa_user_sgpr_queue_ptr 0
		.amdhsa_user_sgpr_kernarg_segment_ptr 1
		.amdhsa_user_sgpr_dispatch_id 0
		.amdhsa_user_sgpr_private_segment_size 0
		.amdhsa_wavefront_size32 1
		.amdhsa_uses_dynamic_stack 0
		.amdhsa_enable_private_segment 0
		.amdhsa_system_sgpr_workgroup_id_x 1
		.amdhsa_system_sgpr_workgroup_id_y 0
		.amdhsa_system_sgpr_workgroup_id_z 0
		.amdhsa_system_sgpr_workgroup_info 0
		.amdhsa_system_vgpr_workitem_id 0
		.amdhsa_next_free_vgpr 1
		.amdhsa_next_free_sgpr 1
		.amdhsa_reserve_vcc 0
		.amdhsa_float_round_mode_32 0
		.amdhsa_float_round_mode_16_64 0
		.amdhsa_float_denorm_mode_32 3
		.amdhsa_float_denorm_mode_16_64 3
		.amdhsa_dx10_clamp 1
		.amdhsa_ieee_mode 1
		.amdhsa_fp16_overflow 0
		.amdhsa_workgroup_processor_mode 1
		.amdhsa_memory_ordered 1
		.amdhsa_forward_progress 0
		.amdhsa_shared_vgpr_count 0
		.amdhsa_exception_fp_ieee_invalid_op 0
		.amdhsa_exception_fp_denorm_src 0
		.amdhsa_exception_fp_ieee_div_zero 0
		.amdhsa_exception_fp_ieee_overflow 0
		.amdhsa_exception_fp_ieee_underflow 0
		.amdhsa_exception_fp_ieee_inexact 0
		.amdhsa_exception_int_div_zero 0
	.end_amdhsa_kernel
	.section	.text._ZN7rocprim17ROCPRIM_400000_NS6detail17trampoline_kernelINS0_14default_configENS1_27upper_bound_config_selectorIsN6thrust23THRUST_200600_302600_NS6detail10any_assignEEEZNS1_14transform_implILb0ES3_S9_NS7_15normal_iteratorINS6_10device_ptrIsEEEENS6_16discard_iteratorINS6_11use_defaultEEEZNS1_13binary_searchIS3_S9_SE_SE_SH_NS1_21upper_bound_search_opENS7_16wrapped_functionINS0_4lessIvEEbEEEE10hipError_tPvRmT1_T2_T3_mmT4_T5_P12ihipStream_tbEUlRKsE_EESO_SS_ST_mSU_SX_bEUlT_E_NS1_11comp_targetILNS1_3genE2ELNS1_11target_archE906ELNS1_3gpuE6ELNS1_3repE0EEENS1_30default_config_static_selectorELNS0_4arch9wavefront6targetE0EEEvSR_,"axG",@progbits,_ZN7rocprim17ROCPRIM_400000_NS6detail17trampoline_kernelINS0_14default_configENS1_27upper_bound_config_selectorIsN6thrust23THRUST_200600_302600_NS6detail10any_assignEEEZNS1_14transform_implILb0ES3_S9_NS7_15normal_iteratorINS6_10device_ptrIsEEEENS6_16discard_iteratorINS6_11use_defaultEEEZNS1_13binary_searchIS3_S9_SE_SE_SH_NS1_21upper_bound_search_opENS7_16wrapped_functionINS0_4lessIvEEbEEEE10hipError_tPvRmT1_T2_T3_mmT4_T5_P12ihipStream_tbEUlRKsE_EESO_SS_ST_mSU_SX_bEUlT_E_NS1_11comp_targetILNS1_3genE2ELNS1_11target_archE906ELNS1_3gpuE6ELNS1_3repE0EEENS1_30default_config_static_selectorELNS0_4arch9wavefront6targetE0EEEvSR_,comdat
.Lfunc_end595:
	.size	_ZN7rocprim17ROCPRIM_400000_NS6detail17trampoline_kernelINS0_14default_configENS1_27upper_bound_config_selectorIsN6thrust23THRUST_200600_302600_NS6detail10any_assignEEEZNS1_14transform_implILb0ES3_S9_NS7_15normal_iteratorINS6_10device_ptrIsEEEENS6_16discard_iteratorINS6_11use_defaultEEEZNS1_13binary_searchIS3_S9_SE_SE_SH_NS1_21upper_bound_search_opENS7_16wrapped_functionINS0_4lessIvEEbEEEE10hipError_tPvRmT1_T2_T3_mmT4_T5_P12ihipStream_tbEUlRKsE_EESO_SS_ST_mSU_SX_bEUlT_E_NS1_11comp_targetILNS1_3genE2ELNS1_11target_archE906ELNS1_3gpuE6ELNS1_3repE0EEENS1_30default_config_static_selectorELNS0_4arch9wavefront6targetE0EEEvSR_, .Lfunc_end595-_ZN7rocprim17ROCPRIM_400000_NS6detail17trampoline_kernelINS0_14default_configENS1_27upper_bound_config_selectorIsN6thrust23THRUST_200600_302600_NS6detail10any_assignEEEZNS1_14transform_implILb0ES3_S9_NS7_15normal_iteratorINS6_10device_ptrIsEEEENS6_16discard_iteratorINS6_11use_defaultEEEZNS1_13binary_searchIS3_S9_SE_SE_SH_NS1_21upper_bound_search_opENS7_16wrapped_functionINS0_4lessIvEEbEEEE10hipError_tPvRmT1_T2_T3_mmT4_T5_P12ihipStream_tbEUlRKsE_EESO_SS_ST_mSU_SX_bEUlT_E_NS1_11comp_targetILNS1_3genE2ELNS1_11target_archE906ELNS1_3gpuE6ELNS1_3repE0EEENS1_30default_config_static_selectorELNS0_4arch9wavefront6targetE0EEEvSR_
                                        ; -- End function
	.section	.AMDGPU.csdata,"",@progbits
; Kernel info:
; codeLenInByte = 0
; NumSgprs: 0
; NumVgprs: 0
; ScratchSize: 0
; MemoryBound: 0
; FloatMode: 240
; IeeeMode: 1
; LDSByteSize: 0 bytes/workgroup (compile time only)
; SGPRBlocks: 0
; VGPRBlocks: 0
; NumSGPRsForWavesPerEU: 1
; NumVGPRsForWavesPerEU: 1
; Occupancy: 16
; WaveLimiterHint : 0
; COMPUTE_PGM_RSRC2:SCRATCH_EN: 0
; COMPUTE_PGM_RSRC2:USER_SGPR: 15
; COMPUTE_PGM_RSRC2:TRAP_HANDLER: 0
; COMPUTE_PGM_RSRC2:TGID_X_EN: 1
; COMPUTE_PGM_RSRC2:TGID_Y_EN: 0
; COMPUTE_PGM_RSRC2:TGID_Z_EN: 0
; COMPUTE_PGM_RSRC2:TIDIG_COMP_CNT: 0
	.section	.text._ZN7rocprim17ROCPRIM_400000_NS6detail17trampoline_kernelINS0_14default_configENS1_27upper_bound_config_selectorIsN6thrust23THRUST_200600_302600_NS6detail10any_assignEEEZNS1_14transform_implILb0ES3_S9_NS7_15normal_iteratorINS6_10device_ptrIsEEEENS6_16discard_iteratorINS6_11use_defaultEEEZNS1_13binary_searchIS3_S9_SE_SE_SH_NS1_21upper_bound_search_opENS7_16wrapped_functionINS0_4lessIvEEbEEEE10hipError_tPvRmT1_T2_T3_mmT4_T5_P12ihipStream_tbEUlRKsE_EESO_SS_ST_mSU_SX_bEUlT_E_NS1_11comp_targetILNS1_3genE10ELNS1_11target_archE1201ELNS1_3gpuE5ELNS1_3repE0EEENS1_30default_config_static_selectorELNS0_4arch9wavefront6targetE0EEEvSR_,"axG",@progbits,_ZN7rocprim17ROCPRIM_400000_NS6detail17trampoline_kernelINS0_14default_configENS1_27upper_bound_config_selectorIsN6thrust23THRUST_200600_302600_NS6detail10any_assignEEEZNS1_14transform_implILb0ES3_S9_NS7_15normal_iteratorINS6_10device_ptrIsEEEENS6_16discard_iteratorINS6_11use_defaultEEEZNS1_13binary_searchIS3_S9_SE_SE_SH_NS1_21upper_bound_search_opENS7_16wrapped_functionINS0_4lessIvEEbEEEE10hipError_tPvRmT1_T2_T3_mmT4_T5_P12ihipStream_tbEUlRKsE_EESO_SS_ST_mSU_SX_bEUlT_E_NS1_11comp_targetILNS1_3genE10ELNS1_11target_archE1201ELNS1_3gpuE5ELNS1_3repE0EEENS1_30default_config_static_selectorELNS0_4arch9wavefront6targetE0EEEvSR_,comdat
	.protected	_ZN7rocprim17ROCPRIM_400000_NS6detail17trampoline_kernelINS0_14default_configENS1_27upper_bound_config_selectorIsN6thrust23THRUST_200600_302600_NS6detail10any_assignEEEZNS1_14transform_implILb0ES3_S9_NS7_15normal_iteratorINS6_10device_ptrIsEEEENS6_16discard_iteratorINS6_11use_defaultEEEZNS1_13binary_searchIS3_S9_SE_SE_SH_NS1_21upper_bound_search_opENS7_16wrapped_functionINS0_4lessIvEEbEEEE10hipError_tPvRmT1_T2_T3_mmT4_T5_P12ihipStream_tbEUlRKsE_EESO_SS_ST_mSU_SX_bEUlT_E_NS1_11comp_targetILNS1_3genE10ELNS1_11target_archE1201ELNS1_3gpuE5ELNS1_3repE0EEENS1_30default_config_static_selectorELNS0_4arch9wavefront6targetE0EEEvSR_ ; -- Begin function _ZN7rocprim17ROCPRIM_400000_NS6detail17trampoline_kernelINS0_14default_configENS1_27upper_bound_config_selectorIsN6thrust23THRUST_200600_302600_NS6detail10any_assignEEEZNS1_14transform_implILb0ES3_S9_NS7_15normal_iteratorINS6_10device_ptrIsEEEENS6_16discard_iteratorINS6_11use_defaultEEEZNS1_13binary_searchIS3_S9_SE_SE_SH_NS1_21upper_bound_search_opENS7_16wrapped_functionINS0_4lessIvEEbEEEE10hipError_tPvRmT1_T2_T3_mmT4_T5_P12ihipStream_tbEUlRKsE_EESO_SS_ST_mSU_SX_bEUlT_E_NS1_11comp_targetILNS1_3genE10ELNS1_11target_archE1201ELNS1_3gpuE5ELNS1_3repE0EEENS1_30default_config_static_selectorELNS0_4arch9wavefront6targetE0EEEvSR_
	.globl	_ZN7rocprim17ROCPRIM_400000_NS6detail17trampoline_kernelINS0_14default_configENS1_27upper_bound_config_selectorIsN6thrust23THRUST_200600_302600_NS6detail10any_assignEEEZNS1_14transform_implILb0ES3_S9_NS7_15normal_iteratorINS6_10device_ptrIsEEEENS6_16discard_iteratorINS6_11use_defaultEEEZNS1_13binary_searchIS3_S9_SE_SE_SH_NS1_21upper_bound_search_opENS7_16wrapped_functionINS0_4lessIvEEbEEEE10hipError_tPvRmT1_T2_T3_mmT4_T5_P12ihipStream_tbEUlRKsE_EESO_SS_ST_mSU_SX_bEUlT_E_NS1_11comp_targetILNS1_3genE10ELNS1_11target_archE1201ELNS1_3gpuE5ELNS1_3repE0EEENS1_30default_config_static_selectorELNS0_4arch9wavefront6targetE0EEEvSR_
	.p2align	8
	.type	_ZN7rocprim17ROCPRIM_400000_NS6detail17trampoline_kernelINS0_14default_configENS1_27upper_bound_config_selectorIsN6thrust23THRUST_200600_302600_NS6detail10any_assignEEEZNS1_14transform_implILb0ES3_S9_NS7_15normal_iteratorINS6_10device_ptrIsEEEENS6_16discard_iteratorINS6_11use_defaultEEEZNS1_13binary_searchIS3_S9_SE_SE_SH_NS1_21upper_bound_search_opENS7_16wrapped_functionINS0_4lessIvEEbEEEE10hipError_tPvRmT1_T2_T3_mmT4_T5_P12ihipStream_tbEUlRKsE_EESO_SS_ST_mSU_SX_bEUlT_E_NS1_11comp_targetILNS1_3genE10ELNS1_11target_archE1201ELNS1_3gpuE5ELNS1_3repE0EEENS1_30default_config_static_selectorELNS0_4arch9wavefront6targetE0EEEvSR_,@function
_ZN7rocprim17ROCPRIM_400000_NS6detail17trampoline_kernelINS0_14default_configENS1_27upper_bound_config_selectorIsN6thrust23THRUST_200600_302600_NS6detail10any_assignEEEZNS1_14transform_implILb0ES3_S9_NS7_15normal_iteratorINS6_10device_ptrIsEEEENS6_16discard_iteratorINS6_11use_defaultEEEZNS1_13binary_searchIS3_S9_SE_SE_SH_NS1_21upper_bound_search_opENS7_16wrapped_functionINS0_4lessIvEEbEEEE10hipError_tPvRmT1_T2_T3_mmT4_T5_P12ihipStream_tbEUlRKsE_EESO_SS_ST_mSU_SX_bEUlT_E_NS1_11comp_targetILNS1_3genE10ELNS1_11target_archE1201ELNS1_3gpuE5ELNS1_3repE0EEENS1_30default_config_static_selectorELNS0_4arch9wavefront6targetE0EEEvSR_: ; @_ZN7rocprim17ROCPRIM_400000_NS6detail17trampoline_kernelINS0_14default_configENS1_27upper_bound_config_selectorIsN6thrust23THRUST_200600_302600_NS6detail10any_assignEEEZNS1_14transform_implILb0ES3_S9_NS7_15normal_iteratorINS6_10device_ptrIsEEEENS6_16discard_iteratorINS6_11use_defaultEEEZNS1_13binary_searchIS3_S9_SE_SE_SH_NS1_21upper_bound_search_opENS7_16wrapped_functionINS0_4lessIvEEbEEEE10hipError_tPvRmT1_T2_T3_mmT4_T5_P12ihipStream_tbEUlRKsE_EESO_SS_ST_mSU_SX_bEUlT_E_NS1_11comp_targetILNS1_3genE10ELNS1_11target_archE1201ELNS1_3gpuE5ELNS1_3repE0EEENS1_30default_config_static_selectorELNS0_4arch9wavefront6targetE0EEEvSR_
; %bb.0:
	.section	.rodata,"a",@progbits
	.p2align	6, 0x0
	.amdhsa_kernel _ZN7rocprim17ROCPRIM_400000_NS6detail17trampoline_kernelINS0_14default_configENS1_27upper_bound_config_selectorIsN6thrust23THRUST_200600_302600_NS6detail10any_assignEEEZNS1_14transform_implILb0ES3_S9_NS7_15normal_iteratorINS6_10device_ptrIsEEEENS6_16discard_iteratorINS6_11use_defaultEEEZNS1_13binary_searchIS3_S9_SE_SE_SH_NS1_21upper_bound_search_opENS7_16wrapped_functionINS0_4lessIvEEbEEEE10hipError_tPvRmT1_T2_T3_mmT4_T5_P12ihipStream_tbEUlRKsE_EESO_SS_ST_mSU_SX_bEUlT_E_NS1_11comp_targetILNS1_3genE10ELNS1_11target_archE1201ELNS1_3gpuE5ELNS1_3repE0EEENS1_30default_config_static_selectorELNS0_4arch9wavefront6targetE0EEEvSR_
		.amdhsa_group_segment_fixed_size 0
		.amdhsa_private_segment_fixed_size 0
		.amdhsa_kernarg_size 64
		.amdhsa_user_sgpr_count 15
		.amdhsa_user_sgpr_dispatch_ptr 0
		.amdhsa_user_sgpr_queue_ptr 0
		.amdhsa_user_sgpr_kernarg_segment_ptr 1
		.amdhsa_user_sgpr_dispatch_id 0
		.amdhsa_user_sgpr_private_segment_size 0
		.amdhsa_wavefront_size32 1
		.amdhsa_uses_dynamic_stack 0
		.amdhsa_enable_private_segment 0
		.amdhsa_system_sgpr_workgroup_id_x 1
		.amdhsa_system_sgpr_workgroup_id_y 0
		.amdhsa_system_sgpr_workgroup_id_z 0
		.amdhsa_system_sgpr_workgroup_info 0
		.amdhsa_system_vgpr_workitem_id 0
		.amdhsa_next_free_vgpr 1
		.amdhsa_next_free_sgpr 1
		.amdhsa_reserve_vcc 0
		.amdhsa_float_round_mode_32 0
		.amdhsa_float_round_mode_16_64 0
		.amdhsa_float_denorm_mode_32 3
		.amdhsa_float_denorm_mode_16_64 3
		.amdhsa_dx10_clamp 1
		.amdhsa_ieee_mode 1
		.amdhsa_fp16_overflow 0
		.amdhsa_workgroup_processor_mode 1
		.amdhsa_memory_ordered 1
		.amdhsa_forward_progress 0
		.amdhsa_shared_vgpr_count 0
		.amdhsa_exception_fp_ieee_invalid_op 0
		.amdhsa_exception_fp_denorm_src 0
		.amdhsa_exception_fp_ieee_div_zero 0
		.amdhsa_exception_fp_ieee_overflow 0
		.amdhsa_exception_fp_ieee_underflow 0
		.amdhsa_exception_fp_ieee_inexact 0
		.amdhsa_exception_int_div_zero 0
	.end_amdhsa_kernel
	.section	.text._ZN7rocprim17ROCPRIM_400000_NS6detail17trampoline_kernelINS0_14default_configENS1_27upper_bound_config_selectorIsN6thrust23THRUST_200600_302600_NS6detail10any_assignEEEZNS1_14transform_implILb0ES3_S9_NS7_15normal_iteratorINS6_10device_ptrIsEEEENS6_16discard_iteratorINS6_11use_defaultEEEZNS1_13binary_searchIS3_S9_SE_SE_SH_NS1_21upper_bound_search_opENS7_16wrapped_functionINS0_4lessIvEEbEEEE10hipError_tPvRmT1_T2_T3_mmT4_T5_P12ihipStream_tbEUlRKsE_EESO_SS_ST_mSU_SX_bEUlT_E_NS1_11comp_targetILNS1_3genE10ELNS1_11target_archE1201ELNS1_3gpuE5ELNS1_3repE0EEENS1_30default_config_static_selectorELNS0_4arch9wavefront6targetE0EEEvSR_,"axG",@progbits,_ZN7rocprim17ROCPRIM_400000_NS6detail17trampoline_kernelINS0_14default_configENS1_27upper_bound_config_selectorIsN6thrust23THRUST_200600_302600_NS6detail10any_assignEEEZNS1_14transform_implILb0ES3_S9_NS7_15normal_iteratorINS6_10device_ptrIsEEEENS6_16discard_iteratorINS6_11use_defaultEEEZNS1_13binary_searchIS3_S9_SE_SE_SH_NS1_21upper_bound_search_opENS7_16wrapped_functionINS0_4lessIvEEbEEEE10hipError_tPvRmT1_T2_T3_mmT4_T5_P12ihipStream_tbEUlRKsE_EESO_SS_ST_mSU_SX_bEUlT_E_NS1_11comp_targetILNS1_3genE10ELNS1_11target_archE1201ELNS1_3gpuE5ELNS1_3repE0EEENS1_30default_config_static_selectorELNS0_4arch9wavefront6targetE0EEEvSR_,comdat
.Lfunc_end596:
	.size	_ZN7rocprim17ROCPRIM_400000_NS6detail17trampoline_kernelINS0_14default_configENS1_27upper_bound_config_selectorIsN6thrust23THRUST_200600_302600_NS6detail10any_assignEEEZNS1_14transform_implILb0ES3_S9_NS7_15normal_iteratorINS6_10device_ptrIsEEEENS6_16discard_iteratorINS6_11use_defaultEEEZNS1_13binary_searchIS3_S9_SE_SE_SH_NS1_21upper_bound_search_opENS7_16wrapped_functionINS0_4lessIvEEbEEEE10hipError_tPvRmT1_T2_T3_mmT4_T5_P12ihipStream_tbEUlRKsE_EESO_SS_ST_mSU_SX_bEUlT_E_NS1_11comp_targetILNS1_3genE10ELNS1_11target_archE1201ELNS1_3gpuE5ELNS1_3repE0EEENS1_30default_config_static_selectorELNS0_4arch9wavefront6targetE0EEEvSR_, .Lfunc_end596-_ZN7rocprim17ROCPRIM_400000_NS6detail17trampoline_kernelINS0_14default_configENS1_27upper_bound_config_selectorIsN6thrust23THRUST_200600_302600_NS6detail10any_assignEEEZNS1_14transform_implILb0ES3_S9_NS7_15normal_iteratorINS6_10device_ptrIsEEEENS6_16discard_iteratorINS6_11use_defaultEEEZNS1_13binary_searchIS3_S9_SE_SE_SH_NS1_21upper_bound_search_opENS7_16wrapped_functionINS0_4lessIvEEbEEEE10hipError_tPvRmT1_T2_T3_mmT4_T5_P12ihipStream_tbEUlRKsE_EESO_SS_ST_mSU_SX_bEUlT_E_NS1_11comp_targetILNS1_3genE10ELNS1_11target_archE1201ELNS1_3gpuE5ELNS1_3repE0EEENS1_30default_config_static_selectorELNS0_4arch9wavefront6targetE0EEEvSR_
                                        ; -- End function
	.section	.AMDGPU.csdata,"",@progbits
; Kernel info:
; codeLenInByte = 0
; NumSgprs: 0
; NumVgprs: 0
; ScratchSize: 0
; MemoryBound: 0
; FloatMode: 240
; IeeeMode: 1
; LDSByteSize: 0 bytes/workgroup (compile time only)
; SGPRBlocks: 0
; VGPRBlocks: 0
; NumSGPRsForWavesPerEU: 1
; NumVGPRsForWavesPerEU: 1
; Occupancy: 16
; WaveLimiterHint : 0
; COMPUTE_PGM_RSRC2:SCRATCH_EN: 0
; COMPUTE_PGM_RSRC2:USER_SGPR: 15
; COMPUTE_PGM_RSRC2:TRAP_HANDLER: 0
; COMPUTE_PGM_RSRC2:TGID_X_EN: 1
; COMPUTE_PGM_RSRC2:TGID_Y_EN: 0
; COMPUTE_PGM_RSRC2:TGID_Z_EN: 0
; COMPUTE_PGM_RSRC2:TIDIG_COMP_CNT: 0
	.section	.text._ZN7rocprim17ROCPRIM_400000_NS6detail17trampoline_kernelINS0_14default_configENS1_27upper_bound_config_selectorIsN6thrust23THRUST_200600_302600_NS6detail10any_assignEEEZNS1_14transform_implILb0ES3_S9_NS7_15normal_iteratorINS6_10device_ptrIsEEEENS6_16discard_iteratorINS6_11use_defaultEEEZNS1_13binary_searchIS3_S9_SE_SE_SH_NS1_21upper_bound_search_opENS7_16wrapped_functionINS0_4lessIvEEbEEEE10hipError_tPvRmT1_T2_T3_mmT4_T5_P12ihipStream_tbEUlRKsE_EESO_SS_ST_mSU_SX_bEUlT_E_NS1_11comp_targetILNS1_3genE10ELNS1_11target_archE1200ELNS1_3gpuE4ELNS1_3repE0EEENS1_30default_config_static_selectorELNS0_4arch9wavefront6targetE0EEEvSR_,"axG",@progbits,_ZN7rocprim17ROCPRIM_400000_NS6detail17trampoline_kernelINS0_14default_configENS1_27upper_bound_config_selectorIsN6thrust23THRUST_200600_302600_NS6detail10any_assignEEEZNS1_14transform_implILb0ES3_S9_NS7_15normal_iteratorINS6_10device_ptrIsEEEENS6_16discard_iteratorINS6_11use_defaultEEEZNS1_13binary_searchIS3_S9_SE_SE_SH_NS1_21upper_bound_search_opENS7_16wrapped_functionINS0_4lessIvEEbEEEE10hipError_tPvRmT1_T2_T3_mmT4_T5_P12ihipStream_tbEUlRKsE_EESO_SS_ST_mSU_SX_bEUlT_E_NS1_11comp_targetILNS1_3genE10ELNS1_11target_archE1200ELNS1_3gpuE4ELNS1_3repE0EEENS1_30default_config_static_selectorELNS0_4arch9wavefront6targetE0EEEvSR_,comdat
	.protected	_ZN7rocprim17ROCPRIM_400000_NS6detail17trampoline_kernelINS0_14default_configENS1_27upper_bound_config_selectorIsN6thrust23THRUST_200600_302600_NS6detail10any_assignEEEZNS1_14transform_implILb0ES3_S9_NS7_15normal_iteratorINS6_10device_ptrIsEEEENS6_16discard_iteratorINS6_11use_defaultEEEZNS1_13binary_searchIS3_S9_SE_SE_SH_NS1_21upper_bound_search_opENS7_16wrapped_functionINS0_4lessIvEEbEEEE10hipError_tPvRmT1_T2_T3_mmT4_T5_P12ihipStream_tbEUlRKsE_EESO_SS_ST_mSU_SX_bEUlT_E_NS1_11comp_targetILNS1_3genE10ELNS1_11target_archE1200ELNS1_3gpuE4ELNS1_3repE0EEENS1_30default_config_static_selectorELNS0_4arch9wavefront6targetE0EEEvSR_ ; -- Begin function _ZN7rocprim17ROCPRIM_400000_NS6detail17trampoline_kernelINS0_14default_configENS1_27upper_bound_config_selectorIsN6thrust23THRUST_200600_302600_NS6detail10any_assignEEEZNS1_14transform_implILb0ES3_S9_NS7_15normal_iteratorINS6_10device_ptrIsEEEENS6_16discard_iteratorINS6_11use_defaultEEEZNS1_13binary_searchIS3_S9_SE_SE_SH_NS1_21upper_bound_search_opENS7_16wrapped_functionINS0_4lessIvEEbEEEE10hipError_tPvRmT1_T2_T3_mmT4_T5_P12ihipStream_tbEUlRKsE_EESO_SS_ST_mSU_SX_bEUlT_E_NS1_11comp_targetILNS1_3genE10ELNS1_11target_archE1200ELNS1_3gpuE4ELNS1_3repE0EEENS1_30default_config_static_selectorELNS0_4arch9wavefront6targetE0EEEvSR_
	.globl	_ZN7rocprim17ROCPRIM_400000_NS6detail17trampoline_kernelINS0_14default_configENS1_27upper_bound_config_selectorIsN6thrust23THRUST_200600_302600_NS6detail10any_assignEEEZNS1_14transform_implILb0ES3_S9_NS7_15normal_iteratorINS6_10device_ptrIsEEEENS6_16discard_iteratorINS6_11use_defaultEEEZNS1_13binary_searchIS3_S9_SE_SE_SH_NS1_21upper_bound_search_opENS7_16wrapped_functionINS0_4lessIvEEbEEEE10hipError_tPvRmT1_T2_T3_mmT4_T5_P12ihipStream_tbEUlRKsE_EESO_SS_ST_mSU_SX_bEUlT_E_NS1_11comp_targetILNS1_3genE10ELNS1_11target_archE1200ELNS1_3gpuE4ELNS1_3repE0EEENS1_30default_config_static_selectorELNS0_4arch9wavefront6targetE0EEEvSR_
	.p2align	8
	.type	_ZN7rocprim17ROCPRIM_400000_NS6detail17trampoline_kernelINS0_14default_configENS1_27upper_bound_config_selectorIsN6thrust23THRUST_200600_302600_NS6detail10any_assignEEEZNS1_14transform_implILb0ES3_S9_NS7_15normal_iteratorINS6_10device_ptrIsEEEENS6_16discard_iteratorINS6_11use_defaultEEEZNS1_13binary_searchIS3_S9_SE_SE_SH_NS1_21upper_bound_search_opENS7_16wrapped_functionINS0_4lessIvEEbEEEE10hipError_tPvRmT1_T2_T3_mmT4_T5_P12ihipStream_tbEUlRKsE_EESO_SS_ST_mSU_SX_bEUlT_E_NS1_11comp_targetILNS1_3genE10ELNS1_11target_archE1200ELNS1_3gpuE4ELNS1_3repE0EEENS1_30default_config_static_selectorELNS0_4arch9wavefront6targetE0EEEvSR_,@function
_ZN7rocprim17ROCPRIM_400000_NS6detail17trampoline_kernelINS0_14default_configENS1_27upper_bound_config_selectorIsN6thrust23THRUST_200600_302600_NS6detail10any_assignEEEZNS1_14transform_implILb0ES3_S9_NS7_15normal_iteratorINS6_10device_ptrIsEEEENS6_16discard_iteratorINS6_11use_defaultEEEZNS1_13binary_searchIS3_S9_SE_SE_SH_NS1_21upper_bound_search_opENS7_16wrapped_functionINS0_4lessIvEEbEEEE10hipError_tPvRmT1_T2_T3_mmT4_T5_P12ihipStream_tbEUlRKsE_EESO_SS_ST_mSU_SX_bEUlT_E_NS1_11comp_targetILNS1_3genE10ELNS1_11target_archE1200ELNS1_3gpuE4ELNS1_3repE0EEENS1_30default_config_static_selectorELNS0_4arch9wavefront6targetE0EEEvSR_: ; @_ZN7rocprim17ROCPRIM_400000_NS6detail17trampoline_kernelINS0_14default_configENS1_27upper_bound_config_selectorIsN6thrust23THRUST_200600_302600_NS6detail10any_assignEEEZNS1_14transform_implILb0ES3_S9_NS7_15normal_iteratorINS6_10device_ptrIsEEEENS6_16discard_iteratorINS6_11use_defaultEEEZNS1_13binary_searchIS3_S9_SE_SE_SH_NS1_21upper_bound_search_opENS7_16wrapped_functionINS0_4lessIvEEbEEEE10hipError_tPvRmT1_T2_T3_mmT4_T5_P12ihipStream_tbEUlRKsE_EESO_SS_ST_mSU_SX_bEUlT_E_NS1_11comp_targetILNS1_3genE10ELNS1_11target_archE1200ELNS1_3gpuE4ELNS1_3repE0EEENS1_30default_config_static_selectorELNS0_4arch9wavefront6targetE0EEEvSR_
; %bb.0:
	.section	.rodata,"a",@progbits
	.p2align	6, 0x0
	.amdhsa_kernel _ZN7rocprim17ROCPRIM_400000_NS6detail17trampoline_kernelINS0_14default_configENS1_27upper_bound_config_selectorIsN6thrust23THRUST_200600_302600_NS6detail10any_assignEEEZNS1_14transform_implILb0ES3_S9_NS7_15normal_iteratorINS6_10device_ptrIsEEEENS6_16discard_iteratorINS6_11use_defaultEEEZNS1_13binary_searchIS3_S9_SE_SE_SH_NS1_21upper_bound_search_opENS7_16wrapped_functionINS0_4lessIvEEbEEEE10hipError_tPvRmT1_T2_T3_mmT4_T5_P12ihipStream_tbEUlRKsE_EESO_SS_ST_mSU_SX_bEUlT_E_NS1_11comp_targetILNS1_3genE10ELNS1_11target_archE1200ELNS1_3gpuE4ELNS1_3repE0EEENS1_30default_config_static_selectorELNS0_4arch9wavefront6targetE0EEEvSR_
		.amdhsa_group_segment_fixed_size 0
		.amdhsa_private_segment_fixed_size 0
		.amdhsa_kernarg_size 64
		.amdhsa_user_sgpr_count 15
		.amdhsa_user_sgpr_dispatch_ptr 0
		.amdhsa_user_sgpr_queue_ptr 0
		.amdhsa_user_sgpr_kernarg_segment_ptr 1
		.amdhsa_user_sgpr_dispatch_id 0
		.amdhsa_user_sgpr_private_segment_size 0
		.amdhsa_wavefront_size32 1
		.amdhsa_uses_dynamic_stack 0
		.amdhsa_enable_private_segment 0
		.amdhsa_system_sgpr_workgroup_id_x 1
		.amdhsa_system_sgpr_workgroup_id_y 0
		.amdhsa_system_sgpr_workgroup_id_z 0
		.amdhsa_system_sgpr_workgroup_info 0
		.amdhsa_system_vgpr_workitem_id 0
		.amdhsa_next_free_vgpr 1
		.amdhsa_next_free_sgpr 1
		.amdhsa_reserve_vcc 0
		.amdhsa_float_round_mode_32 0
		.amdhsa_float_round_mode_16_64 0
		.amdhsa_float_denorm_mode_32 3
		.amdhsa_float_denorm_mode_16_64 3
		.amdhsa_dx10_clamp 1
		.amdhsa_ieee_mode 1
		.amdhsa_fp16_overflow 0
		.amdhsa_workgroup_processor_mode 1
		.amdhsa_memory_ordered 1
		.amdhsa_forward_progress 0
		.amdhsa_shared_vgpr_count 0
		.amdhsa_exception_fp_ieee_invalid_op 0
		.amdhsa_exception_fp_denorm_src 0
		.amdhsa_exception_fp_ieee_div_zero 0
		.amdhsa_exception_fp_ieee_overflow 0
		.amdhsa_exception_fp_ieee_underflow 0
		.amdhsa_exception_fp_ieee_inexact 0
		.amdhsa_exception_int_div_zero 0
	.end_amdhsa_kernel
	.section	.text._ZN7rocprim17ROCPRIM_400000_NS6detail17trampoline_kernelINS0_14default_configENS1_27upper_bound_config_selectorIsN6thrust23THRUST_200600_302600_NS6detail10any_assignEEEZNS1_14transform_implILb0ES3_S9_NS7_15normal_iteratorINS6_10device_ptrIsEEEENS6_16discard_iteratorINS6_11use_defaultEEEZNS1_13binary_searchIS3_S9_SE_SE_SH_NS1_21upper_bound_search_opENS7_16wrapped_functionINS0_4lessIvEEbEEEE10hipError_tPvRmT1_T2_T3_mmT4_T5_P12ihipStream_tbEUlRKsE_EESO_SS_ST_mSU_SX_bEUlT_E_NS1_11comp_targetILNS1_3genE10ELNS1_11target_archE1200ELNS1_3gpuE4ELNS1_3repE0EEENS1_30default_config_static_selectorELNS0_4arch9wavefront6targetE0EEEvSR_,"axG",@progbits,_ZN7rocprim17ROCPRIM_400000_NS6detail17trampoline_kernelINS0_14default_configENS1_27upper_bound_config_selectorIsN6thrust23THRUST_200600_302600_NS6detail10any_assignEEEZNS1_14transform_implILb0ES3_S9_NS7_15normal_iteratorINS6_10device_ptrIsEEEENS6_16discard_iteratorINS6_11use_defaultEEEZNS1_13binary_searchIS3_S9_SE_SE_SH_NS1_21upper_bound_search_opENS7_16wrapped_functionINS0_4lessIvEEbEEEE10hipError_tPvRmT1_T2_T3_mmT4_T5_P12ihipStream_tbEUlRKsE_EESO_SS_ST_mSU_SX_bEUlT_E_NS1_11comp_targetILNS1_3genE10ELNS1_11target_archE1200ELNS1_3gpuE4ELNS1_3repE0EEENS1_30default_config_static_selectorELNS0_4arch9wavefront6targetE0EEEvSR_,comdat
.Lfunc_end597:
	.size	_ZN7rocprim17ROCPRIM_400000_NS6detail17trampoline_kernelINS0_14default_configENS1_27upper_bound_config_selectorIsN6thrust23THRUST_200600_302600_NS6detail10any_assignEEEZNS1_14transform_implILb0ES3_S9_NS7_15normal_iteratorINS6_10device_ptrIsEEEENS6_16discard_iteratorINS6_11use_defaultEEEZNS1_13binary_searchIS3_S9_SE_SE_SH_NS1_21upper_bound_search_opENS7_16wrapped_functionINS0_4lessIvEEbEEEE10hipError_tPvRmT1_T2_T3_mmT4_T5_P12ihipStream_tbEUlRKsE_EESO_SS_ST_mSU_SX_bEUlT_E_NS1_11comp_targetILNS1_3genE10ELNS1_11target_archE1200ELNS1_3gpuE4ELNS1_3repE0EEENS1_30default_config_static_selectorELNS0_4arch9wavefront6targetE0EEEvSR_, .Lfunc_end597-_ZN7rocprim17ROCPRIM_400000_NS6detail17trampoline_kernelINS0_14default_configENS1_27upper_bound_config_selectorIsN6thrust23THRUST_200600_302600_NS6detail10any_assignEEEZNS1_14transform_implILb0ES3_S9_NS7_15normal_iteratorINS6_10device_ptrIsEEEENS6_16discard_iteratorINS6_11use_defaultEEEZNS1_13binary_searchIS3_S9_SE_SE_SH_NS1_21upper_bound_search_opENS7_16wrapped_functionINS0_4lessIvEEbEEEE10hipError_tPvRmT1_T2_T3_mmT4_T5_P12ihipStream_tbEUlRKsE_EESO_SS_ST_mSU_SX_bEUlT_E_NS1_11comp_targetILNS1_3genE10ELNS1_11target_archE1200ELNS1_3gpuE4ELNS1_3repE0EEENS1_30default_config_static_selectorELNS0_4arch9wavefront6targetE0EEEvSR_
                                        ; -- End function
	.section	.AMDGPU.csdata,"",@progbits
; Kernel info:
; codeLenInByte = 0
; NumSgprs: 0
; NumVgprs: 0
; ScratchSize: 0
; MemoryBound: 0
; FloatMode: 240
; IeeeMode: 1
; LDSByteSize: 0 bytes/workgroup (compile time only)
; SGPRBlocks: 0
; VGPRBlocks: 0
; NumSGPRsForWavesPerEU: 1
; NumVGPRsForWavesPerEU: 1
; Occupancy: 16
; WaveLimiterHint : 0
; COMPUTE_PGM_RSRC2:SCRATCH_EN: 0
; COMPUTE_PGM_RSRC2:USER_SGPR: 15
; COMPUTE_PGM_RSRC2:TRAP_HANDLER: 0
; COMPUTE_PGM_RSRC2:TGID_X_EN: 1
; COMPUTE_PGM_RSRC2:TGID_Y_EN: 0
; COMPUTE_PGM_RSRC2:TGID_Z_EN: 0
; COMPUTE_PGM_RSRC2:TIDIG_COMP_CNT: 0
	.section	.text._ZN7rocprim17ROCPRIM_400000_NS6detail17trampoline_kernelINS0_14default_configENS1_27upper_bound_config_selectorIsN6thrust23THRUST_200600_302600_NS6detail10any_assignEEEZNS1_14transform_implILb0ES3_S9_NS7_15normal_iteratorINS6_10device_ptrIsEEEENS6_16discard_iteratorINS6_11use_defaultEEEZNS1_13binary_searchIS3_S9_SE_SE_SH_NS1_21upper_bound_search_opENS7_16wrapped_functionINS0_4lessIvEEbEEEE10hipError_tPvRmT1_T2_T3_mmT4_T5_P12ihipStream_tbEUlRKsE_EESO_SS_ST_mSU_SX_bEUlT_E_NS1_11comp_targetILNS1_3genE9ELNS1_11target_archE1100ELNS1_3gpuE3ELNS1_3repE0EEENS1_30default_config_static_selectorELNS0_4arch9wavefront6targetE0EEEvSR_,"axG",@progbits,_ZN7rocprim17ROCPRIM_400000_NS6detail17trampoline_kernelINS0_14default_configENS1_27upper_bound_config_selectorIsN6thrust23THRUST_200600_302600_NS6detail10any_assignEEEZNS1_14transform_implILb0ES3_S9_NS7_15normal_iteratorINS6_10device_ptrIsEEEENS6_16discard_iteratorINS6_11use_defaultEEEZNS1_13binary_searchIS3_S9_SE_SE_SH_NS1_21upper_bound_search_opENS7_16wrapped_functionINS0_4lessIvEEbEEEE10hipError_tPvRmT1_T2_T3_mmT4_T5_P12ihipStream_tbEUlRKsE_EESO_SS_ST_mSU_SX_bEUlT_E_NS1_11comp_targetILNS1_3genE9ELNS1_11target_archE1100ELNS1_3gpuE3ELNS1_3repE0EEENS1_30default_config_static_selectorELNS0_4arch9wavefront6targetE0EEEvSR_,comdat
	.protected	_ZN7rocprim17ROCPRIM_400000_NS6detail17trampoline_kernelINS0_14default_configENS1_27upper_bound_config_selectorIsN6thrust23THRUST_200600_302600_NS6detail10any_assignEEEZNS1_14transform_implILb0ES3_S9_NS7_15normal_iteratorINS6_10device_ptrIsEEEENS6_16discard_iteratorINS6_11use_defaultEEEZNS1_13binary_searchIS3_S9_SE_SE_SH_NS1_21upper_bound_search_opENS7_16wrapped_functionINS0_4lessIvEEbEEEE10hipError_tPvRmT1_T2_T3_mmT4_T5_P12ihipStream_tbEUlRKsE_EESO_SS_ST_mSU_SX_bEUlT_E_NS1_11comp_targetILNS1_3genE9ELNS1_11target_archE1100ELNS1_3gpuE3ELNS1_3repE0EEENS1_30default_config_static_selectorELNS0_4arch9wavefront6targetE0EEEvSR_ ; -- Begin function _ZN7rocprim17ROCPRIM_400000_NS6detail17trampoline_kernelINS0_14default_configENS1_27upper_bound_config_selectorIsN6thrust23THRUST_200600_302600_NS6detail10any_assignEEEZNS1_14transform_implILb0ES3_S9_NS7_15normal_iteratorINS6_10device_ptrIsEEEENS6_16discard_iteratorINS6_11use_defaultEEEZNS1_13binary_searchIS3_S9_SE_SE_SH_NS1_21upper_bound_search_opENS7_16wrapped_functionINS0_4lessIvEEbEEEE10hipError_tPvRmT1_T2_T3_mmT4_T5_P12ihipStream_tbEUlRKsE_EESO_SS_ST_mSU_SX_bEUlT_E_NS1_11comp_targetILNS1_3genE9ELNS1_11target_archE1100ELNS1_3gpuE3ELNS1_3repE0EEENS1_30default_config_static_selectorELNS0_4arch9wavefront6targetE0EEEvSR_
	.globl	_ZN7rocprim17ROCPRIM_400000_NS6detail17trampoline_kernelINS0_14default_configENS1_27upper_bound_config_selectorIsN6thrust23THRUST_200600_302600_NS6detail10any_assignEEEZNS1_14transform_implILb0ES3_S9_NS7_15normal_iteratorINS6_10device_ptrIsEEEENS6_16discard_iteratorINS6_11use_defaultEEEZNS1_13binary_searchIS3_S9_SE_SE_SH_NS1_21upper_bound_search_opENS7_16wrapped_functionINS0_4lessIvEEbEEEE10hipError_tPvRmT1_T2_T3_mmT4_T5_P12ihipStream_tbEUlRKsE_EESO_SS_ST_mSU_SX_bEUlT_E_NS1_11comp_targetILNS1_3genE9ELNS1_11target_archE1100ELNS1_3gpuE3ELNS1_3repE0EEENS1_30default_config_static_selectorELNS0_4arch9wavefront6targetE0EEEvSR_
	.p2align	8
	.type	_ZN7rocprim17ROCPRIM_400000_NS6detail17trampoline_kernelINS0_14default_configENS1_27upper_bound_config_selectorIsN6thrust23THRUST_200600_302600_NS6detail10any_assignEEEZNS1_14transform_implILb0ES3_S9_NS7_15normal_iteratorINS6_10device_ptrIsEEEENS6_16discard_iteratorINS6_11use_defaultEEEZNS1_13binary_searchIS3_S9_SE_SE_SH_NS1_21upper_bound_search_opENS7_16wrapped_functionINS0_4lessIvEEbEEEE10hipError_tPvRmT1_T2_T3_mmT4_T5_P12ihipStream_tbEUlRKsE_EESO_SS_ST_mSU_SX_bEUlT_E_NS1_11comp_targetILNS1_3genE9ELNS1_11target_archE1100ELNS1_3gpuE3ELNS1_3repE0EEENS1_30default_config_static_selectorELNS0_4arch9wavefront6targetE0EEEvSR_,@function
_ZN7rocprim17ROCPRIM_400000_NS6detail17trampoline_kernelINS0_14default_configENS1_27upper_bound_config_selectorIsN6thrust23THRUST_200600_302600_NS6detail10any_assignEEEZNS1_14transform_implILb0ES3_S9_NS7_15normal_iteratorINS6_10device_ptrIsEEEENS6_16discard_iteratorINS6_11use_defaultEEEZNS1_13binary_searchIS3_S9_SE_SE_SH_NS1_21upper_bound_search_opENS7_16wrapped_functionINS0_4lessIvEEbEEEE10hipError_tPvRmT1_T2_T3_mmT4_T5_P12ihipStream_tbEUlRKsE_EESO_SS_ST_mSU_SX_bEUlT_E_NS1_11comp_targetILNS1_3genE9ELNS1_11target_archE1100ELNS1_3gpuE3ELNS1_3repE0EEENS1_30default_config_static_selectorELNS0_4arch9wavefront6targetE0EEEvSR_: ; @_ZN7rocprim17ROCPRIM_400000_NS6detail17trampoline_kernelINS0_14default_configENS1_27upper_bound_config_selectorIsN6thrust23THRUST_200600_302600_NS6detail10any_assignEEEZNS1_14transform_implILb0ES3_S9_NS7_15normal_iteratorINS6_10device_ptrIsEEEENS6_16discard_iteratorINS6_11use_defaultEEEZNS1_13binary_searchIS3_S9_SE_SE_SH_NS1_21upper_bound_search_opENS7_16wrapped_functionINS0_4lessIvEEbEEEE10hipError_tPvRmT1_T2_T3_mmT4_T5_P12ihipStream_tbEUlRKsE_EESO_SS_ST_mSU_SX_bEUlT_E_NS1_11comp_targetILNS1_3genE9ELNS1_11target_archE1100ELNS1_3gpuE3ELNS1_3repE0EEENS1_30default_config_static_selectorELNS0_4arch9wavefront6targetE0EEEvSR_
; %bb.0:
	s_endpgm
	.section	.rodata,"a",@progbits
	.p2align	6, 0x0
	.amdhsa_kernel _ZN7rocprim17ROCPRIM_400000_NS6detail17trampoline_kernelINS0_14default_configENS1_27upper_bound_config_selectorIsN6thrust23THRUST_200600_302600_NS6detail10any_assignEEEZNS1_14transform_implILb0ES3_S9_NS7_15normal_iteratorINS6_10device_ptrIsEEEENS6_16discard_iteratorINS6_11use_defaultEEEZNS1_13binary_searchIS3_S9_SE_SE_SH_NS1_21upper_bound_search_opENS7_16wrapped_functionINS0_4lessIvEEbEEEE10hipError_tPvRmT1_T2_T3_mmT4_T5_P12ihipStream_tbEUlRKsE_EESO_SS_ST_mSU_SX_bEUlT_E_NS1_11comp_targetILNS1_3genE9ELNS1_11target_archE1100ELNS1_3gpuE3ELNS1_3repE0EEENS1_30default_config_static_selectorELNS0_4arch9wavefront6targetE0EEEvSR_
		.amdhsa_group_segment_fixed_size 0
		.amdhsa_private_segment_fixed_size 0
		.amdhsa_kernarg_size 64
		.amdhsa_user_sgpr_count 15
		.amdhsa_user_sgpr_dispatch_ptr 0
		.amdhsa_user_sgpr_queue_ptr 0
		.amdhsa_user_sgpr_kernarg_segment_ptr 1
		.amdhsa_user_sgpr_dispatch_id 0
		.amdhsa_user_sgpr_private_segment_size 0
		.amdhsa_wavefront_size32 1
		.amdhsa_uses_dynamic_stack 0
		.amdhsa_enable_private_segment 0
		.amdhsa_system_sgpr_workgroup_id_x 1
		.amdhsa_system_sgpr_workgroup_id_y 0
		.amdhsa_system_sgpr_workgroup_id_z 0
		.amdhsa_system_sgpr_workgroup_info 0
		.amdhsa_system_vgpr_workitem_id 0
		.amdhsa_next_free_vgpr 1
		.amdhsa_next_free_sgpr 1
		.amdhsa_reserve_vcc 0
		.amdhsa_float_round_mode_32 0
		.amdhsa_float_round_mode_16_64 0
		.amdhsa_float_denorm_mode_32 3
		.amdhsa_float_denorm_mode_16_64 3
		.amdhsa_dx10_clamp 1
		.amdhsa_ieee_mode 1
		.amdhsa_fp16_overflow 0
		.amdhsa_workgroup_processor_mode 1
		.amdhsa_memory_ordered 1
		.amdhsa_forward_progress 0
		.amdhsa_shared_vgpr_count 0
		.amdhsa_exception_fp_ieee_invalid_op 0
		.amdhsa_exception_fp_denorm_src 0
		.amdhsa_exception_fp_ieee_div_zero 0
		.amdhsa_exception_fp_ieee_overflow 0
		.amdhsa_exception_fp_ieee_underflow 0
		.amdhsa_exception_fp_ieee_inexact 0
		.amdhsa_exception_int_div_zero 0
	.end_amdhsa_kernel
	.section	.text._ZN7rocprim17ROCPRIM_400000_NS6detail17trampoline_kernelINS0_14default_configENS1_27upper_bound_config_selectorIsN6thrust23THRUST_200600_302600_NS6detail10any_assignEEEZNS1_14transform_implILb0ES3_S9_NS7_15normal_iteratorINS6_10device_ptrIsEEEENS6_16discard_iteratorINS6_11use_defaultEEEZNS1_13binary_searchIS3_S9_SE_SE_SH_NS1_21upper_bound_search_opENS7_16wrapped_functionINS0_4lessIvEEbEEEE10hipError_tPvRmT1_T2_T3_mmT4_T5_P12ihipStream_tbEUlRKsE_EESO_SS_ST_mSU_SX_bEUlT_E_NS1_11comp_targetILNS1_3genE9ELNS1_11target_archE1100ELNS1_3gpuE3ELNS1_3repE0EEENS1_30default_config_static_selectorELNS0_4arch9wavefront6targetE0EEEvSR_,"axG",@progbits,_ZN7rocprim17ROCPRIM_400000_NS6detail17trampoline_kernelINS0_14default_configENS1_27upper_bound_config_selectorIsN6thrust23THRUST_200600_302600_NS6detail10any_assignEEEZNS1_14transform_implILb0ES3_S9_NS7_15normal_iteratorINS6_10device_ptrIsEEEENS6_16discard_iteratorINS6_11use_defaultEEEZNS1_13binary_searchIS3_S9_SE_SE_SH_NS1_21upper_bound_search_opENS7_16wrapped_functionINS0_4lessIvEEbEEEE10hipError_tPvRmT1_T2_T3_mmT4_T5_P12ihipStream_tbEUlRKsE_EESO_SS_ST_mSU_SX_bEUlT_E_NS1_11comp_targetILNS1_3genE9ELNS1_11target_archE1100ELNS1_3gpuE3ELNS1_3repE0EEENS1_30default_config_static_selectorELNS0_4arch9wavefront6targetE0EEEvSR_,comdat
.Lfunc_end598:
	.size	_ZN7rocprim17ROCPRIM_400000_NS6detail17trampoline_kernelINS0_14default_configENS1_27upper_bound_config_selectorIsN6thrust23THRUST_200600_302600_NS6detail10any_assignEEEZNS1_14transform_implILb0ES3_S9_NS7_15normal_iteratorINS6_10device_ptrIsEEEENS6_16discard_iteratorINS6_11use_defaultEEEZNS1_13binary_searchIS3_S9_SE_SE_SH_NS1_21upper_bound_search_opENS7_16wrapped_functionINS0_4lessIvEEbEEEE10hipError_tPvRmT1_T2_T3_mmT4_T5_P12ihipStream_tbEUlRKsE_EESO_SS_ST_mSU_SX_bEUlT_E_NS1_11comp_targetILNS1_3genE9ELNS1_11target_archE1100ELNS1_3gpuE3ELNS1_3repE0EEENS1_30default_config_static_selectorELNS0_4arch9wavefront6targetE0EEEvSR_, .Lfunc_end598-_ZN7rocprim17ROCPRIM_400000_NS6detail17trampoline_kernelINS0_14default_configENS1_27upper_bound_config_selectorIsN6thrust23THRUST_200600_302600_NS6detail10any_assignEEEZNS1_14transform_implILb0ES3_S9_NS7_15normal_iteratorINS6_10device_ptrIsEEEENS6_16discard_iteratorINS6_11use_defaultEEEZNS1_13binary_searchIS3_S9_SE_SE_SH_NS1_21upper_bound_search_opENS7_16wrapped_functionINS0_4lessIvEEbEEEE10hipError_tPvRmT1_T2_T3_mmT4_T5_P12ihipStream_tbEUlRKsE_EESO_SS_ST_mSU_SX_bEUlT_E_NS1_11comp_targetILNS1_3genE9ELNS1_11target_archE1100ELNS1_3gpuE3ELNS1_3repE0EEENS1_30default_config_static_selectorELNS0_4arch9wavefront6targetE0EEEvSR_
                                        ; -- End function
	.section	.AMDGPU.csdata,"",@progbits
; Kernel info:
; codeLenInByte = 4
; NumSgprs: 0
; NumVgprs: 0
; ScratchSize: 0
; MemoryBound: 0
; FloatMode: 240
; IeeeMode: 1
; LDSByteSize: 0 bytes/workgroup (compile time only)
; SGPRBlocks: 0
; VGPRBlocks: 0
; NumSGPRsForWavesPerEU: 1
; NumVGPRsForWavesPerEU: 1
; Occupancy: 16
; WaveLimiterHint : 0
; COMPUTE_PGM_RSRC2:SCRATCH_EN: 0
; COMPUTE_PGM_RSRC2:USER_SGPR: 15
; COMPUTE_PGM_RSRC2:TRAP_HANDLER: 0
; COMPUTE_PGM_RSRC2:TGID_X_EN: 1
; COMPUTE_PGM_RSRC2:TGID_Y_EN: 0
; COMPUTE_PGM_RSRC2:TGID_Z_EN: 0
; COMPUTE_PGM_RSRC2:TIDIG_COMP_CNT: 0
	.section	.text._ZN7rocprim17ROCPRIM_400000_NS6detail17trampoline_kernelINS0_14default_configENS1_27upper_bound_config_selectorIsN6thrust23THRUST_200600_302600_NS6detail10any_assignEEEZNS1_14transform_implILb0ES3_S9_NS7_15normal_iteratorINS6_10device_ptrIsEEEENS6_16discard_iteratorINS6_11use_defaultEEEZNS1_13binary_searchIS3_S9_SE_SE_SH_NS1_21upper_bound_search_opENS7_16wrapped_functionINS0_4lessIvEEbEEEE10hipError_tPvRmT1_T2_T3_mmT4_T5_P12ihipStream_tbEUlRKsE_EESO_SS_ST_mSU_SX_bEUlT_E_NS1_11comp_targetILNS1_3genE8ELNS1_11target_archE1030ELNS1_3gpuE2ELNS1_3repE0EEENS1_30default_config_static_selectorELNS0_4arch9wavefront6targetE0EEEvSR_,"axG",@progbits,_ZN7rocprim17ROCPRIM_400000_NS6detail17trampoline_kernelINS0_14default_configENS1_27upper_bound_config_selectorIsN6thrust23THRUST_200600_302600_NS6detail10any_assignEEEZNS1_14transform_implILb0ES3_S9_NS7_15normal_iteratorINS6_10device_ptrIsEEEENS6_16discard_iteratorINS6_11use_defaultEEEZNS1_13binary_searchIS3_S9_SE_SE_SH_NS1_21upper_bound_search_opENS7_16wrapped_functionINS0_4lessIvEEbEEEE10hipError_tPvRmT1_T2_T3_mmT4_T5_P12ihipStream_tbEUlRKsE_EESO_SS_ST_mSU_SX_bEUlT_E_NS1_11comp_targetILNS1_3genE8ELNS1_11target_archE1030ELNS1_3gpuE2ELNS1_3repE0EEENS1_30default_config_static_selectorELNS0_4arch9wavefront6targetE0EEEvSR_,comdat
	.protected	_ZN7rocprim17ROCPRIM_400000_NS6detail17trampoline_kernelINS0_14default_configENS1_27upper_bound_config_selectorIsN6thrust23THRUST_200600_302600_NS6detail10any_assignEEEZNS1_14transform_implILb0ES3_S9_NS7_15normal_iteratorINS6_10device_ptrIsEEEENS6_16discard_iteratorINS6_11use_defaultEEEZNS1_13binary_searchIS3_S9_SE_SE_SH_NS1_21upper_bound_search_opENS7_16wrapped_functionINS0_4lessIvEEbEEEE10hipError_tPvRmT1_T2_T3_mmT4_T5_P12ihipStream_tbEUlRKsE_EESO_SS_ST_mSU_SX_bEUlT_E_NS1_11comp_targetILNS1_3genE8ELNS1_11target_archE1030ELNS1_3gpuE2ELNS1_3repE0EEENS1_30default_config_static_selectorELNS0_4arch9wavefront6targetE0EEEvSR_ ; -- Begin function _ZN7rocprim17ROCPRIM_400000_NS6detail17trampoline_kernelINS0_14default_configENS1_27upper_bound_config_selectorIsN6thrust23THRUST_200600_302600_NS6detail10any_assignEEEZNS1_14transform_implILb0ES3_S9_NS7_15normal_iteratorINS6_10device_ptrIsEEEENS6_16discard_iteratorINS6_11use_defaultEEEZNS1_13binary_searchIS3_S9_SE_SE_SH_NS1_21upper_bound_search_opENS7_16wrapped_functionINS0_4lessIvEEbEEEE10hipError_tPvRmT1_T2_T3_mmT4_T5_P12ihipStream_tbEUlRKsE_EESO_SS_ST_mSU_SX_bEUlT_E_NS1_11comp_targetILNS1_3genE8ELNS1_11target_archE1030ELNS1_3gpuE2ELNS1_3repE0EEENS1_30default_config_static_selectorELNS0_4arch9wavefront6targetE0EEEvSR_
	.globl	_ZN7rocprim17ROCPRIM_400000_NS6detail17trampoline_kernelINS0_14default_configENS1_27upper_bound_config_selectorIsN6thrust23THRUST_200600_302600_NS6detail10any_assignEEEZNS1_14transform_implILb0ES3_S9_NS7_15normal_iteratorINS6_10device_ptrIsEEEENS6_16discard_iteratorINS6_11use_defaultEEEZNS1_13binary_searchIS3_S9_SE_SE_SH_NS1_21upper_bound_search_opENS7_16wrapped_functionINS0_4lessIvEEbEEEE10hipError_tPvRmT1_T2_T3_mmT4_T5_P12ihipStream_tbEUlRKsE_EESO_SS_ST_mSU_SX_bEUlT_E_NS1_11comp_targetILNS1_3genE8ELNS1_11target_archE1030ELNS1_3gpuE2ELNS1_3repE0EEENS1_30default_config_static_selectorELNS0_4arch9wavefront6targetE0EEEvSR_
	.p2align	8
	.type	_ZN7rocprim17ROCPRIM_400000_NS6detail17trampoline_kernelINS0_14default_configENS1_27upper_bound_config_selectorIsN6thrust23THRUST_200600_302600_NS6detail10any_assignEEEZNS1_14transform_implILb0ES3_S9_NS7_15normal_iteratorINS6_10device_ptrIsEEEENS6_16discard_iteratorINS6_11use_defaultEEEZNS1_13binary_searchIS3_S9_SE_SE_SH_NS1_21upper_bound_search_opENS7_16wrapped_functionINS0_4lessIvEEbEEEE10hipError_tPvRmT1_T2_T3_mmT4_T5_P12ihipStream_tbEUlRKsE_EESO_SS_ST_mSU_SX_bEUlT_E_NS1_11comp_targetILNS1_3genE8ELNS1_11target_archE1030ELNS1_3gpuE2ELNS1_3repE0EEENS1_30default_config_static_selectorELNS0_4arch9wavefront6targetE0EEEvSR_,@function
_ZN7rocprim17ROCPRIM_400000_NS6detail17trampoline_kernelINS0_14default_configENS1_27upper_bound_config_selectorIsN6thrust23THRUST_200600_302600_NS6detail10any_assignEEEZNS1_14transform_implILb0ES3_S9_NS7_15normal_iteratorINS6_10device_ptrIsEEEENS6_16discard_iteratorINS6_11use_defaultEEEZNS1_13binary_searchIS3_S9_SE_SE_SH_NS1_21upper_bound_search_opENS7_16wrapped_functionINS0_4lessIvEEbEEEE10hipError_tPvRmT1_T2_T3_mmT4_T5_P12ihipStream_tbEUlRKsE_EESO_SS_ST_mSU_SX_bEUlT_E_NS1_11comp_targetILNS1_3genE8ELNS1_11target_archE1030ELNS1_3gpuE2ELNS1_3repE0EEENS1_30default_config_static_selectorELNS0_4arch9wavefront6targetE0EEEvSR_: ; @_ZN7rocprim17ROCPRIM_400000_NS6detail17trampoline_kernelINS0_14default_configENS1_27upper_bound_config_selectorIsN6thrust23THRUST_200600_302600_NS6detail10any_assignEEEZNS1_14transform_implILb0ES3_S9_NS7_15normal_iteratorINS6_10device_ptrIsEEEENS6_16discard_iteratorINS6_11use_defaultEEEZNS1_13binary_searchIS3_S9_SE_SE_SH_NS1_21upper_bound_search_opENS7_16wrapped_functionINS0_4lessIvEEbEEEE10hipError_tPvRmT1_T2_T3_mmT4_T5_P12ihipStream_tbEUlRKsE_EESO_SS_ST_mSU_SX_bEUlT_E_NS1_11comp_targetILNS1_3genE8ELNS1_11target_archE1030ELNS1_3gpuE2ELNS1_3repE0EEENS1_30default_config_static_selectorELNS0_4arch9wavefront6targetE0EEEvSR_
; %bb.0:
	.section	.rodata,"a",@progbits
	.p2align	6, 0x0
	.amdhsa_kernel _ZN7rocprim17ROCPRIM_400000_NS6detail17trampoline_kernelINS0_14default_configENS1_27upper_bound_config_selectorIsN6thrust23THRUST_200600_302600_NS6detail10any_assignEEEZNS1_14transform_implILb0ES3_S9_NS7_15normal_iteratorINS6_10device_ptrIsEEEENS6_16discard_iteratorINS6_11use_defaultEEEZNS1_13binary_searchIS3_S9_SE_SE_SH_NS1_21upper_bound_search_opENS7_16wrapped_functionINS0_4lessIvEEbEEEE10hipError_tPvRmT1_T2_T3_mmT4_T5_P12ihipStream_tbEUlRKsE_EESO_SS_ST_mSU_SX_bEUlT_E_NS1_11comp_targetILNS1_3genE8ELNS1_11target_archE1030ELNS1_3gpuE2ELNS1_3repE0EEENS1_30default_config_static_selectorELNS0_4arch9wavefront6targetE0EEEvSR_
		.amdhsa_group_segment_fixed_size 0
		.amdhsa_private_segment_fixed_size 0
		.amdhsa_kernarg_size 64
		.amdhsa_user_sgpr_count 15
		.amdhsa_user_sgpr_dispatch_ptr 0
		.amdhsa_user_sgpr_queue_ptr 0
		.amdhsa_user_sgpr_kernarg_segment_ptr 1
		.amdhsa_user_sgpr_dispatch_id 0
		.amdhsa_user_sgpr_private_segment_size 0
		.amdhsa_wavefront_size32 1
		.amdhsa_uses_dynamic_stack 0
		.amdhsa_enable_private_segment 0
		.amdhsa_system_sgpr_workgroup_id_x 1
		.amdhsa_system_sgpr_workgroup_id_y 0
		.amdhsa_system_sgpr_workgroup_id_z 0
		.amdhsa_system_sgpr_workgroup_info 0
		.amdhsa_system_vgpr_workitem_id 0
		.amdhsa_next_free_vgpr 1
		.amdhsa_next_free_sgpr 1
		.amdhsa_reserve_vcc 0
		.amdhsa_float_round_mode_32 0
		.amdhsa_float_round_mode_16_64 0
		.amdhsa_float_denorm_mode_32 3
		.amdhsa_float_denorm_mode_16_64 3
		.amdhsa_dx10_clamp 1
		.amdhsa_ieee_mode 1
		.amdhsa_fp16_overflow 0
		.amdhsa_workgroup_processor_mode 1
		.amdhsa_memory_ordered 1
		.amdhsa_forward_progress 0
		.amdhsa_shared_vgpr_count 0
		.amdhsa_exception_fp_ieee_invalid_op 0
		.amdhsa_exception_fp_denorm_src 0
		.amdhsa_exception_fp_ieee_div_zero 0
		.amdhsa_exception_fp_ieee_overflow 0
		.amdhsa_exception_fp_ieee_underflow 0
		.amdhsa_exception_fp_ieee_inexact 0
		.amdhsa_exception_int_div_zero 0
	.end_amdhsa_kernel
	.section	.text._ZN7rocprim17ROCPRIM_400000_NS6detail17trampoline_kernelINS0_14default_configENS1_27upper_bound_config_selectorIsN6thrust23THRUST_200600_302600_NS6detail10any_assignEEEZNS1_14transform_implILb0ES3_S9_NS7_15normal_iteratorINS6_10device_ptrIsEEEENS6_16discard_iteratorINS6_11use_defaultEEEZNS1_13binary_searchIS3_S9_SE_SE_SH_NS1_21upper_bound_search_opENS7_16wrapped_functionINS0_4lessIvEEbEEEE10hipError_tPvRmT1_T2_T3_mmT4_T5_P12ihipStream_tbEUlRKsE_EESO_SS_ST_mSU_SX_bEUlT_E_NS1_11comp_targetILNS1_3genE8ELNS1_11target_archE1030ELNS1_3gpuE2ELNS1_3repE0EEENS1_30default_config_static_selectorELNS0_4arch9wavefront6targetE0EEEvSR_,"axG",@progbits,_ZN7rocprim17ROCPRIM_400000_NS6detail17trampoline_kernelINS0_14default_configENS1_27upper_bound_config_selectorIsN6thrust23THRUST_200600_302600_NS6detail10any_assignEEEZNS1_14transform_implILb0ES3_S9_NS7_15normal_iteratorINS6_10device_ptrIsEEEENS6_16discard_iteratorINS6_11use_defaultEEEZNS1_13binary_searchIS3_S9_SE_SE_SH_NS1_21upper_bound_search_opENS7_16wrapped_functionINS0_4lessIvEEbEEEE10hipError_tPvRmT1_T2_T3_mmT4_T5_P12ihipStream_tbEUlRKsE_EESO_SS_ST_mSU_SX_bEUlT_E_NS1_11comp_targetILNS1_3genE8ELNS1_11target_archE1030ELNS1_3gpuE2ELNS1_3repE0EEENS1_30default_config_static_selectorELNS0_4arch9wavefront6targetE0EEEvSR_,comdat
.Lfunc_end599:
	.size	_ZN7rocprim17ROCPRIM_400000_NS6detail17trampoline_kernelINS0_14default_configENS1_27upper_bound_config_selectorIsN6thrust23THRUST_200600_302600_NS6detail10any_assignEEEZNS1_14transform_implILb0ES3_S9_NS7_15normal_iteratorINS6_10device_ptrIsEEEENS6_16discard_iteratorINS6_11use_defaultEEEZNS1_13binary_searchIS3_S9_SE_SE_SH_NS1_21upper_bound_search_opENS7_16wrapped_functionINS0_4lessIvEEbEEEE10hipError_tPvRmT1_T2_T3_mmT4_T5_P12ihipStream_tbEUlRKsE_EESO_SS_ST_mSU_SX_bEUlT_E_NS1_11comp_targetILNS1_3genE8ELNS1_11target_archE1030ELNS1_3gpuE2ELNS1_3repE0EEENS1_30default_config_static_selectorELNS0_4arch9wavefront6targetE0EEEvSR_, .Lfunc_end599-_ZN7rocprim17ROCPRIM_400000_NS6detail17trampoline_kernelINS0_14default_configENS1_27upper_bound_config_selectorIsN6thrust23THRUST_200600_302600_NS6detail10any_assignEEEZNS1_14transform_implILb0ES3_S9_NS7_15normal_iteratorINS6_10device_ptrIsEEEENS6_16discard_iteratorINS6_11use_defaultEEEZNS1_13binary_searchIS3_S9_SE_SE_SH_NS1_21upper_bound_search_opENS7_16wrapped_functionINS0_4lessIvEEbEEEE10hipError_tPvRmT1_T2_T3_mmT4_T5_P12ihipStream_tbEUlRKsE_EESO_SS_ST_mSU_SX_bEUlT_E_NS1_11comp_targetILNS1_3genE8ELNS1_11target_archE1030ELNS1_3gpuE2ELNS1_3repE0EEENS1_30default_config_static_selectorELNS0_4arch9wavefront6targetE0EEEvSR_
                                        ; -- End function
	.section	.AMDGPU.csdata,"",@progbits
; Kernel info:
; codeLenInByte = 0
; NumSgprs: 0
; NumVgprs: 0
; ScratchSize: 0
; MemoryBound: 0
; FloatMode: 240
; IeeeMode: 1
; LDSByteSize: 0 bytes/workgroup (compile time only)
; SGPRBlocks: 0
; VGPRBlocks: 0
; NumSGPRsForWavesPerEU: 1
; NumVGPRsForWavesPerEU: 1
; Occupancy: 16
; WaveLimiterHint : 0
; COMPUTE_PGM_RSRC2:SCRATCH_EN: 0
; COMPUTE_PGM_RSRC2:USER_SGPR: 15
; COMPUTE_PGM_RSRC2:TRAP_HANDLER: 0
; COMPUTE_PGM_RSRC2:TGID_X_EN: 1
; COMPUTE_PGM_RSRC2:TGID_Y_EN: 0
; COMPUTE_PGM_RSRC2:TGID_Z_EN: 0
; COMPUTE_PGM_RSRC2:TIDIG_COMP_CNT: 0
	.section	.text._ZN7rocprim17ROCPRIM_400000_NS6detail17trampoline_kernelINS0_14default_configENS1_29binary_search_config_selectorIxN6thrust23THRUST_200600_302600_NS6detail10any_assignEEEZNS1_14transform_implILb0ES3_S9_NS7_15normal_iteratorINS6_10device_ptrIxEEEENS6_16discard_iteratorINS6_11use_defaultEEEZNS1_13binary_searchIS3_S9_SE_SE_SH_NS1_16binary_search_opENS7_16wrapped_functionINS0_4lessIvEEbEEEE10hipError_tPvRmT1_T2_T3_mmT4_T5_P12ihipStream_tbEUlRKxE_EESO_SS_ST_mSU_SX_bEUlT_E_NS1_11comp_targetILNS1_3genE0ELNS1_11target_archE4294967295ELNS1_3gpuE0ELNS1_3repE0EEENS1_30default_config_static_selectorELNS0_4arch9wavefront6targetE0EEEvSR_,"axG",@progbits,_ZN7rocprim17ROCPRIM_400000_NS6detail17trampoline_kernelINS0_14default_configENS1_29binary_search_config_selectorIxN6thrust23THRUST_200600_302600_NS6detail10any_assignEEEZNS1_14transform_implILb0ES3_S9_NS7_15normal_iteratorINS6_10device_ptrIxEEEENS6_16discard_iteratorINS6_11use_defaultEEEZNS1_13binary_searchIS3_S9_SE_SE_SH_NS1_16binary_search_opENS7_16wrapped_functionINS0_4lessIvEEbEEEE10hipError_tPvRmT1_T2_T3_mmT4_T5_P12ihipStream_tbEUlRKxE_EESO_SS_ST_mSU_SX_bEUlT_E_NS1_11comp_targetILNS1_3genE0ELNS1_11target_archE4294967295ELNS1_3gpuE0ELNS1_3repE0EEENS1_30default_config_static_selectorELNS0_4arch9wavefront6targetE0EEEvSR_,comdat
	.protected	_ZN7rocprim17ROCPRIM_400000_NS6detail17trampoline_kernelINS0_14default_configENS1_29binary_search_config_selectorIxN6thrust23THRUST_200600_302600_NS6detail10any_assignEEEZNS1_14transform_implILb0ES3_S9_NS7_15normal_iteratorINS6_10device_ptrIxEEEENS6_16discard_iteratorINS6_11use_defaultEEEZNS1_13binary_searchIS3_S9_SE_SE_SH_NS1_16binary_search_opENS7_16wrapped_functionINS0_4lessIvEEbEEEE10hipError_tPvRmT1_T2_T3_mmT4_T5_P12ihipStream_tbEUlRKxE_EESO_SS_ST_mSU_SX_bEUlT_E_NS1_11comp_targetILNS1_3genE0ELNS1_11target_archE4294967295ELNS1_3gpuE0ELNS1_3repE0EEENS1_30default_config_static_selectorELNS0_4arch9wavefront6targetE0EEEvSR_ ; -- Begin function _ZN7rocprim17ROCPRIM_400000_NS6detail17trampoline_kernelINS0_14default_configENS1_29binary_search_config_selectorIxN6thrust23THRUST_200600_302600_NS6detail10any_assignEEEZNS1_14transform_implILb0ES3_S9_NS7_15normal_iteratorINS6_10device_ptrIxEEEENS6_16discard_iteratorINS6_11use_defaultEEEZNS1_13binary_searchIS3_S9_SE_SE_SH_NS1_16binary_search_opENS7_16wrapped_functionINS0_4lessIvEEbEEEE10hipError_tPvRmT1_T2_T3_mmT4_T5_P12ihipStream_tbEUlRKxE_EESO_SS_ST_mSU_SX_bEUlT_E_NS1_11comp_targetILNS1_3genE0ELNS1_11target_archE4294967295ELNS1_3gpuE0ELNS1_3repE0EEENS1_30default_config_static_selectorELNS0_4arch9wavefront6targetE0EEEvSR_
	.globl	_ZN7rocprim17ROCPRIM_400000_NS6detail17trampoline_kernelINS0_14default_configENS1_29binary_search_config_selectorIxN6thrust23THRUST_200600_302600_NS6detail10any_assignEEEZNS1_14transform_implILb0ES3_S9_NS7_15normal_iteratorINS6_10device_ptrIxEEEENS6_16discard_iteratorINS6_11use_defaultEEEZNS1_13binary_searchIS3_S9_SE_SE_SH_NS1_16binary_search_opENS7_16wrapped_functionINS0_4lessIvEEbEEEE10hipError_tPvRmT1_T2_T3_mmT4_T5_P12ihipStream_tbEUlRKxE_EESO_SS_ST_mSU_SX_bEUlT_E_NS1_11comp_targetILNS1_3genE0ELNS1_11target_archE4294967295ELNS1_3gpuE0ELNS1_3repE0EEENS1_30default_config_static_selectorELNS0_4arch9wavefront6targetE0EEEvSR_
	.p2align	8
	.type	_ZN7rocprim17ROCPRIM_400000_NS6detail17trampoline_kernelINS0_14default_configENS1_29binary_search_config_selectorIxN6thrust23THRUST_200600_302600_NS6detail10any_assignEEEZNS1_14transform_implILb0ES3_S9_NS7_15normal_iteratorINS6_10device_ptrIxEEEENS6_16discard_iteratorINS6_11use_defaultEEEZNS1_13binary_searchIS3_S9_SE_SE_SH_NS1_16binary_search_opENS7_16wrapped_functionINS0_4lessIvEEbEEEE10hipError_tPvRmT1_T2_T3_mmT4_T5_P12ihipStream_tbEUlRKxE_EESO_SS_ST_mSU_SX_bEUlT_E_NS1_11comp_targetILNS1_3genE0ELNS1_11target_archE4294967295ELNS1_3gpuE0ELNS1_3repE0EEENS1_30default_config_static_selectorELNS0_4arch9wavefront6targetE0EEEvSR_,@function
_ZN7rocprim17ROCPRIM_400000_NS6detail17trampoline_kernelINS0_14default_configENS1_29binary_search_config_selectorIxN6thrust23THRUST_200600_302600_NS6detail10any_assignEEEZNS1_14transform_implILb0ES3_S9_NS7_15normal_iteratorINS6_10device_ptrIxEEEENS6_16discard_iteratorINS6_11use_defaultEEEZNS1_13binary_searchIS3_S9_SE_SE_SH_NS1_16binary_search_opENS7_16wrapped_functionINS0_4lessIvEEbEEEE10hipError_tPvRmT1_T2_T3_mmT4_T5_P12ihipStream_tbEUlRKxE_EESO_SS_ST_mSU_SX_bEUlT_E_NS1_11comp_targetILNS1_3genE0ELNS1_11target_archE4294967295ELNS1_3gpuE0ELNS1_3repE0EEENS1_30default_config_static_selectorELNS0_4arch9wavefront6targetE0EEEvSR_: ; @_ZN7rocprim17ROCPRIM_400000_NS6detail17trampoline_kernelINS0_14default_configENS1_29binary_search_config_selectorIxN6thrust23THRUST_200600_302600_NS6detail10any_assignEEEZNS1_14transform_implILb0ES3_S9_NS7_15normal_iteratorINS6_10device_ptrIxEEEENS6_16discard_iteratorINS6_11use_defaultEEEZNS1_13binary_searchIS3_S9_SE_SE_SH_NS1_16binary_search_opENS7_16wrapped_functionINS0_4lessIvEEbEEEE10hipError_tPvRmT1_T2_T3_mmT4_T5_P12ihipStream_tbEUlRKxE_EESO_SS_ST_mSU_SX_bEUlT_E_NS1_11comp_targetILNS1_3genE0ELNS1_11target_archE4294967295ELNS1_3gpuE0ELNS1_3repE0EEENS1_30default_config_static_selectorELNS0_4arch9wavefront6targetE0EEEvSR_
; %bb.0:
	.section	.rodata,"a",@progbits
	.p2align	6, 0x0
	.amdhsa_kernel _ZN7rocprim17ROCPRIM_400000_NS6detail17trampoline_kernelINS0_14default_configENS1_29binary_search_config_selectorIxN6thrust23THRUST_200600_302600_NS6detail10any_assignEEEZNS1_14transform_implILb0ES3_S9_NS7_15normal_iteratorINS6_10device_ptrIxEEEENS6_16discard_iteratorINS6_11use_defaultEEEZNS1_13binary_searchIS3_S9_SE_SE_SH_NS1_16binary_search_opENS7_16wrapped_functionINS0_4lessIvEEbEEEE10hipError_tPvRmT1_T2_T3_mmT4_T5_P12ihipStream_tbEUlRKxE_EESO_SS_ST_mSU_SX_bEUlT_E_NS1_11comp_targetILNS1_3genE0ELNS1_11target_archE4294967295ELNS1_3gpuE0ELNS1_3repE0EEENS1_30default_config_static_selectorELNS0_4arch9wavefront6targetE0EEEvSR_
		.amdhsa_group_segment_fixed_size 0
		.amdhsa_private_segment_fixed_size 0
		.amdhsa_kernarg_size 64
		.amdhsa_user_sgpr_count 15
		.amdhsa_user_sgpr_dispatch_ptr 0
		.amdhsa_user_sgpr_queue_ptr 0
		.amdhsa_user_sgpr_kernarg_segment_ptr 1
		.amdhsa_user_sgpr_dispatch_id 0
		.amdhsa_user_sgpr_private_segment_size 0
		.amdhsa_wavefront_size32 1
		.amdhsa_uses_dynamic_stack 0
		.amdhsa_enable_private_segment 0
		.amdhsa_system_sgpr_workgroup_id_x 1
		.amdhsa_system_sgpr_workgroup_id_y 0
		.amdhsa_system_sgpr_workgroup_id_z 0
		.amdhsa_system_sgpr_workgroup_info 0
		.amdhsa_system_vgpr_workitem_id 0
		.amdhsa_next_free_vgpr 1
		.amdhsa_next_free_sgpr 1
		.amdhsa_reserve_vcc 0
		.amdhsa_float_round_mode_32 0
		.amdhsa_float_round_mode_16_64 0
		.amdhsa_float_denorm_mode_32 3
		.amdhsa_float_denorm_mode_16_64 3
		.amdhsa_dx10_clamp 1
		.amdhsa_ieee_mode 1
		.amdhsa_fp16_overflow 0
		.amdhsa_workgroup_processor_mode 1
		.amdhsa_memory_ordered 1
		.amdhsa_forward_progress 0
		.amdhsa_shared_vgpr_count 0
		.amdhsa_exception_fp_ieee_invalid_op 0
		.amdhsa_exception_fp_denorm_src 0
		.amdhsa_exception_fp_ieee_div_zero 0
		.amdhsa_exception_fp_ieee_overflow 0
		.amdhsa_exception_fp_ieee_underflow 0
		.amdhsa_exception_fp_ieee_inexact 0
		.amdhsa_exception_int_div_zero 0
	.end_amdhsa_kernel
	.section	.text._ZN7rocprim17ROCPRIM_400000_NS6detail17trampoline_kernelINS0_14default_configENS1_29binary_search_config_selectorIxN6thrust23THRUST_200600_302600_NS6detail10any_assignEEEZNS1_14transform_implILb0ES3_S9_NS7_15normal_iteratorINS6_10device_ptrIxEEEENS6_16discard_iteratorINS6_11use_defaultEEEZNS1_13binary_searchIS3_S9_SE_SE_SH_NS1_16binary_search_opENS7_16wrapped_functionINS0_4lessIvEEbEEEE10hipError_tPvRmT1_T2_T3_mmT4_T5_P12ihipStream_tbEUlRKxE_EESO_SS_ST_mSU_SX_bEUlT_E_NS1_11comp_targetILNS1_3genE0ELNS1_11target_archE4294967295ELNS1_3gpuE0ELNS1_3repE0EEENS1_30default_config_static_selectorELNS0_4arch9wavefront6targetE0EEEvSR_,"axG",@progbits,_ZN7rocprim17ROCPRIM_400000_NS6detail17trampoline_kernelINS0_14default_configENS1_29binary_search_config_selectorIxN6thrust23THRUST_200600_302600_NS6detail10any_assignEEEZNS1_14transform_implILb0ES3_S9_NS7_15normal_iteratorINS6_10device_ptrIxEEEENS6_16discard_iteratorINS6_11use_defaultEEEZNS1_13binary_searchIS3_S9_SE_SE_SH_NS1_16binary_search_opENS7_16wrapped_functionINS0_4lessIvEEbEEEE10hipError_tPvRmT1_T2_T3_mmT4_T5_P12ihipStream_tbEUlRKxE_EESO_SS_ST_mSU_SX_bEUlT_E_NS1_11comp_targetILNS1_3genE0ELNS1_11target_archE4294967295ELNS1_3gpuE0ELNS1_3repE0EEENS1_30default_config_static_selectorELNS0_4arch9wavefront6targetE0EEEvSR_,comdat
.Lfunc_end600:
	.size	_ZN7rocprim17ROCPRIM_400000_NS6detail17trampoline_kernelINS0_14default_configENS1_29binary_search_config_selectorIxN6thrust23THRUST_200600_302600_NS6detail10any_assignEEEZNS1_14transform_implILb0ES3_S9_NS7_15normal_iteratorINS6_10device_ptrIxEEEENS6_16discard_iteratorINS6_11use_defaultEEEZNS1_13binary_searchIS3_S9_SE_SE_SH_NS1_16binary_search_opENS7_16wrapped_functionINS0_4lessIvEEbEEEE10hipError_tPvRmT1_T2_T3_mmT4_T5_P12ihipStream_tbEUlRKxE_EESO_SS_ST_mSU_SX_bEUlT_E_NS1_11comp_targetILNS1_3genE0ELNS1_11target_archE4294967295ELNS1_3gpuE0ELNS1_3repE0EEENS1_30default_config_static_selectorELNS0_4arch9wavefront6targetE0EEEvSR_, .Lfunc_end600-_ZN7rocprim17ROCPRIM_400000_NS6detail17trampoline_kernelINS0_14default_configENS1_29binary_search_config_selectorIxN6thrust23THRUST_200600_302600_NS6detail10any_assignEEEZNS1_14transform_implILb0ES3_S9_NS7_15normal_iteratorINS6_10device_ptrIxEEEENS6_16discard_iteratorINS6_11use_defaultEEEZNS1_13binary_searchIS3_S9_SE_SE_SH_NS1_16binary_search_opENS7_16wrapped_functionINS0_4lessIvEEbEEEE10hipError_tPvRmT1_T2_T3_mmT4_T5_P12ihipStream_tbEUlRKxE_EESO_SS_ST_mSU_SX_bEUlT_E_NS1_11comp_targetILNS1_3genE0ELNS1_11target_archE4294967295ELNS1_3gpuE0ELNS1_3repE0EEENS1_30default_config_static_selectorELNS0_4arch9wavefront6targetE0EEEvSR_
                                        ; -- End function
	.section	.AMDGPU.csdata,"",@progbits
; Kernel info:
; codeLenInByte = 0
; NumSgprs: 0
; NumVgprs: 0
; ScratchSize: 0
; MemoryBound: 0
; FloatMode: 240
; IeeeMode: 1
; LDSByteSize: 0 bytes/workgroup (compile time only)
; SGPRBlocks: 0
; VGPRBlocks: 0
; NumSGPRsForWavesPerEU: 1
; NumVGPRsForWavesPerEU: 1
; Occupancy: 16
; WaveLimiterHint : 0
; COMPUTE_PGM_RSRC2:SCRATCH_EN: 0
; COMPUTE_PGM_RSRC2:USER_SGPR: 15
; COMPUTE_PGM_RSRC2:TRAP_HANDLER: 0
; COMPUTE_PGM_RSRC2:TGID_X_EN: 1
; COMPUTE_PGM_RSRC2:TGID_Y_EN: 0
; COMPUTE_PGM_RSRC2:TGID_Z_EN: 0
; COMPUTE_PGM_RSRC2:TIDIG_COMP_CNT: 0
	.section	.text._ZN7rocprim17ROCPRIM_400000_NS6detail17trampoline_kernelINS0_14default_configENS1_29binary_search_config_selectorIxN6thrust23THRUST_200600_302600_NS6detail10any_assignEEEZNS1_14transform_implILb0ES3_S9_NS7_15normal_iteratorINS6_10device_ptrIxEEEENS6_16discard_iteratorINS6_11use_defaultEEEZNS1_13binary_searchIS3_S9_SE_SE_SH_NS1_16binary_search_opENS7_16wrapped_functionINS0_4lessIvEEbEEEE10hipError_tPvRmT1_T2_T3_mmT4_T5_P12ihipStream_tbEUlRKxE_EESO_SS_ST_mSU_SX_bEUlT_E_NS1_11comp_targetILNS1_3genE5ELNS1_11target_archE942ELNS1_3gpuE9ELNS1_3repE0EEENS1_30default_config_static_selectorELNS0_4arch9wavefront6targetE0EEEvSR_,"axG",@progbits,_ZN7rocprim17ROCPRIM_400000_NS6detail17trampoline_kernelINS0_14default_configENS1_29binary_search_config_selectorIxN6thrust23THRUST_200600_302600_NS6detail10any_assignEEEZNS1_14transform_implILb0ES3_S9_NS7_15normal_iteratorINS6_10device_ptrIxEEEENS6_16discard_iteratorINS6_11use_defaultEEEZNS1_13binary_searchIS3_S9_SE_SE_SH_NS1_16binary_search_opENS7_16wrapped_functionINS0_4lessIvEEbEEEE10hipError_tPvRmT1_T2_T3_mmT4_T5_P12ihipStream_tbEUlRKxE_EESO_SS_ST_mSU_SX_bEUlT_E_NS1_11comp_targetILNS1_3genE5ELNS1_11target_archE942ELNS1_3gpuE9ELNS1_3repE0EEENS1_30default_config_static_selectorELNS0_4arch9wavefront6targetE0EEEvSR_,comdat
	.protected	_ZN7rocprim17ROCPRIM_400000_NS6detail17trampoline_kernelINS0_14default_configENS1_29binary_search_config_selectorIxN6thrust23THRUST_200600_302600_NS6detail10any_assignEEEZNS1_14transform_implILb0ES3_S9_NS7_15normal_iteratorINS6_10device_ptrIxEEEENS6_16discard_iteratorINS6_11use_defaultEEEZNS1_13binary_searchIS3_S9_SE_SE_SH_NS1_16binary_search_opENS7_16wrapped_functionINS0_4lessIvEEbEEEE10hipError_tPvRmT1_T2_T3_mmT4_T5_P12ihipStream_tbEUlRKxE_EESO_SS_ST_mSU_SX_bEUlT_E_NS1_11comp_targetILNS1_3genE5ELNS1_11target_archE942ELNS1_3gpuE9ELNS1_3repE0EEENS1_30default_config_static_selectorELNS0_4arch9wavefront6targetE0EEEvSR_ ; -- Begin function _ZN7rocprim17ROCPRIM_400000_NS6detail17trampoline_kernelINS0_14default_configENS1_29binary_search_config_selectorIxN6thrust23THRUST_200600_302600_NS6detail10any_assignEEEZNS1_14transform_implILb0ES3_S9_NS7_15normal_iteratorINS6_10device_ptrIxEEEENS6_16discard_iteratorINS6_11use_defaultEEEZNS1_13binary_searchIS3_S9_SE_SE_SH_NS1_16binary_search_opENS7_16wrapped_functionINS0_4lessIvEEbEEEE10hipError_tPvRmT1_T2_T3_mmT4_T5_P12ihipStream_tbEUlRKxE_EESO_SS_ST_mSU_SX_bEUlT_E_NS1_11comp_targetILNS1_3genE5ELNS1_11target_archE942ELNS1_3gpuE9ELNS1_3repE0EEENS1_30default_config_static_selectorELNS0_4arch9wavefront6targetE0EEEvSR_
	.globl	_ZN7rocprim17ROCPRIM_400000_NS6detail17trampoline_kernelINS0_14default_configENS1_29binary_search_config_selectorIxN6thrust23THRUST_200600_302600_NS6detail10any_assignEEEZNS1_14transform_implILb0ES3_S9_NS7_15normal_iteratorINS6_10device_ptrIxEEEENS6_16discard_iteratorINS6_11use_defaultEEEZNS1_13binary_searchIS3_S9_SE_SE_SH_NS1_16binary_search_opENS7_16wrapped_functionINS0_4lessIvEEbEEEE10hipError_tPvRmT1_T2_T3_mmT4_T5_P12ihipStream_tbEUlRKxE_EESO_SS_ST_mSU_SX_bEUlT_E_NS1_11comp_targetILNS1_3genE5ELNS1_11target_archE942ELNS1_3gpuE9ELNS1_3repE0EEENS1_30default_config_static_selectorELNS0_4arch9wavefront6targetE0EEEvSR_
	.p2align	8
	.type	_ZN7rocprim17ROCPRIM_400000_NS6detail17trampoline_kernelINS0_14default_configENS1_29binary_search_config_selectorIxN6thrust23THRUST_200600_302600_NS6detail10any_assignEEEZNS1_14transform_implILb0ES3_S9_NS7_15normal_iteratorINS6_10device_ptrIxEEEENS6_16discard_iteratorINS6_11use_defaultEEEZNS1_13binary_searchIS3_S9_SE_SE_SH_NS1_16binary_search_opENS7_16wrapped_functionINS0_4lessIvEEbEEEE10hipError_tPvRmT1_T2_T3_mmT4_T5_P12ihipStream_tbEUlRKxE_EESO_SS_ST_mSU_SX_bEUlT_E_NS1_11comp_targetILNS1_3genE5ELNS1_11target_archE942ELNS1_3gpuE9ELNS1_3repE0EEENS1_30default_config_static_selectorELNS0_4arch9wavefront6targetE0EEEvSR_,@function
_ZN7rocprim17ROCPRIM_400000_NS6detail17trampoline_kernelINS0_14default_configENS1_29binary_search_config_selectorIxN6thrust23THRUST_200600_302600_NS6detail10any_assignEEEZNS1_14transform_implILb0ES3_S9_NS7_15normal_iteratorINS6_10device_ptrIxEEEENS6_16discard_iteratorINS6_11use_defaultEEEZNS1_13binary_searchIS3_S9_SE_SE_SH_NS1_16binary_search_opENS7_16wrapped_functionINS0_4lessIvEEbEEEE10hipError_tPvRmT1_T2_T3_mmT4_T5_P12ihipStream_tbEUlRKxE_EESO_SS_ST_mSU_SX_bEUlT_E_NS1_11comp_targetILNS1_3genE5ELNS1_11target_archE942ELNS1_3gpuE9ELNS1_3repE0EEENS1_30default_config_static_selectorELNS0_4arch9wavefront6targetE0EEEvSR_: ; @_ZN7rocprim17ROCPRIM_400000_NS6detail17trampoline_kernelINS0_14default_configENS1_29binary_search_config_selectorIxN6thrust23THRUST_200600_302600_NS6detail10any_assignEEEZNS1_14transform_implILb0ES3_S9_NS7_15normal_iteratorINS6_10device_ptrIxEEEENS6_16discard_iteratorINS6_11use_defaultEEEZNS1_13binary_searchIS3_S9_SE_SE_SH_NS1_16binary_search_opENS7_16wrapped_functionINS0_4lessIvEEbEEEE10hipError_tPvRmT1_T2_T3_mmT4_T5_P12ihipStream_tbEUlRKxE_EESO_SS_ST_mSU_SX_bEUlT_E_NS1_11comp_targetILNS1_3genE5ELNS1_11target_archE942ELNS1_3gpuE9ELNS1_3repE0EEENS1_30default_config_static_selectorELNS0_4arch9wavefront6targetE0EEEvSR_
; %bb.0:
	.section	.rodata,"a",@progbits
	.p2align	6, 0x0
	.amdhsa_kernel _ZN7rocprim17ROCPRIM_400000_NS6detail17trampoline_kernelINS0_14default_configENS1_29binary_search_config_selectorIxN6thrust23THRUST_200600_302600_NS6detail10any_assignEEEZNS1_14transform_implILb0ES3_S9_NS7_15normal_iteratorINS6_10device_ptrIxEEEENS6_16discard_iteratorINS6_11use_defaultEEEZNS1_13binary_searchIS3_S9_SE_SE_SH_NS1_16binary_search_opENS7_16wrapped_functionINS0_4lessIvEEbEEEE10hipError_tPvRmT1_T2_T3_mmT4_T5_P12ihipStream_tbEUlRKxE_EESO_SS_ST_mSU_SX_bEUlT_E_NS1_11comp_targetILNS1_3genE5ELNS1_11target_archE942ELNS1_3gpuE9ELNS1_3repE0EEENS1_30default_config_static_selectorELNS0_4arch9wavefront6targetE0EEEvSR_
		.amdhsa_group_segment_fixed_size 0
		.amdhsa_private_segment_fixed_size 0
		.amdhsa_kernarg_size 64
		.amdhsa_user_sgpr_count 15
		.amdhsa_user_sgpr_dispatch_ptr 0
		.amdhsa_user_sgpr_queue_ptr 0
		.amdhsa_user_sgpr_kernarg_segment_ptr 1
		.amdhsa_user_sgpr_dispatch_id 0
		.amdhsa_user_sgpr_private_segment_size 0
		.amdhsa_wavefront_size32 1
		.amdhsa_uses_dynamic_stack 0
		.amdhsa_enable_private_segment 0
		.amdhsa_system_sgpr_workgroup_id_x 1
		.amdhsa_system_sgpr_workgroup_id_y 0
		.amdhsa_system_sgpr_workgroup_id_z 0
		.amdhsa_system_sgpr_workgroup_info 0
		.amdhsa_system_vgpr_workitem_id 0
		.amdhsa_next_free_vgpr 1
		.amdhsa_next_free_sgpr 1
		.amdhsa_reserve_vcc 0
		.amdhsa_float_round_mode_32 0
		.amdhsa_float_round_mode_16_64 0
		.amdhsa_float_denorm_mode_32 3
		.amdhsa_float_denorm_mode_16_64 3
		.amdhsa_dx10_clamp 1
		.amdhsa_ieee_mode 1
		.amdhsa_fp16_overflow 0
		.amdhsa_workgroup_processor_mode 1
		.amdhsa_memory_ordered 1
		.amdhsa_forward_progress 0
		.amdhsa_shared_vgpr_count 0
		.amdhsa_exception_fp_ieee_invalid_op 0
		.amdhsa_exception_fp_denorm_src 0
		.amdhsa_exception_fp_ieee_div_zero 0
		.amdhsa_exception_fp_ieee_overflow 0
		.amdhsa_exception_fp_ieee_underflow 0
		.amdhsa_exception_fp_ieee_inexact 0
		.amdhsa_exception_int_div_zero 0
	.end_amdhsa_kernel
	.section	.text._ZN7rocprim17ROCPRIM_400000_NS6detail17trampoline_kernelINS0_14default_configENS1_29binary_search_config_selectorIxN6thrust23THRUST_200600_302600_NS6detail10any_assignEEEZNS1_14transform_implILb0ES3_S9_NS7_15normal_iteratorINS6_10device_ptrIxEEEENS6_16discard_iteratorINS6_11use_defaultEEEZNS1_13binary_searchIS3_S9_SE_SE_SH_NS1_16binary_search_opENS7_16wrapped_functionINS0_4lessIvEEbEEEE10hipError_tPvRmT1_T2_T3_mmT4_T5_P12ihipStream_tbEUlRKxE_EESO_SS_ST_mSU_SX_bEUlT_E_NS1_11comp_targetILNS1_3genE5ELNS1_11target_archE942ELNS1_3gpuE9ELNS1_3repE0EEENS1_30default_config_static_selectorELNS0_4arch9wavefront6targetE0EEEvSR_,"axG",@progbits,_ZN7rocprim17ROCPRIM_400000_NS6detail17trampoline_kernelINS0_14default_configENS1_29binary_search_config_selectorIxN6thrust23THRUST_200600_302600_NS6detail10any_assignEEEZNS1_14transform_implILb0ES3_S9_NS7_15normal_iteratorINS6_10device_ptrIxEEEENS6_16discard_iteratorINS6_11use_defaultEEEZNS1_13binary_searchIS3_S9_SE_SE_SH_NS1_16binary_search_opENS7_16wrapped_functionINS0_4lessIvEEbEEEE10hipError_tPvRmT1_T2_T3_mmT4_T5_P12ihipStream_tbEUlRKxE_EESO_SS_ST_mSU_SX_bEUlT_E_NS1_11comp_targetILNS1_3genE5ELNS1_11target_archE942ELNS1_3gpuE9ELNS1_3repE0EEENS1_30default_config_static_selectorELNS0_4arch9wavefront6targetE0EEEvSR_,comdat
.Lfunc_end601:
	.size	_ZN7rocprim17ROCPRIM_400000_NS6detail17trampoline_kernelINS0_14default_configENS1_29binary_search_config_selectorIxN6thrust23THRUST_200600_302600_NS6detail10any_assignEEEZNS1_14transform_implILb0ES3_S9_NS7_15normal_iteratorINS6_10device_ptrIxEEEENS6_16discard_iteratorINS6_11use_defaultEEEZNS1_13binary_searchIS3_S9_SE_SE_SH_NS1_16binary_search_opENS7_16wrapped_functionINS0_4lessIvEEbEEEE10hipError_tPvRmT1_T2_T3_mmT4_T5_P12ihipStream_tbEUlRKxE_EESO_SS_ST_mSU_SX_bEUlT_E_NS1_11comp_targetILNS1_3genE5ELNS1_11target_archE942ELNS1_3gpuE9ELNS1_3repE0EEENS1_30default_config_static_selectorELNS0_4arch9wavefront6targetE0EEEvSR_, .Lfunc_end601-_ZN7rocprim17ROCPRIM_400000_NS6detail17trampoline_kernelINS0_14default_configENS1_29binary_search_config_selectorIxN6thrust23THRUST_200600_302600_NS6detail10any_assignEEEZNS1_14transform_implILb0ES3_S9_NS7_15normal_iteratorINS6_10device_ptrIxEEEENS6_16discard_iteratorINS6_11use_defaultEEEZNS1_13binary_searchIS3_S9_SE_SE_SH_NS1_16binary_search_opENS7_16wrapped_functionINS0_4lessIvEEbEEEE10hipError_tPvRmT1_T2_T3_mmT4_T5_P12ihipStream_tbEUlRKxE_EESO_SS_ST_mSU_SX_bEUlT_E_NS1_11comp_targetILNS1_3genE5ELNS1_11target_archE942ELNS1_3gpuE9ELNS1_3repE0EEENS1_30default_config_static_selectorELNS0_4arch9wavefront6targetE0EEEvSR_
                                        ; -- End function
	.section	.AMDGPU.csdata,"",@progbits
; Kernel info:
; codeLenInByte = 0
; NumSgprs: 0
; NumVgprs: 0
; ScratchSize: 0
; MemoryBound: 0
; FloatMode: 240
; IeeeMode: 1
; LDSByteSize: 0 bytes/workgroup (compile time only)
; SGPRBlocks: 0
; VGPRBlocks: 0
; NumSGPRsForWavesPerEU: 1
; NumVGPRsForWavesPerEU: 1
; Occupancy: 16
; WaveLimiterHint : 0
; COMPUTE_PGM_RSRC2:SCRATCH_EN: 0
; COMPUTE_PGM_RSRC2:USER_SGPR: 15
; COMPUTE_PGM_RSRC2:TRAP_HANDLER: 0
; COMPUTE_PGM_RSRC2:TGID_X_EN: 1
; COMPUTE_PGM_RSRC2:TGID_Y_EN: 0
; COMPUTE_PGM_RSRC2:TGID_Z_EN: 0
; COMPUTE_PGM_RSRC2:TIDIG_COMP_CNT: 0
	.section	.text._ZN7rocprim17ROCPRIM_400000_NS6detail17trampoline_kernelINS0_14default_configENS1_29binary_search_config_selectorIxN6thrust23THRUST_200600_302600_NS6detail10any_assignEEEZNS1_14transform_implILb0ES3_S9_NS7_15normal_iteratorINS6_10device_ptrIxEEEENS6_16discard_iteratorINS6_11use_defaultEEEZNS1_13binary_searchIS3_S9_SE_SE_SH_NS1_16binary_search_opENS7_16wrapped_functionINS0_4lessIvEEbEEEE10hipError_tPvRmT1_T2_T3_mmT4_T5_P12ihipStream_tbEUlRKxE_EESO_SS_ST_mSU_SX_bEUlT_E_NS1_11comp_targetILNS1_3genE4ELNS1_11target_archE910ELNS1_3gpuE8ELNS1_3repE0EEENS1_30default_config_static_selectorELNS0_4arch9wavefront6targetE0EEEvSR_,"axG",@progbits,_ZN7rocprim17ROCPRIM_400000_NS6detail17trampoline_kernelINS0_14default_configENS1_29binary_search_config_selectorIxN6thrust23THRUST_200600_302600_NS6detail10any_assignEEEZNS1_14transform_implILb0ES3_S9_NS7_15normal_iteratorINS6_10device_ptrIxEEEENS6_16discard_iteratorINS6_11use_defaultEEEZNS1_13binary_searchIS3_S9_SE_SE_SH_NS1_16binary_search_opENS7_16wrapped_functionINS0_4lessIvEEbEEEE10hipError_tPvRmT1_T2_T3_mmT4_T5_P12ihipStream_tbEUlRKxE_EESO_SS_ST_mSU_SX_bEUlT_E_NS1_11comp_targetILNS1_3genE4ELNS1_11target_archE910ELNS1_3gpuE8ELNS1_3repE0EEENS1_30default_config_static_selectorELNS0_4arch9wavefront6targetE0EEEvSR_,comdat
	.protected	_ZN7rocprim17ROCPRIM_400000_NS6detail17trampoline_kernelINS0_14default_configENS1_29binary_search_config_selectorIxN6thrust23THRUST_200600_302600_NS6detail10any_assignEEEZNS1_14transform_implILb0ES3_S9_NS7_15normal_iteratorINS6_10device_ptrIxEEEENS6_16discard_iteratorINS6_11use_defaultEEEZNS1_13binary_searchIS3_S9_SE_SE_SH_NS1_16binary_search_opENS7_16wrapped_functionINS0_4lessIvEEbEEEE10hipError_tPvRmT1_T2_T3_mmT4_T5_P12ihipStream_tbEUlRKxE_EESO_SS_ST_mSU_SX_bEUlT_E_NS1_11comp_targetILNS1_3genE4ELNS1_11target_archE910ELNS1_3gpuE8ELNS1_3repE0EEENS1_30default_config_static_selectorELNS0_4arch9wavefront6targetE0EEEvSR_ ; -- Begin function _ZN7rocprim17ROCPRIM_400000_NS6detail17trampoline_kernelINS0_14default_configENS1_29binary_search_config_selectorIxN6thrust23THRUST_200600_302600_NS6detail10any_assignEEEZNS1_14transform_implILb0ES3_S9_NS7_15normal_iteratorINS6_10device_ptrIxEEEENS6_16discard_iteratorINS6_11use_defaultEEEZNS1_13binary_searchIS3_S9_SE_SE_SH_NS1_16binary_search_opENS7_16wrapped_functionINS0_4lessIvEEbEEEE10hipError_tPvRmT1_T2_T3_mmT4_T5_P12ihipStream_tbEUlRKxE_EESO_SS_ST_mSU_SX_bEUlT_E_NS1_11comp_targetILNS1_3genE4ELNS1_11target_archE910ELNS1_3gpuE8ELNS1_3repE0EEENS1_30default_config_static_selectorELNS0_4arch9wavefront6targetE0EEEvSR_
	.globl	_ZN7rocprim17ROCPRIM_400000_NS6detail17trampoline_kernelINS0_14default_configENS1_29binary_search_config_selectorIxN6thrust23THRUST_200600_302600_NS6detail10any_assignEEEZNS1_14transform_implILb0ES3_S9_NS7_15normal_iteratorINS6_10device_ptrIxEEEENS6_16discard_iteratorINS6_11use_defaultEEEZNS1_13binary_searchIS3_S9_SE_SE_SH_NS1_16binary_search_opENS7_16wrapped_functionINS0_4lessIvEEbEEEE10hipError_tPvRmT1_T2_T3_mmT4_T5_P12ihipStream_tbEUlRKxE_EESO_SS_ST_mSU_SX_bEUlT_E_NS1_11comp_targetILNS1_3genE4ELNS1_11target_archE910ELNS1_3gpuE8ELNS1_3repE0EEENS1_30default_config_static_selectorELNS0_4arch9wavefront6targetE0EEEvSR_
	.p2align	8
	.type	_ZN7rocprim17ROCPRIM_400000_NS6detail17trampoline_kernelINS0_14default_configENS1_29binary_search_config_selectorIxN6thrust23THRUST_200600_302600_NS6detail10any_assignEEEZNS1_14transform_implILb0ES3_S9_NS7_15normal_iteratorINS6_10device_ptrIxEEEENS6_16discard_iteratorINS6_11use_defaultEEEZNS1_13binary_searchIS3_S9_SE_SE_SH_NS1_16binary_search_opENS7_16wrapped_functionINS0_4lessIvEEbEEEE10hipError_tPvRmT1_T2_T3_mmT4_T5_P12ihipStream_tbEUlRKxE_EESO_SS_ST_mSU_SX_bEUlT_E_NS1_11comp_targetILNS1_3genE4ELNS1_11target_archE910ELNS1_3gpuE8ELNS1_3repE0EEENS1_30default_config_static_selectorELNS0_4arch9wavefront6targetE0EEEvSR_,@function
_ZN7rocprim17ROCPRIM_400000_NS6detail17trampoline_kernelINS0_14default_configENS1_29binary_search_config_selectorIxN6thrust23THRUST_200600_302600_NS6detail10any_assignEEEZNS1_14transform_implILb0ES3_S9_NS7_15normal_iteratorINS6_10device_ptrIxEEEENS6_16discard_iteratorINS6_11use_defaultEEEZNS1_13binary_searchIS3_S9_SE_SE_SH_NS1_16binary_search_opENS7_16wrapped_functionINS0_4lessIvEEbEEEE10hipError_tPvRmT1_T2_T3_mmT4_T5_P12ihipStream_tbEUlRKxE_EESO_SS_ST_mSU_SX_bEUlT_E_NS1_11comp_targetILNS1_3genE4ELNS1_11target_archE910ELNS1_3gpuE8ELNS1_3repE0EEENS1_30default_config_static_selectorELNS0_4arch9wavefront6targetE0EEEvSR_: ; @_ZN7rocprim17ROCPRIM_400000_NS6detail17trampoline_kernelINS0_14default_configENS1_29binary_search_config_selectorIxN6thrust23THRUST_200600_302600_NS6detail10any_assignEEEZNS1_14transform_implILb0ES3_S9_NS7_15normal_iteratorINS6_10device_ptrIxEEEENS6_16discard_iteratorINS6_11use_defaultEEEZNS1_13binary_searchIS3_S9_SE_SE_SH_NS1_16binary_search_opENS7_16wrapped_functionINS0_4lessIvEEbEEEE10hipError_tPvRmT1_T2_T3_mmT4_T5_P12ihipStream_tbEUlRKxE_EESO_SS_ST_mSU_SX_bEUlT_E_NS1_11comp_targetILNS1_3genE4ELNS1_11target_archE910ELNS1_3gpuE8ELNS1_3repE0EEENS1_30default_config_static_selectorELNS0_4arch9wavefront6targetE0EEEvSR_
; %bb.0:
	.section	.rodata,"a",@progbits
	.p2align	6, 0x0
	.amdhsa_kernel _ZN7rocprim17ROCPRIM_400000_NS6detail17trampoline_kernelINS0_14default_configENS1_29binary_search_config_selectorIxN6thrust23THRUST_200600_302600_NS6detail10any_assignEEEZNS1_14transform_implILb0ES3_S9_NS7_15normal_iteratorINS6_10device_ptrIxEEEENS6_16discard_iteratorINS6_11use_defaultEEEZNS1_13binary_searchIS3_S9_SE_SE_SH_NS1_16binary_search_opENS7_16wrapped_functionINS0_4lessIvEEbEEEE10hipError_tPvRmT1_T2_T3_mmT4_T5_P12ihipStream_tbEUlRKxE_EESO_SS_ST_mSU_SX_bEUlT_E_NS1_11comp_targetILNS1_3genE4ELNS1_11target_archE910ELNS1_3gpuE8ELNS1_3repE0EEENS1_30default_config_static_selectorELNS0_4arch9wavefront6targetE0EEEvSR_
		.amdhsa_group_segment_fixed_size 0
		.amdhsa_private_segment_fixed_size 0
		.amdhsa_kernarg_size 64
		.amdhsa_user_sgpr_count 15
		.amdhsa_user_sgpr_dispatch_ptr 0
		.amdhsa_user_sgpr_queue_ptr 0
		.amdhsa_user_sgpr_kernarg_segment_ptr 1
		.amdhsa_user_sgpr_dispatch_id 0
		.amdhsa_user_sgpr_private_segment_size 0
		.amdhsa_wavefront_size32 1
		.amdhsa_uses_dynamic_stack 0
		.amdhsa_enable_private_segment 0
		.amdhsa_system_sgpr_workgroup_id_x 1
		.amdhsa_system_sgpr_workgroup_id_y 0
		.amdhsa_system_sgpr_workgroup_id_z 0
		.amdhsa_system_sgpr_workgroup_info 0
		.amdhsa_system_vgpr_workitem_id 0
		.amdhsa_next_free_vgpr 1
		.amdhsa_next_free_sgpr 1
		.amdhsa_reserve_vcc 0
		.amdhsa_float_round_mode_32 0
		.amdhsa_float_round_mode_16_64 0
		.amdhsa_float_denorm_mode_32 3
		.amdhsa_float_denorm_mode_16_64 3
		.amdhsa_dx10_clamp 1
		.amdhsa_ieee_mode 1
		.amdhsa_fp16_overflow 0
		.amdhsa_workgroup_processor_mode 1
		.amdhsa_memory_ordered 1
		.amdhsa_forward_progress 0
		.amdhsa_shared_vgpr_count 0
		.amdhsa_exception_fp_ieee_invalid_op 0
		.amdhsa_exception_fp_denorm_src 0
		.amdhsa_exception_fp_ieee_div_zero 0
		.amdhsa_exception_fp_ieee_overflow 0
		.amdhsa_exception_fp_ieee_underflow 0
		.amdhsa_exception_fp_ieee_inexact 0
		.amdhsa_exception_int_div_zero 0
	.end_amdhsa_kernel
	.section	.text._ZN7rocprim17ROCPRIM_400000_NS6detail17trampoline_kernelINS0_14default_configENS1_29binary_search_config_selectorIxN6thrust23THRUST_200600_302600_NS6detail10any_assignEEEZNS1_14transform_implILb0ES3_S9_NS7_15normal_iteratorINS6_10device_ptrIxEEEENS6_16discard_iteratorINS6_11use_defaultEEEZNS1_13binary_searchIS3_S9_SE_SE_SH_NS1_16binary_search_opENS7_16wrapped_functionINS0_4lessIvEEbEEEE10hipError_tPvRmT1_T2_T3_mmT4_T5_P12ihipStream_tbEUlRKxE_EESO_SS_ST_mSU_SX_bEUlT_E_NS1_11comp_targetILNS1_3genE4ELNS1_11target_archE910ELNS1_3gpuE8ELNS1_3repE0EEENS1_30default_config_static_selectorELNS0_4arch9wavefront6targetE0EEEvSR_,"axG",@progbits,_ZN7rocprim17ROCPRIM_400000_NS6detail17trampoline_kernelINS0_14default_configENS1_29binary_search_config_selectorIxN6thrust23THRUST_200600_302600_NS6detail10any_assignEEEZNS1_14transform_implILb0ES3_S9_NS7_15normal_iteratorINS6_10device_ptrIxEEEENS6_16discard_iteratorINS6_11use_defaultEEEZNS1_13binary_searchIS3_S9_SE_SE_SH_NS1_16binary_search_opENS7_16wrapped_functionINS0_4lessIvEEbEEEE10hipError_tPvRmT1_T2_T3_mmT4_T5_P12ihipStream_tbEUlRKxE_EESO_SS_ST_mSU_SX_bEUlT_E_NS1_11comp_targetILNS1_3genE4ELNS1_11target_archE910ELNS1_3gpuE8ELNS1_3repE0EEENS1_30default_config_static_selectorELNS0_4arch9wavefront6targetE0EEEvSR_,comdat
.Lfunc_end602:
	.size	_ZN7rocprim17ROCPRIM_400000_NS6detail17trampoline_kernelINS0_14default_configENS1_29binary_search_config_selectorIxN6thrust23THRUST_200600_302600_NS6detail10any_assignEEEZNS1_14transform_implILb0ES3_S9_NS7_15normal_iteratorINS6_10device_ptrIxEEEENS6_16discard_iteratorINS6_11use_defaultEEEZNS1_13binary_searchIS3_S9_SE_SE_SH_NS1_16binary_search_opENS7_16wrapped_functionINS0_4lessIvEEbEEEE10hipError_tPvRmT1_T2_T3_mmT4_T5_P12ihipStream_tbEUlRKxE_EESO_SS_ST_mSU_SX_bEUlT_E_NS1_11comp_targetILNS1_3genE4ELNS1_11target_archE910ELNS1_3gpuE8ELNS1_3repE0EEENS1_30default_config_static_selectorELNS0_4arch9wavefront6targetE0EEEvSR_, .Lfunc_end602-_ZN7rocprim17ROCPRIM_400000_NS6detail17trampoline_kernelINS0_14default_configENS1_29binary_search_config_selectorIxN6thrust23THRUST_200600_302600_NS6detail10any_assignEEEZNS1_14transform_implILb0ES3_S9_NS7_15normal_iteratorINS6_10device_ptrIxEEEENS6_16discard_iteratorINS6_11use_defaultEEEZNS1_13binary_searchIS3_S9_SE_SE_SH_NS1_16binary_search_opENS7_16wrapped_functionINS0_4lessIvEEbEEEE10hipError_tPvRmT1_T2_T3_mmT4_T5_P12ihipStream_tbEUlRKxE_EESO_SS_ST_mSU_SX_bEUlT_E_NS1_11comp_targetILNS1_3genE4ELNS1_11target_archE910ELNS1_3gpuE8ELNS1_3repE0EEENS1_30default_config_static_selectorELNS0_4arch9wavefront6targetE0EEEvSR_
                                        ; -- End function
	.section	.AMDGPU.csdata,"",@progbits
; Kernel info:
; codeLenInByte = 0
; NumSgprs: 0
; NumVgprs: 0
; ScratchSize: 0
; MemoryBound: 0
; FloatMode: 240
; IeeeMode: 1
; LDSByteSize: 0 bytes/workgroup (compile time only)
; SGPRBlocks: 0
; VGPRBlocks: 0
; NumSGPRsForWavesPerEU: 1
; NumVGPRsForWavesPerEU: 1
; Occupancy: 16
; WaveLimiterHint : 0
; COMPUTE_PGM_RSRC2:SCRATCH_EN: 0
; COMPUTE_PGM_RSRC2:USER_SGPR: 15
; COMPUTE_PGM_RSRC2:TRAP_HANDLER: 0
; COMPUTE_PGM_RSRC2:TGID_X_EN: 1
; COMPUTE_PGM_RSRC2:TGID_Y_EN: 0
; COMPUTE_PGM_RSRC2:TGID_Z_EN: 0
; COMPUTE_PGM_RSRC2:TIDIG_COMP_CNT: 0
	.section	.text._ZN7rocprim17ROCPRIM_400000_NS6detail17trampoline_kernelINS0_14default_configENS1_29binary_search_config_selectorIxN6thrust23THRUST_200600_302600_NS6detail10any_assignEEEZNS1_14transform_implILb0ES3_S9_NS7_15normal_iteratorINS6_10device_ptrIxEEEENS6_16discard_iteratorINS6_11use_defaultEEEZNS1_13binary_searchIS3_S9_SE_SE_SH_NS1_16binary_search_opENS7_16wrapped_functionINS0_4lessIvEEbEEEE10hipError_tPvRmT1_T2_T3_mmT4_T5_P12ihipStream_tbEUlRKxE_EESO_SS_ST_mSU_SX_bEUlT_E_NS1_11comp_targetILNS1_3genE3ELNS1_11target_archE908ELNS1_3gpuE7ELNS1_3repE0EEENS1_30default_config_static_selectorELNS0_4arch9wavefront6targetE0EEEvSR_,"axG",@progbits,_ZN7rocprim17ROCPRIM_400000_NS6detail17trampoline_kernelINS0_14default_configENS1_29binary_search_config_selectorIxN6thrust23THRUST_200600_302600_NS6detail10any_assignEEEZNS1_14transform_implILb0ES3_S9_NS7_15normal_iteratorINS6_10device_ptrIxEEEENS6_16discard_iteratorINS6_11use_defaultEEEZNS1_13binary_searchIS3_S9_SE_SE_SH_NS1_16binary_search_opENS7_16wrapped_functionINS0_4lessIvEEbEEEE10hipError_tPvRmT1_T2_T3_mmT4_T5_P12ihipStream_tbEUlRKxE_EESO_SS_ST_mSU_SX_bEUlT_E_NS1_11comp_targetILNS1_3genE3ELNS1_11target_archE908ELNS1_3gpuE7ELNS1_3repE0EEENS1_30default_config_static_selectorELNS0_4arch9wavefront6targetE0EEEvSR_,comdat
	.protected	_ZN7rocprim17ROCPRIM_400000_NS6detail17trampoline_kernelINS0_14default_configENS1_29binary_search_config_selectorIxN6thrust23THRUST_200600_302600_NS6detail10any_assignEEEZNS1_14transform_implILb0ES3_S9_NS7_15normal_iteratorINS6_10device_ptrIxEEEENS6_16discard_iteratorINS6_11use_defaultEEEZNS1_13binary_searchIS3_S9_SE_SE_SH_NS1_16binary_search_opENS7_16wrapped_functionINS0_4lessIvEEbEEEE10hipError_tPvRmT1_T2_T3_mmT4_T5_P12ihipStream_tbEUlRKxE_EESO_SS_ST_mSU_SX_bEUlT_E_NS1_11comp_targetILNS1_3genE3ELNS1_11target_archE908ELNS1_3gpuE7ELNS1_3repE0EEENS1_30default_config_static_selectorELNS0_4arch9wavefront6targetE0EEEvSR_ ; -- Begin function _ZN7rocprim17ROCPRIM_400000_NS6detail17trampoline_kernelINS0_14default_configENS1_29binary_search_config_selectorIxN6thrust23THRUST_200600_302600_NS6detail10any_assignEEEZNS1_14transform_implILb0ES3_S9_NS7_15normal_iteratorINS6_10device_ptrIxEEEENS6_16discard_iteratorINS6_11use_defaultEEEZNS1_13binary_searchIS3_S9_SE_SE_SH_NS1_16binary_search_opENS7_16wrapped_functionINS0_4lessIvEEbEEEE10hipError_tPvRmT1_T2_T3_mmT4_T5_P12ihipStream_tbEUlRKxE_EESO_SS_ST_mSU_SX_bEUlT_E_NS1_11comp_targetILNS1_3genE3ELNS1_11target_archE908ELNS1_3gpuE7ELNS1_3repE0EEENS1_30default_config_static_selectorELNS0_4arch9wavefront6targetE0EEEvSR_
	.globl	_ZN7rocprim17ROCPRIM_400000_NS6detail17trampoline_kernelINS0_14default_configENS1_29binary_search_config_selectorIxN6thrust23THRUST_200600_302600_NS6detail10any_assignEEEZNS1_14transform_implILb0ES3_S9_NS7_15normal_iteratorINS6_10device_ptrIxEEEENS6_16discard_iteratorINS6_11use_defaultEEEZNS1_13binary_searchIS3_S9_SE_SE_SH_NS1_16binary_search_opENS7_16wrapped_functionINS0_4lessIvEEbEEEE10hipError_tPvRmT1_T2_T3_mmT4_T5_P12ihipStream_tbEUlRKxE_EESO_SS_ST_mSU_SX_bEUlT_E_NS1_11comp_targetILNS1_3genE3ELNS1_11target_archE908ELNS1_3gpuE7ELNS1_3repE0EEENS1_30default_config_static_selectorELNS0_4arch9wavefront6targetE0EEEvSR_
	.p2align	8
	.type	_ZN7rocprim17ROCPRIM_400000_NS6detail17trampoline_kernelINS0_14default_configENS1_29binary_search_config_selectorIxN6thrust23THRUST_200600_302600_NS6detail10any_assignEEEZNS1_14transform_implILb0ES3_S9_NS7_15normal_iteratorINS6_10device_ptrIxEEEENS6_16discard_iteratorINS6_11use_defaultEEEZNS1_13binary_searchIS3_S9_SE_SE_SH_NS1_16binary_search_opENS7_16wrapped_functionINS0_4lessIvEEbEEEE10hipError_tPvRmT1_T2_T3_mmT4_T5_P12ihipStream_tbEUlRKxE_EESO_SS_ST_mSU_SX_bEUlT_E_NS1_11comp_targetILNS1_3genE3ELNS1_11target_archE908ELNS1_3gpuE7ELNS1_3repE0EEENS1_30default_config_static_selectorELNS0_4arch9wavefront6targetE0EEEvSR_,@function
_ZN7rocprim17ROCPRIM_400000_NS6detail17trampoline_kernelINS0_14default_configENS1_29binary_search_config_selectorIxN6thrust23THRUST_200600_302600_NS6detail10any_assignEEEZNS1_14transform_implILb0ES3_S9_NS7_15normal_iteratorINS6_10device_ptrIxEEEENS6_16discard_iteratorINS6_11use_defaultEEEZNS1_13binary_searchIS3_S9_SE_SE_SH_NS1_16binary_search_opENS7_16wrapped_functionINS0_4lessIvEEbEEEE10hipError_tPvRmT1_T2_T3_mmT4_T5_P12ihipStream_tbEUlRKxE_EESO_SS_ST_mSU_SX_bEUlT_E_NS1_11comp_targetILNS1_3genE3ELNS1_11target_archE908ELNS1_3gpuE7ELNS1_3repE0EEENS1_30default_config_static_selectorELNS0_4arch9wavefront6targetE0EEEvSR_: ; @_ZN7rocprim17ROCPRIM_400000_NS6detail17trampoline_kernelINS0_14default_configENS1_29binary_search_config_selectorIxN6thrust23THRUST_200600_302600_NS6detail10any_assignEEEZNS1_14transform_implILb0ES3_S9_NS7_15normal_iteratorINS6_10device_ptrIxEEEENS6_16discard_iteratorINS6_11use_defaultEEEZNS1_13binary_searchIS3_S9_SE_SE_SH_NS1_16binary_search_opENS7_16wrapped_functionINS0_4lessIvEEbEEEE10hipError_tPvRmT1_T2_T3_mmT4_T5_P12ihipStream_tbEUlRKxE_EESO_SS_ST_mSU_SX_bEUlT_E_NS1_11comp_targetILNS1_3genE3ELNS1_11target_archE908ELNS1_3gpuE7ELNS1_3repE0EEENS1_30default_config_static_selectorELNS0_4arch9wavefront6targetE0EEEvSR_
; %bb.0:
	.section	.rodata,"a",@progbits
	.p2align	6, 0x0
	.amdhsa_kernel _ZN7rocprim17ROCPRIM_400000_NS6detail17trampoline_kernelINS0_14default_configENS1_29binary_search_config_selectorIxN6thrust23THRUST_200600_302600_NS6detail10any_assignEEEZNS1_14transform_implILb0ES3_S9_NS7_15normal_iteratorINS6_10device_ptrIxEEEENS6_16discard_iteratorINS6_11use_defaultEEEZNS1_13binary_searchIS3_S9_SE_SE_SH_NS1_16binary_search_opENS7_16wrapped_functionINS0_4lessIvEEbEEEE10hipError_tPvRmT1_T2_T3_mmT4_T5_P12ihipStream_tbEUlRKxE_EESO_SS_ST_mSU_SX_bEUlT_E_NS1_11comp_targetILNS1_3genE3ELNS1_11target_archE908ELNS1_3gpuE7ELNS1_3repE0EEENS1_30default_config_static_selectorELNS0_4arch9wavefront6targetE0EEEvSR_
		.amdhsa_group_segment_fixed_size 0
		.amdhsa_private_segment_fixed_size 0
		.amdhsa_kernarg_size 64
		.amdhsa_user_sgpr_count 15
		.amdhsa_user_sgpr_dispatch_ptr 0
		.amdhsa_user_sgpr_queue_ptr 0
		.amdhsa_user_sgpr_kernarg_segment_ptr 1
		.amdhsa_user_sgpr_dispatch_id 0
		.amdhsa_user_sgpr_private_segment_size 0
		.amdhsa_wavefront_size32 1
		.amdhsa_uses_dynamic_stack 0
		.amdhsa_enable_private_segment 0
		.amdhsa_system_sgpr_workgroup_id_x 1
		.amdhsa_system_sgpr_workgroup_id_y 0
		.amdhsa_system_sgpr_workgroup_id_z 0
		.amdhsa_system_sgpr_workgroup_info 0
		.amdhsa_system_vgpr_workitem_id 0
		.amdhsa_next_free_vgpr 1
		.amdhsa_next_free_sgpr 1
		.amdhsa_reserve_vcc 0
		.amdhsa_float_round_mode_32 0
		.amdhsa_float_round_mode_16_64 0
		.amdhsa_float_denorm_mode_32 3
		.amdhsa_float_denorm_mode_16_64 3
		.amdhsa_dx10_clamp 1
		.amdhsa_ieee_mode 1
		.amdhsa_fp16_overflow 0
		.amdhsa_workgroup_processor_mode 1
		.amdhsa_memory_ordered 1
		.amdhsa_forward_progress 0
		.amdhsa_shared_vgpr_count 0
		.amdhsa_exception_fp_ieee_invalid_op 0
		.amdhsa_exception_fp_denorm_src 0
		.amdhsa_exception_fp_ieee_div_zero 0
		.amdhsa_exception_fp_ieee_overflow 0
		.amdhsa_exception_fp_ieee_underflow 0
		.amdhsa_exception_fp_ieee_inexact 0
		.amdhsa_exception_int_div_zero 0
	.end_amdhsa_kernel
	.section	.text._ZN7rocprim17ROCPRIM_400000_NS6detail17trampoline_kernelINS0_14default_configENS1_29binary_search_config_selectorIxN6thrust23THRUST_200600_302600_NS6detail10any_assignEEEZNS1_14transform_implILb0ES3_S9_NS7_15normal_iteratorINS6_10device_ptrIxEEEENS6_16discard_iteratorINS6_11use_defaultEEEZNS1_13binary_searchIS3_S9_SE_SE_SH_NS1_16binary_search_opENS7_16wrapped_functionINS0_4lessIvEEbEEEE10hipError_tPvRmT1_T2_T3_mmT4_T5_P12ihipStream_tbEUlRKxE_EESO_SS_ST_mSU_SX_bEUlT_E_NS1_11comp_targetILNS1_3genE3ELNS1_11target_archE908ELNS1_3gpuE7ELNS1_3repE0EEENS1_30default_config_static_selectorELNS0_4arch9wavefront6targetE0EEEvSR_,"axG",@progbits,_ZN7rocprim17ROCPRIM_400000_NS6detail17trampoline_kernelINS0_14default_configENS1_29binary_search_config_selectorIxN6thrust23THRUST_200600_302600_NS6detail10any_assignEEEZNS1_14transform_implILb0ES3_S9_NS7_15normal_iteratorINS6_10device_ptrIxEEEENS6_16discard_iteratorINS6_11use_defaultEEEZNS1_13binary_searchIS3_S9_SE_SE_SH_NS1_16binary_search_opENS7_16wrapped_functionINS0_4lessIvEEbEEEE10hipError_tPvRmT1_T2_T3_mmT4_T5_P12ihipStream_tbEUlRKxE_EESO_SS_ST_mSU_SX_bEUlT_E_NS1_11comp_targetILNS1_3genE3ELNS1_11target_archE908ELNS1_3gpuE7ELNS1_3repE0EEENS1_30default_config_static_selectorELNS0_4arch9wavefront6targetE0EEEvSR_,comdat
.Lfunc_end603:
	.size	_ZN7rocprim17ROCPRIM_400000_NS6detail17trampoline_kernelINS0_14default_configENS1_29binary_search_config_selectorIxN6thrust23THRUST_200600_302600_NS6detail10any_assignEEEZNS1_14transform_implILb0ES3_S9_NS7_15normal_iteratorINS6_10device_ptrIxEEEENS6_16discard_iteratorINS6_11use_defaultEEEZNS1_13binary_searchIS3_S9_SE_SE_SH_NS1_16binary_search_opENS7_16wrapped_functionINS0_4lessIvEEbEEEE10hipError_tPvRmT1_T2_T3_mmT4_T5_P12ihipStream_tbEUlRKxE_EESO_SS_ST_mSU_SX_bEUlT_E_NS1_11comp_targetILNS1_3genE3ELNS1_11target_archE908ELNS1_3gpuE7ELNS1_3repE0EEENS1_30default_config_static_selectorELNS0_4arch9wavefront6targetE0EEEvSR_, .Lfunc_end603-_ZN7rocprim17ROCPRIM_400000_NS6detail17trampoline_kernelINS0_14default_configENS1_29binary_search_config_selectorIxN6thrust23THRUST_200600_302600_NS6detail10any_assignEEEZNS1_14transform_implILb0ES3_S9_NS7_15normal_iteratorINS6_10device_ptrIxEEEENS6_16discard_iteratorINS6_11use_defaultEEEZNS1_13binary_searchIS3_S9_SE_SE_SH_NS1_16binary_search_opENS7_16wrapped_functionINS0_4lessIvEEbEEEE10hipError_tPvRmT1_T2_T3_mmT4_T5_P12ihipStream_tbEUlRKxE_EESO_SS_ST_mSU_SX_bEUlT_E_NS1_11comp_targetILNS1_3genE3ELNS1_11target_archE908ELNS1_3gpuE7ELNS1_3repE0EEENS1_30default_config_static_selectorELNS0_4arch9wavefront6targetE0EEEvSR_
                                        ; -- End function
	.section	.AMDGPU.csdata,"",@progbits
; Kernel info:
; codeLenInByte = 0
; NumSgprs: 0
; NumVgprs: 0
; ScratchSize: 0
; MemoryBound: 0
; FloatMode: 240
; IeeeMode: 1
; LDSByteSize: 0 bytes/workgroup (compile time only)
; SGPRBlocks: 0
; VGPRBlocks: 0
; NumSGPRsForWavesPerEU: 1
; NumVGPRsForWavesPerEU: 1
; Occupancy: 16
; WaveLimiterHint : 0
; COMPUTE_PGM_RSRC2:SCRATCH_EN: 0
; COMPUTE_PGM_RSRC2:USER_SGPR: 15
; COMPUTE_PGM_RSRC2:TRAP_HANDLER: 0
; COMPUTE_PGM_RSRC2:TGID_X_EN: 1
; COMPUTE_PGM_RSRC2:TGID_Y_EN: 0
; COMPUTE_PGM_RSRC2:TGID_Z_EN: 0
; COMPUTE_PGM_RSRC2:TIDIG_COMP_CNT: 0
	.section	.text._ZN7rocprim17ROCPRIM_400000_NS6detail17trampoline_kernelINS0_14default_configENS1_29binary_search_config_selectorIxN6thrust23THRUST_200600_302600_NS6detail10any_assignEEEZNS1_14transform_implILb0ES3_S9_NS7_15normal_iteratorINS6_10device_ptrIxEEEENS6_16discard_iteratorINS6_11use_defaultEEEZNS1_13binary_searchIS3_S9_SE_SE_SH_NS1_16binary_search_opENS7_16wrapped_functionINS0_4lessIvEEbEEEE10hipError_tPvRmT1_T2_T3_mmT4_T5_P12ihipStream_tbEUlRKxE_EESO_SS_ST_mSU_SX_bEUlT_E_NS1_11comp_targetILNS1_3genE2ELNS1_11target_archE906ELNS1_3gpuE6ELNS1_3repE0EEENS1_30default_config_static_selectorELNS0_4arch9wavefront6targetE0EEEvSR_,"axG",@progbits,_ZN7rocprim17ROCPRIM_400000_NS6detail17trampoline_kernelINS0_14default_configENS1_29binary_search_config_selectorIxN6thrust23THRUST_200600_302600_NS6detail10any_assignEEEZNS1_14transform_implILb0ES3_S9_NS7_15normal_iteratorINS6_10device_ptrIxEEEENS6_16discard_iteratorINS6_11use_defaultEEEZNS1_13binary_searchIS3_S9_SE_SE_SH_NS1_16binary_search_opENS7_16wrapped_functionINS0_4lessIvEEbEEEE10hipError_tPvRmT1_T2_T3_mmT4_T5_P12ihipStream_tbEUlRKxE_EESO_SS_ST_mSU_SX_bEUlT_E_NS1_11comp_targetILNS1_3genE2ELNS1_11target_archE906ELNS1_3gpuE6ELNS1_3repE0EEENS1_30default_config_static_selectorELNS0_4arch9wavefront6targetE0EEEvSR_,comdat
	.protected	_ZN7rocprim17ROCPRIM_400000_NS6detail17trampoline_kernelINS0_14default_configENS1_29binary_search_config_selectorIxN6thrust23THRUST_200600_302600_NS6detail10any_assignEEEZNS1_14transform_implILb0ES3_S9_NS7_15normal_iteratorINS6_10device_ptrIxEEEENS6_16discard_iteratorINS6_11use_defaultEEEZNS1_13binary_searchIS3_S9_SE_SE_SH_NS1_16binary_search_opENS7_16wrapped_functionINS0_4lessIvEEbEEEE10hipError_tPvRmT1_T2_T3_mmT4_T5_P12ihipStream_tbEUlRKxE_EESO_SS_ST_mSU_SX_bEUlT_E_NS1_11comp_targetILNS1_3genE2ELNS1_11target_archE906ELNS1_3gpuE6ELNS1_3repE0EEENS1_30default_config_static_selectorELNS0_4arch9wavefront6targetE0EEEvSR_ ; -- Begin function _ZN7rocprim17ROCPRIM_400000_NS6detail17trampoline_kernelINS0_14default_configENS1_29binary_search_config_selectorIxN6thrust23THRUST_200600_302600_NS6detail10any_assignEEEZNS1_14transform_implILb0ES3_S9_NS7_15normal_iteratorINS6_10device_ptrIxEEEENS6_16discard_iteratorINS6_11use_defaultEEEZNS1_13binary_searchIS3_S9_SE_SE_SH_NS1_16binary_search_opENS7_16wrapped_functionINS0_4lessIvEEbEEEE10hipError_tPvRmT1_T2_T3_mmT4_T5_P12ihipStream_tbEUlRKxE_EESO_SS_ST_mSU_SX_bEUlT_E_NS1_11comp_targetILNS1_3genE2ELNS1_11target_archE906ELNS1_3gpuE6ELNS1_3repE0EEENS1_30default_config_static_selectorELNS0_4arch9wavefront6targetE0EEEvSR_
	.globl	_ZN7rocprim17ROCPRIM_400000_NS6detail17trampoline_kernelINS0_14default_configENS1_29binary_search_config_selectorIxN6thrust23THRUST_200600_302600_NS6detail10any_assignEEEZNS1_14transform_implILb0ES3_S9_NS7_15normal_iteratorINS6_10device_ptrIxEEEENS6_16discard_iteratorINS6_11use_defaultEEEZNS1_13binary_searchIS3_S9_SE_SE_SH_NS1_16binary_search_opENS7_16wrapped_functionINS0_4lessIvEEbEEEE10hipError_tPvRmT1_T2_T3_mmT4_T5_P12ihipStream_tbEUlRKxE_EESO_SS_ST_mSU_SX_bEUlT_E_NS1_11comp_targetILNS1_3genE2ELNS1_11target_archE906ELNS1_3gpuE6ELNS1_3repE0EEENS1_30default_config_static_selectorELNS0_4arch9wavefront6targetE0EEEvSR_
	.p2align	8
	.type	_ZN7rocprim17ROCPRIM_400000_NS6detail17trampoline_kernelINS0_14default_configENS1_29binary_search_config_selectorIxN6thrust23THRUST_200600_302600_NS6detail10any_assignEEEZNS1_14transform_implILb0ES3_S9_NS7_15normal_iteratorINS6_10device_ptrIxEEEENS6_16discard_iteratorINS6_11use_defaultEEEZNS1_13binary_searchIS3_S9_SE_SE_SH_NS1_16binary_search_opENS7_16wrapped_functionINS0_4lessIvEEbEEEE10hipError_tPvRmT1_T2_T3_mmT4_T5_P12ihipStream_tbEUlRKxE_EESO_SS_ST_mSU_SX_bEUlT_E_NS1_11comp_targetILNS1_3genE2ELNS1_11target_archE906ELNS1_3gpuE6ELNS1_3repE0EEENS1_30default_config_static_selectorELNS0_4arch9wavefront6targetE0EEEvSR_,@function
_ZN7rocprim17ROCPRIM_400000_NS6detail17trampoline_kernelINS0_14default_configENS1_29binary_search_config_selectorIxN6thrust23THRUST_200600_302600_NS6detail10any_assignEEEZNS1_14transform_implILb0ES3_S9_NS7_15normal_iteratorINS6_10device_ptrIxEEEENS6_16discard_iteratorINS6_11use_defaultEEEZNS1_13binary_searchIS3_S9_SE_SE_SH_NS1_16binary_search_opENS7_16wrapped_functionINS0_4lessIvEEbEEEE10hipError_tPvRmT1_T2_T3_mmT4_T5_P12ihipStream_tbEUlRKxE_EESO_SS_ST_mSU_SX_bEUlT_E_NS1_11comp_targetILNS1_3genE2ELNS1_11target_archE906ELNS1_3gpuE6ELNS1_3repE0EEENS1_30default_config_static_selectorELNS0_4arch9wavefront6targetE0EEEvSR_: ; @_ZN7rocprim17ROCPRIM_400000_NS6detail17trampoline_kernelINS0_14default_configENS1_29binary_search_config_selectorIxN6thrust23THRUST_200600_302600_NS6detail10any_assignEEEZNS1_14transform_implILb0ES3_S9_NS7_15normal_iteratorINS6_10device_ptrIxEEEENS6_16discard_iteratorINS6_11use_defaultEEEZNS1_13binary_searchIS3_S9_SE_SE_SH_NS1_16binary_search_opENS7_16wrapped_functionINS0_4lessIvEEbEEEE10hipError_tPvRmT1_T2_T3_mmT4_T5_P12ihipStream_tbEUlRKxE_EESO_SS_ST_mSU_SX_bEUlT_E_NS1_11comp_targetILNS1_3genE2ELNS1_11target_archE906ELNS1_3gpuE6ELNS1_3repE0EEENS1_30default_config_static_selectorELNS0_4arch9wavefront6targetE0EEEvSR_
; %bb.0:
	.section	.rodata,"a",@progbits
	.p2align	6, 0x0
	.amdhsa_kernel _ZN7rocprim17ROCPRIM_400000_NS6detail17trampoline_kernelINS0_14default_configENS1_29binary_search_config_selectorIxN6thrust23THRUST_200600_302600_NS6detail10any_assignEEEZNS1_14transform_implILb0ES3_S9_NS7_15normal_iteratorINS6_10device_ptrIxEEEENS6_16discard_iteratorINS6_11use_defaultEEEZNS1_13binary_searchIS3_S9_SE_SE_SH_NS1_16binary_search_opENS7_16wrapped_functionINS0_4lessIvEEbEEEE10hipError_tPvRmT1_T2_T3_mmT4_T5_P12ihipStream_tbEUlRKxE_EESO_SS_ST_mSU_SX_bEUlT_E_NS1_11comp_targetILNS1_3genE2ELNS1_11target_archE906ELNS1_3gpuE6ELNS1_3repE0EEENS1_30default_config_static_selectorELNS0_4arch9wavefront6targetE0EEEvSR_
		.amdhsa_group_segment_fixed_size 0
		.amdhsa_private_segment_fixed_size 0
		.amdhsa_kernarg_size 64
		.amdhsa_user_sgpr_count 15
		.amdhsa_user_sgpr_dispatch_ptr 0
		.amdhsa_user_sgpr_queue_ptr 0
		.amdhsa_user_sgpr_kernarg_segment_ptr 1
		.amdhsa_user_sgpr_dispatch_id 0
		.amdhsa_user_sgpr_private_segment_size 0
		.amdhsa_wavefront_size32 1
		.amdhsa_uses_dynamic_stack 0
		.amdhsa_enable_private_segment 0
		.amdhsa_system_sgpr_workgroup_id_x 1
		.amdhsa_system_sgpr_workgroup_id_y 0
		.amdhsa_system_sgpr_workgroup_id_z 0
		.amdhsa_system_sgpr_workgroup_info 0
		.amdhsa_system_vgpr_workitem_id 0
		.amdhsa_next_free_vgpr 1
		.amdhsa_next_free_sgpr 1
		.amdhsa_reserve_vcc 0
		.amdhsa_float_round_mode_32 0
		.amdhsa_float_round_mode_16_64 0
		.amdhsa_float_denorm_mode_32 3
		.amdhsa_float_denorm_mode_16_64 3
		.amdhsa_dx10_clamp 1
		.amdhsa_ieee_mode 1
		.amdhsa_fp16_overflow 0
		.amdhsa_workgroup_processor_mode 1
		.amdhsa_memory_ordered 1
		.amdhsa_forward_progress 0
		.amdhsa_shared_vgpr_count 0
		.amdhsa_exception_fp_ieee_invalid_op 0
		.amdhsa_exception_fp_denorm_src 0
		.amdhsa_exception_fp_ieee_div_zero 0
		.amdhsa_exception_fp_ieee_overflow 0
		.amdhsa_exception_fp_ieee_underflow 0
		.amdhsa_exception_fp_ieee_inexact 0
		.amdhsa_exception_int_div_zero 0
	.end_amdhsa_kernel
	.section	.text._ZN7rocprim17ROCPRIM_400000_NS6detail17trampoline_kernelINS0_14default_configENS1_29binary_search_config_selectorIxN6thrust23THRUST_200600_302600_NS6detail10any_assignEEEZNS1_14transform_implILb0ES3_S9_NS7_15normal_iteratorINS6_10device_ptrIxEEEENS6_16discard_iteratorINS6_11use_defaultEEEZNS1_13binary_searchIS3_S9_SE_SE_SH_NS1_16binary_search_opENS7_16wrapped_functionINS0_4lessIvEEbEEEE10hipError_tPvRmT1_T2_T3_mmT4_T5_P12ihipStream_tbEUlRKxE_EESO_SS_ST_mSU_SX_bEUlT_E_NS1_11comp_targetILNS1_3genE2ELNS1_11target_archE906ELNS1_3gpuE6ELNS1_3repE0EEENS1_30default_config_static_selectorELNS0_4arch9wavefront6targetE0EEEvSR_,"axG",@progbits,_ZN7rocprim17ROCPRIM_400000_NS6detail17trampoline_kernelINS0_14default_configENS1_29binary_search_config_selectorIxN6thrust23THRUST_200600_302600_NS6detail10any_assignEEEZNS1_14transform_implILb0ES3_S9_NS7_15normal_iteratorINS6_10device_ptrIxEEEENS6_16discard_iteratorINS6_11use_defaultEEEZNS1_13binary_searchIS3_S9_SE_SE_SH_NS1_16binary_search_opENS7_16wrapped_functionINS0_4lessIvEEbEEEE10hipError_tPvRmT1_T2_T3_mmT4_T5_P12ihipStream_tbEUlRKxE_EESO_SS_ST_mSU_SX_bEUlT_E_NS1_11comp_targetILNS1_3genE2ELNS1_11target_archE906ELNS1_3gpuE6ELNS1_3repE0EEENS1_30default_config_static_selectorELNS0_4arch9wavefront6targetE0EEEvSR_,comdat
.Lfunc_end604:
	.size	_ZN7rocprim17ROCPRIM_400000_NS6detail17trampoline_kernelINS0_14default_configENS1_29binary_search_config_selectorIxN6thrust23THRUST_200600_302600_NS6detail10any_assignEEEZNS1_14transform_implILb0ES3_S9_NS7_15normal_iteratorINS6_10device_ptrIxEEEENS6_16discard_iteratorINS6_11use_defaultEEEZNS1_13binary_searchIS3_S9_SE_SE_SH_NS1_16binary_search_opENS7_16wrapped_functionINS0_4lessIvEEbEEEE10hipError_tPvRmT1_T2_T3_mmT4_T5_P12ihipStream_tbEUlRKxE_EESO_SS_ST_mSU_SX_bEUlT_E_NS1_11comp_targetILNS1_3genE2ELNS1_11target_archE906ELNS1_3gpuE6ELNS1_3repE0EEENS1_30default_config_static_selectorELNS0_4arch9wavefront6targetE0EEEvSR_, .Lfunc_end604-_ZN7rocprim17ROCPRIM_400000_NS6detail17trampoline_kernelINS0_14default_configENS1_29binary_search_config_selectorIxN6thrust23THRUST_200600_302600_NS6detail10any_assignEEEZNS1_14transform_implILb0ES3_S9_NS7_15normal_iteratorINS6_10device_ptrIxEEEENS6_16discard_iteratorINS6_11use_defaultEEEZNS1_13binary_searchIS3_S9_SE_SE_SH_NS1_16binary_search_opENS7_16wrapped_functionINS0_4lessIvEEbEEEE10hipError_tPvRmT1_T2_T3_mmT4_T5_P12ihipStream_tbEUlRKxE_EESO_SS_ST_mSU_SX_bEUlT_E_NS1_11comp_targetILNS1_3genE2ELNS1_11target_archE906ELNS1_3gpuE6ELNS1_3repE0EEENS1_30default_config_static_selectorELNS0_4arch9wavefront6targetE0EEEvSR_
                                        ; -- End function
	.section	.AMDGPU.csdata,"",@progbits
; Kernel info:
; codeLenInByte = 0
; NumSgprs: 0
; NumVgprs: 0
; ScratchSize: 0
; MemoryBound: 0
; FloatMode: 240
; IeeeMode: 1
; LDSByteSize: 0 bytes/workgroup (compile time only)
; SGPRBlocks: 0
; VGPRBlocks: 0
; NumSGPRsForWavesPerEU: 1
; NumVGPRsForWavesPerEU: 1
; Occupancy: 16
; WaveLimiterHint : 0
; COMPUTE_PGM_RSRC2:SCRATCH_EN: 0
; COMPUTE_PGM_RSRC2:USER_SGPR: 15
; COMPUTE_PGM_RSRC2:TRAP_HANDLER: 0
; COMPUTE_PGM_RSRC2:TGID_X_EN: 1
; COMPUTE_PGM_RSRC2:TGID_Y_EN: 0
; COMPUTE_PGM_RSRC2:TGID_Z_EN: 0
; COMPUTE_PGM_RSRC2:TIDIG_COMP_CNT: 0
	.section	.text._ZN7rocprim17ROCPRIM_400000_NS6detail17trampoline_kernelINS0_14default_configENS1_29binary_search_config_selectorIxN6thrust23THRUST_200600_302600_NS6detail10any_assignEEEZNS1_14transform_implILb0ES3_S9_NS7_15normal_iteratorINS6_10device_ptrIxEEEENS6_16discard_iteratorINS6_11use_defaultEEEZNS1_13binary_searchIS3_S9_SE_SE_SH_NS1_16binary_search_opENS7_16wrapped_functionINS0_4lessIvEEbEEEE10hipError_tPvRmT1_T2_T3_mmT4_T5_P12ihipStream_tbEUlRKxE_EESO_SS_ST_mSU_SX_bEUlT_E_NS1_11comp_targetILNS1_3genE10ELNS1_11target_archE1201ELNS1_3gpuE5ELNS1_3repE0EEENS1_30default_config_static_selectorELNS0_4arch9wavefront6targetE0EEEvSR_,"axG",@progbits,_ZN7rocprim17ROCPRIM_400000_NS6detail17trampoline_kernelINS0_14default_configENS1_29binary_search_config_selectorIxN6thrust23THRUST_200600_302600_NS6detail10any_assignEEEZNS1_14transform_implILb0ES3_S9_NS7_15normal_iteratorINS6_10device_ptrIxEEEENS6_16discard_iteratorINS6_11use_defaultEEEZNS1_13binary_searchIS3_S9_SE_SE_SH_NS1_16binary_search_opENS7_16wrapped_functionINS0_4lessIvEEbEEEE10hipError_tPvRmT1_T2_T3_mmT4_T5_P12ihipStream_tbEUlRKxE_EESO_SS_ST_mSU_SX_bEUlT_E_NS1_11comp_targetILNS1_3genE10ELNS1_11target_archE1201ELNS1_3gpuE5ELNS1_3repE0EEENS1_30default_config_static_selectorELNS0_4arch9wavefront6targetE0EEEvSR_,comdat
	.protected	_ZN7rocprim17ROCPRIM_400000_NS6detail17trampoline_kernelINS0_14default_configENS1_29binary_search_config_selectorIxN6thrust23THRUST_200600_302600_NS6detail10any_assignEEEZNS1_14transform_implILb0ES3_S9_NS7_15normal_iteratorINS6_10device_ptrIxEEEENS6_16discard_iteratorINS6_11use_defaultEEEZNS1_13binary_searchIS3_S9_SE_SE_SH_NS1_16binary_search_opENS7_16wrapped_functionINS0_4lessIvEEbEEEE10hipError_tPvRmT1_T2_T3_mmT4_T5_P12ihipStream_tbEUlRKxE_EESO_SS_ST_mSU_SX_bEUlT_E_NS1_11comp_targetILNS1_3genE10ELNS1_11target_archE1201ELNS1_3gpuE5ELNS1_3repE0EEENS1_30default_config_static_selectorELNS0_4arch9wavefront6targetE0EEEvSR_ ; -- Begin function _ZN7rocprim17ROCPRIM_400000_NS6detail17trampoline_kernelINS0_14default_configENS1_29binary_search_config_selectorIxN6thrust23THRUST_200600_302600_NS6detail10any_assignEEEZNS1_14transform_implILb0ES3_S9_NS7_15normal_iteratorINS6_10device_ptrIxEEEENS6_16discard_iteratorINS6_11use_defaultEEEZNS1_13binary_searchIS3_S9_SE_SE_SH_NS1_16binary_search_opENS7_16wrapped_functionINS0_4lessIvEEbEEEE10hipError_tPvRmT1_T2_T3_mmT4_T5_P12ihipStream_tbEUlRKxE_EESO_SS_ST_mSU_SX_bEUlT_E_NS1_11comp_targetILNS1_3genE10ELNS1_11target_archE1201ELNS1_3gpuE5ELNS1_3repE0EEENS1_30default_config_static_selectorELNS0_4arch9wavefront6targetE0EEEvSR_
	.globl	_ZN7rocprim17ROCPRIM_400000_NS6detail17trampoline_kernelINS0_14default_configENS1_29binary_search_config_selectorIxN6thrust23THRUST_200600_302600_NS6detail10any_assignEEEZNS1_14transform_implILb0ES3_S9_NS7_15normal_iteratorINS6_10device_ptrIxEEEENS6_16discard_iteratorINS6_11use_defaultEEEZNS1_13binary_searchIS3_S9_SE_SE_SH_NS1_16binary_search_opENS7_16wrapped_functionINS0_4lessIvEEbEEEE10hipError_tPvRmT1_T2_T3_mmT4_T5_P12ihipStream_tbEUlRKxE_EESO_SS_ST_mSU_SX_bEUlT_E_NS1_11comp_targetILNS1_3genE10ELNS1_11target_archE1201ELNS1_3gpuE5ELNS1_3repE0EEENS1_30default_config_static_selectorELNS0_4arch9wavefront6targetE0EEEvSR_
	.p2align	8
	.type	_ZN7rocprim17ROCPRIM_400000_NS6detail17trampoline_kernelINS0_14default_configENS1_29binary_search_config_selectorIxN6thrust23THRUST_200600_302600_NS6detail10any_assignEEEZNS1_14transform_implILb0ES3_S9_NS7_15normal_iteratorINS6_10device_ptrIxEEEENS6_16discard_iteratorINS6_11use_defaultEEEZNS1_13binary_searchIS3_S9_SE_SE_SH_NS1_16binary_search_opENS7_16wrapped_functionINS0_4lessIvEEbEEEE10hipError_tPvRmT1_T2_T3_mmT4_T5_P12ihipStream_tbEUlRKxE_EESO_SS_ST_mSU_SX_bEUlT_E_NS1_11comp_targetILNS1_3genE10ELNS1_11target_archE1201ELNS1_3gpuE5ELNS1_3repE0EEENS1_30default_config_static_selectorELNS0_4arch9wavefront6targetE0EEEvSR_,@function
_ZN7rocprim17ROCPRIM_400000_NS6detail17trampoline_kernelINS0_14default_configENS1_29binary_search_config_selectorIxN6thrust23THRUST_200600_302600_NS6detail10any_assignEEEZNS1_14transform_implILb0ES3_S9_NS7_15normal_iteratorINS6_10device_ptrIxEEEENS6_16discard_iteratorINS6_11use_defaultEEEZNS1_13binary_searchIS3_S9_SE_SE_SH_NS1_16binary_search_opENS7_16wrapped_functionINS0_4lessIvEEbEEEE10hipError_tPvRmT1_T2_T3_mmT4_T5_P12ihipStream_tbEUlRKxE_EESO_SS_ST_mSU_SX_bEUlT_E_NS1_11comp_targetILNS1_3genE10ELNS1_11target_archE1201ELNS1_3gpuE5ELNS1_3repE0EEENS1_30default_config_static_selectorELNS0_4arch9wavefront6targetE0EEEvSR_: ; @_ZN7rocprim17ROCPRIM_400000_NS6detail17trampoline_kernelINS0_14default_configENS1_29binary_search_config_selectorIxN6thrust23THRUST_200600_302600_NS6detail10any_assignEEEZNS1_14transform_implILb0ES3_S9_NS7_15normal_iteratorINS6_10device_ptrIxEEEENS6_16discard_iteratorINS6_11use_defaultEEEZNS1_13binary_searchIS3_S9_SE_SE_SH_NS1_16binary_search_opENS7_16wrapped_functionINS0_4lessIvEEbEEEE10hipError_tPvRmT1_T2_T3_mmT4_T5_P12ihipStream_tbEUlRKxE_EESO_SS_ST_mSU_SX_bEUlT_E_NS1_11comp_targetILNS1_3genE10ELNS1_11target_archE1201ELNS1_3gpuE5ELNS1_3repE0EEENS1_30default_config_static_selectorELNS0_4arch9wavefront6targetE0EEEvSR_
; %bb.0:
	.section	.rodata,"a",@progbits
	.p2align	6, 0x0
	.amdhsa_kernel _ZN7rocprim17ROCPRIM_400000_NS6detail17trampoline_kernelINS0_14default_configENS1_29binary_search_config_selectorIxN6thrust23THRUST_200600_302600_NS6detail10any_assignEEEZNS1_14transform_implILb0ES3_S9_NS7_15normal_iteratorINS6_10device_ptrIxEEEENS6_16discard_iteratorINS6_11use_defaultEEEZNS1_13binary_searchIS3_S9_SE_SE_SH_NS1_16binary_search_opENS7_16wrapped_functionINS0_4lessIvEEbEEEE10hipError_tPvRmT1_T2_T3_mmT4_T5_P12ihipStream_tbEUlRKxE_EESO_SS_ST_mSU_SX_bEUlT_E_NS1_11comp_targetILNS1_3genE10ELNS1_11target_archE1201ELNS1_3gpuE5ELNS1_3repE0EEENS1_30default_config_static_selectorELNS0_4arch9wavefront6targetE0EEEvSR_
		.amdhsa_group_segment_fixed_size 0
		.amdhsa_private_segment_fixed_size 0
		.amdhsa_kernarg_size 64
		.amdhsa_user_sgpr_count 15
		.amdhsa_user_sgpr_dispatch_ptr 0
		.amdhsa_user_sgpr_queue_ptr 0
		.amdhsa_user_sgpr_kernarg_segment_ptr 1
		.amdhsa_user_sgpr_dispatch_id 0
		.amdhsa_user_sgpr_private_segment_size 0
		.amdhsa_wavefront_size32 1
		.amdhsa_uses_dynamic_stack 0
		.amdhsa_enable_private_segment 0
		.amdhsa_system_sgpr_workgroup_id_x 1
		.amdhsa_system_sgpr_workgroup_id_y 0
		.amdhsa_system_sgpr_workgroup_id_z 0
		.amdhsa_system_sgpr_workgroup_info 0
		.amdhsa_system_vgpr_workitem_id 0
		.amdhsa_next_free_vgpr 1
		.amdhsa_next_free_sgpr 1
		.amdhsa_reserve_vcc 0
		.amdhsa_float_round_mode_32 0
		.amdhsa_float_round_mode_16_64 0
		.amdhsa_float_denorm_mode_32 3
		.amdhsa_float_denorm_mode_16_64 3
		.amdhsa_dx10_clamp 1
		.amdhsa_ieee_mode 1
		.amdhsa_fp16_overflow 0
		.amdhsa_workgroup_processor_mode 1
		.amdhsa_memory_ordered 1
		.amdhsa_forward_progress 0
		.amdhsa_shared_vgpr_count 0
		.amdhsa_exception_fp_ieee_invalid_op 0
		.amdhsa_exception_fp_denorm_src 0
		.amdhsa_exception_fp_ieee_div_zero 0
		.amdhsa_exception_fp_ieee_overflow 0
		.amdhsa_exception_fp_ieee_underflow 0
		.amdhsa_exception_fp_ieee_inexact 0
		.amdhsa_exception_int_div_zero 0
	.end_amdhsa_kernel
	.section	.text._ZN7rocprim17ROCPRIM_400000_NS6detail17trampoline_kernelINS0_14default_configENS1_29binary_search_config_selectorIxN6thrust23THRUST_200600_302600_NS6detail10any_assignEEEZNS1_14transform_implILb0ES3_S9_NS7_15normal_iteratorINS6_10device_ptrIxEEEENS6_16discard_iteratorINS6_11use_defaultEEEZNS1_13binary_searchIS3_S9_SE_SE_SH_NS1_16binary_search_opENS7_16wrapped_functionINS0_4lessIvEEbEEEE10hipError_tPvRmT1_T2_T3_mmT4_T5_P12ihipStream_tbEUlRKxE_EESO_SS_ST_mSU_SX_bEUlT_E_NS1_11comp_targetILNS1_3genE10ELNS1_11target_archE1201ELNS1_3gpuE5ELNS1_3repE0EEENS1_30default_config_static_selectorELNS0_4arch9wavefront6targetE0EEEvSR_,"axG",@progbits,_ZN7rocprim17ROCPRIM_400000_NS6detail17trampoline_kernelINS0_14default_configENS1_29binary_search_config_selectorIxN6thrust23THRUST_200600_302600_NS6detail10any_assignEEEZNS1_14transform_implILb0ES3_S9_NS7_15normal_iteratorINS6_10device_ptrIxEEEENS6_16discard_iteratorINS6_11use_defaultEEEZNS1_13binary_searchIS3_S9_SE_SE_SH_NS1_16binary_search_opENS7_16wrapped_functionINS0_4lessIvEEbEEEE10hipError_tPvRmT1_T2_T3_mmT4_T5_P12ihipStream_tbEUlRKxE_EESO_SS_ST_mSU_SX_bEUlT_E_NS1_11comp_targetILNS1_3genE10ELNS1_11target_archE1201ELNS1_3gpuE5ELNS1_3repE0EEENS1_30default_config_static_selectorELNS0_4arch9wavefront6targetE0EEEvSR_,comdat
.Lfunc_end605:
	.size	_ZN7rocprim17ROCPRIM_400000_NS6detail17trampoline_kernelINS0_14default_configENS1_29binary_search_config_selectorIxN6thrust23THRUST_200600_302600_NS6detail10any_assignEEEZNS1_14transform_implILb0ES3_S9_NS7_15normal_iteratorINS6_10device_ptrIxEEEENS6_16discard_iteratorINS6_11use_defaultEEEZNS1_13binary_searchIS3_S9_SE_SE_SH_NS1_16binary_search_opENS7_16wrapped_functionINS0_4lessIvEEbEEEE10hipError_tPvRmT1_T2_T3_mmT4_T5_P12ihipStream_tbEUlRKxE_EESO_SS_ST_mSU_SX_bEUlT_E_NS1_11comp_targetILNS1_3genE10ELNS1_11target_archE1201ELNS1_3gpuE5ELNS1_3repE0EEENS1_30default_config_static_selectorELNS0_4arch9wavefront6targetE0EEEvSR_, .Lfunc_end605-_ZN7rocprim17ROCPRIM_400000_NS6detail17trampoline_kernelINS0_14default_configENS1_29binary_search_config_selectorIxN6thrust23THRUST_200600_302600_NS6detail10any_assignEEEZNS1_14transform_implILb0ES3_S9_NS7_15normal_iteratorINS6_10device_ptrIxEEEENS6_16discard_iteratorINS6_11use_defaultEEEZNS1_13binary_searchIS3_S9_SE_SE_SH_NS1_16binary_search_opENS7_16wrapped_functionINS0_4lessIvEEbEEEE10hipError_tPvRmT1_T2_T3_mmT4_T5_P12ihipStream_tbEUlRKxE_EESO_SS_ST_mSU_SX_bEUlT_E_NS1_11comp_targetILNS1_3genE10ELNS1_11target_archE1201ELNS1_3gpuE5ELNS1_3repE0EEENS1_30default_config_static_selectorELNS0_4arch9wavefront6targetE0EEEvSR_
                                        ; -- End function
	.section	.AMDGPU.csdata,"",@progbits
; Kernel info:
; codeLenInByte = 0
; NumSgprs: 0
; NumVgprs: 0
; ScratchSize: 0
; MemoryBound: 0
; FloatMode: 240
; IeeeMode: 1
; LDSByteSize: 0 bytes/workgroup (compile time only)
; SGPRBlocks: 0
; VGPRBlocks: 0
; NumSGPRsForWavesPerEU: 1
; NumVGPRsForWavesPerEU: 1
; Occupancy: 16
; WaveLimiterHint : 0
; COMPUTE_PGM_RSRC2:SCRATCH_EN: 0
; COMPUTE_PGM_RSRC2:USER_SGPR: 15
; COMPUTE_PGM_RSRC2:TRAP_HANDLER: 0
; COMPUTE_PGM_RSRC2:TGID_X_EN: 1
; COMPUTE_PGM_RSRC2:TGID_Y_EN: 0
; COMPUTE_PGM_RSRC2:TGID_Z_EN: 0
; COMPUTE_PGM_RSRC2:TIDIG_COMP_CNT: 0
	.section	.text._ZN7rocprim17ROCPRIM_400000_NS6detail17trampoline_kernelINS0_14default_configENS1_29binary_search_config_selectorIxN6thrust23THRUST_200600_302600_NS6detail10any_assignEEEZNS1_14transform_implILb0ES3_S9_NS7_15normal_iteratorINS6_10device_ptrIxEEEENS6_16discard_iteratorINS6_11use_defaultEEEZNS1_13binary_searchIS3_S9_SE_SE_SH_NS1_16binary_search_opENS7_16wrapped_functionINS0_4lessIvEEbEEEE10hipError_tPvRmT1_T2_T3_mmT4_T5_P12ihipStream_tbEUlRKxE_EESO_SS_ST_mSU_SX_bEUlT_E_NS1_11comp_targetILNS1_3genE10ELNS1_11target_archE1200ELNS1_3gpuE4ELNS1_3repE0EEENS1_30default_config_static_selectorELNS0_4arch9wavefront6targetE0EEEvSR_,"axG",@progbits,_ZN7rocprim17ROCPRIM_400000_NS6detail17trampoline_kernelINS0_14default_configENS1_29binary_search_config_selectorIxN6thrust23THRUST_200600_302600_NS6detail10any_assignEEEZNS1_14transform_implILb0ES3_S9_NS7_15normal_iteratorINS6_10device_ptrIxEEEENS6_16discard_iteratorINS6_11use_defaultEEEZNS1_13binary_searchIS3_S9_SE_SE_SH_NS1_16binary_search_opENS7_16wrapped_functionINS0_4lessIvEEbEEEE10hipError_tPvRmT1_T2_T3_mmT4_T5_P12ihipStream_tbEUlRKxE_EESO_SS_ST_mSU_SX_bEUlT_E_NS1_11comp_targetILNS1_3genE10ELNS1_11target_archE1200ELNS1_3gpuE4ELNS1_3repE0EEENS1_30default_config_static_selectorELNS0_4arch9wavefront6targetE0EEEvSR_,comdat
	.protected	_ZN7rocprim17ROCPRIM_400000_NS6detail17trampoline_kernelINS0_14default_configENS1_29binary_search_config_selectorIxN6thrust23THRUST_200600_302600_NS6detail10any_assignEEEZNS1_14transform_implILb0ES3_S9_NS7_15normal_iteratorINS6_10device_ptrIxEEEENS6_16discard_iteratorINS6_11use_defaultEEEZNS1_13binary_searchIS3_S9_SE_SE_SH_NS1_16binary_search_opENS7_16wrapped_functionINS0_4lessIvEEbEEEE10hipError_tPvRmT1_T2_T3_mmT4_T5_P12ihipStream_tbEUlRKxE_EESO_SS_ST_mSU_SX_bEUlT_E_NS1_11comp_targetILNS1_3genE10ELNS1_11target_archE1200ELNS1_3gpuE4ELNS1_3repE0EEENS1_30default_config_static_selectorELNS0_4arch9wavefront6targetE0EEEvSR_ ; -- Begin function _ZN7rocprim17ROCPRIM_400000_NS6detail17trampoline_kernelINS0_14default_configENS1_29binary_search_config_selectorIxN6thrust23THRUST_200600_302600_NS6detail10any_assignEEEZNS1_14transform_implILb0ES3_S9_NS7_15normal_iteratorINS6_10device_ptrIxEEEENS6_16discard_iteratorINS6_11use_defaultEEEZNS1_13binary_searchIS3_S9_SE_SE_SH_NS1_16binary_search_opENS7_16wrapped_functionINS0_4lessIvEEbEEEE10hipError_tPvRmT1_T2_T3_mmT4_T5_P12ihipStream_tbEUlRKxE_EESO_SS_ST_mSU_SX_bEUlT_E_NS1_11comp_targetILNS1_3genE10ELNS1_11target_archE1200ELNS1_3gpuE4ELNS1_3repE0EEENS1_30default_config_static_selectorELNS0_4arch9wavefront6targetE0EEEvSR_
	.globl	_ZN7rocprim17ROCPRIM_400000_NS6detail17trampoline_kernelINS0_14default_configENS1_29binary_search_config_selectorIxN6thrust23THRUST_200600_302600_NS6detail10any_assignEEEZNS1_14transform_implILb0ES3_S9_NS7_15normal_iteratorINS6_10device_ptrIxEEEENS6_16discard_iteratorINS6_11use_defaultEEEZNS1_13binary_searchIS3_S9_SE_SE_SH_NS1_16binary_search_opENS7_16wrapped_functionINS0_4lessIvEEbEEEE10hipError_tPvRmT1_T2_T3_mmT4_T5_P12ihipStream_tbEUlRKxE_EESO_SS_ST_mSU_SX_bEUlT_E_NS1_11comp_targetILNS1_3genE10ELNS1_11target_archE1200ELNS1_3gpuE4ELNS1_3repE0EEENS1_30default_config_static_selectorELNS0_4arch9wavefront6targetE0EEEvSR_
	.p2align	8
	.type	_ZN7rocprim17ROCPRIM_400000_NS6detail17trampoline_kernelINS0_14default_configENS1_29binary_search_config_selectorIxN6thrust23THRUST_200600_302600_NS6detail10any_assignEEEZNS1_14transform_implILb0ES3_S9_NS7_15normal_iteratorINS6_10device_ptrIxEEEENS6_16discard_iteratorINS6_11use_defaultEEEZNS1_13binary_searchIS3_S9_SE_SE_SH_NS1_16binary_search_opENS7_16wrapped_functionINS0_4lessIvEEbEEEE10hipError_tPvRmT1_T2_T3_mmT4_T5_P12ihipStream_tbEUlRKxE_EESO_SS_ST_mSU_SX_bEUlT_E_NS1_11comp_targetILNS1_3genE10ELNS1_11target_archE1200ELNS1_3gpuE4ELNS1_3repE0EEENS1_30default_config_static_selectorELNS0_4arch9wavefront6targetE0EEEvSR_,@function
_ZN7rocprim17ROCPRIM_400000_NS6detail17trampoline_kernelINS0_14default_configENS1_29binary_search_config_selectorIxN6thrust23THRUST_200600_302600_NS6detail10any_assignEEEZNS1_14transform_implILb0ES3_S9_NS7_15normal_iteratorINS6_10device_ptrIxEEEENS6_16discard_iteratorINS6_11use_defaultEEEZNS1_13binary_searchIS3_S9_SE_SE_SH_NS1_16binary_search_opENS7_16wrapped_functionINS0_4lessIvEEbEEEE10hipError_tPvRmT1_T2_T3_mmT4_T5_P12ihipStream_tbEUlRKxE_EESO_SS_ST_mSU_SX_bEUlT_E_NS1_11comp_targetILNS1_3genE10ELNS1_11target_archE1200ELNS1_3gpuE4ELNS1_3repE0EEENS1_30default_config_static_selectorELNS0_4arch9wavefront6targetE0EEEvSR_: ; @_ZN7rocprim17ROCPRIM_400000_NS6detail17trampoline_kernelINS0_14default_configENS1_29binary_search_config_selectorIxN6thrust23THRUST_200600_302600_NS6detail10any_assignEEEZNS1_14transform_implILb0ES3_S9_NS7_15normal_iteratorINS6_10device_ptrIxEEEENS6_16discard_iteratorINS6_11use_defaultEEEZNS1_13binary_searchIS3_S9_SE_SE_SH_NS1_16binary_search_opENS7_16wrapped_functionINS0_4lessIvEEbEEEE10hipError_tPvRmT1_T2_T3_mmT4_T5_P12ihipStream_tbEUlRKxE_EESO_SS_ST_mSU_SX_bEUlT_E_NS1_11comp_targetILNS1_3genE10ELNS1_11target_archE1200ELNS1_3gpuE4ELNS1_3repE0EEENS1_30default_config_static_selectorELNS0_4arch9wavefront6targetE0EEEvSR_
; %bb.0:
	.section	.rodata,"a",@progbits
	.p2align	6, 0x0
	.amdhsa_kernel _ZN7rocprim17ROCPRIM_400000_NS6detail17trampoline_kernelINS0_14default_configENS1_29binary_search_config_selectorIxN6thrust23THRUST_200600_302600_NS6detail10any_assignEEEZNS1_14transform_implILb0ES3_S9_NS7_15normal_iteratorINS6_10device_ptrIxEEEENS6_16discard_iteratorINS6_11use_defaultEEEZNS1_13binary_searchIS3_S9_SE_SE_SH_NS1_16binary_search_opENS7_16wrapped_functionINS0_4lessIvEEbEEEE10hipError_tPvRmT1_T2_T3_mmT4_T5_P12ihipStream_tbEUlRKxE_EESO_SS_ST_mSU_SX_bEUlT_E_NS1_11comp_targetILNS1_3genE10ELNS1_11target_archE1200ELNS1_3gpuE4ELNS1_3repE0EEENS1_30default_config_static_selectorELNS0_4arch9wavefront6targetE0EEEvSR_
		.amdhsa_group_segment_fixed_size 0
		.amdhsa_private_segment_fixed_size 0
		.amdhsa_kernarg_size 64
		.amdhsa_user_sgpr_count 15
		.amdhsa_user_sgpr_dispatch_ptr 0
		.amdhsa_user_sgpr_queue_ptr 0
		.amdhsa_user_sgpr_kernarg_segment_ptr 1
		.amdhsa_user_sgpr_dispatch_id 0
		.amdhsa_user_sgpr_private_segment_size 0
		.amdhsa_wavefront_size32 1
		.amdhsa_uses_dynamic_stack 0
		.amdhsa_enable_private_segment 0
		.amdhsa_system_sgpr_workgroup_id_x 1
		.amdhsa_system_sgpr_workgroup_id_y 0
		.amdhsa_system_sgpr_workgroup_id_z 0
		.amdhsa_system_sgpr_workgroup_info 0
		.amdhsa_system_vgpr_workitem_id 0
		.amdhsa_next_free_vgpr 1
		.amdhsa_next_free_sgpr 1
		.amdhsa_reserve_vcc 0
		.amdhsa_float_round_mode_32 0
		.amdhsa_float_round_mode_16_64 0
		.amdhsa_float_denorm_mode_32 3
		.amdhsa_float_denorm_mode_16_64 3
		.amdhsa_dx10_clamp 1
		.amdhsa_ieee_mode 1
		.amdhsa_fp16_overflow 0
		.amdhsa_workgroup_processor_mode 1
		.amdhsa_memory_ordered 1
		.amdhsa_forward_progress 0
		.amdhsa_shared_vgpr_count 0
		.amdhsa_exception_fp_ieee_invalid_op 0
		.amdhsa_exception_fp_denorm_src 0
		.amdhsa_exception_fp_ieee_div_zero 0
		.amdhsa_exception_fp_ieee_overflow 0
		.amdhsa_exception_fp_ieee_underflow 0
		.amdhsa_exception_fp_ieee_inexact 0
		.amdhsa_exception_int_div_zero 0
	.end_amdhsa_kernel
	.section	.text._ZN7rocprim17ROCPRIM_400000_NS6detail17trampoline_kernelINS0_14default_configENS1_29binary_search_config_selectorIxN6thrust23THRUST_200600_302600_NS6detail10any_assignEEEZNS1_14transform_implILb0ES3_S9_NS7_15normal_iteratorINS6_10device_ptrIxEEEENS6_16discard_iteratorINS6_11use_defaultEEEZNS1_13binary_searchIS3_S9_SE_SE_SH_NS1_16binary_search_opENS7_16wrapped_functionINS0_4lessIvEEbEEEE10hipError_tPvRmT1_T2_T3_mmT4_T5_P12ihipStream_tbEUlRKxE_EESO_SS_ST_mSU_SX_bEUlT_E_NS1_11comp_targetILNS1_3genE10ELNS1_11target_archE1200ELNS1_3gpuE4ELNS1_3repE0EEENS1_30default_config_static_selectorELNS0_4arch9wavefront6targetE0EEEvSR_,"axG",@progbits,_ZN7rocprim17ROCPRIM_400000_NS6detail17trampoline_kernelINS0_14default_configENS1_29binary_search_config_selectorIxN6thrust23THRUST_200600_302600_NS6detail10any_assignEEEZNS1_14transform_implILb0ES3_S9_NS7_15normal_iteratorINS6_10device_ptrIxEEEENS6_16discard_iteratorINS6_11use_defaultEEEZNS1_13binary_searchIS3_S9_SE_SE_SH_NS1_16binary_search_opENS7_16wrapped_functionINS0_4lessIvEEbEEEE10hipError_tPvRmT1_T2_T3_mmT4_T5_P12ihipStream_tbEUlRKxE_EESO_SS_ST_mSU_SX_bEUlT_E_NS1_11comp_targetILNS1_3genE10ELNS1_11target_archE1200ELNS1_3gpuE4ELNS1_3repE0EEENS1_30default_config_static_selectorELNS0_4arch9wavefront6targetE0EEEvSR_,comdat
.Lfunc_end606:
	.size	_ZN7rocprim17ROCPRIM_400000_NS6detail17trampoline_kernelINS0_14default_configENS1_29binary_search_config_selectorIxN6thrust23THRUST_200600_302600_NS6detail10any_assignEEEZNS1_14transform_implILb0ES3_S9_NS7_15normal_iteratorINS6_10device_ptrIxEEEENS6_16discard_iteratorINS6_11use_defaultEEEZNS1_13binary_searchIS3_S9_SE_SE_SH_NS1_16binary_search_opENS7_16wrapped_functionINS0_4lessIvEEbEEEE10hipError_tPvRmT1_T2_T3_mmT4_T5_P12ihipStream_tbEUlRKxE_EESO_SS_ST_mSU_SX_bEUlT_E_NS1_11comp_targetILNS1_3genE10ELNS1_11target_archE1200ELNS1_3gpuE4ELNS1_3repE0EEENS1_30default_config_static_selectorELNS0_4arch9wavefront6targetE0EEEvSR_, .Lfunc_end606-_ZN7rocprim17ROCPRIM_400000_NS6detail17trampoline_kernelINS0_14default_configENS1_29binary_search_config_selectorIxN6thrust23THRUST_200600_302600_NS6detail10any_assignEEEZNS1_14transform_implILb0ES3_S9_NS7_15normal_iteratorINS6_10device_ptrIxEEEENS6_16discard_iteratorINS6_11use_defaultEEEZNS1_13binary_searchIS3_S9_SE_SE_SH_NS1_16binary_search_opENS7_16wrapped_functionINS0_4lessIvEEbEEEE10hipError_tPvRmT1_T2_T3_mmT4_T5_P12ihipStream_tbEUlRKxE_EESO_SS_ST_mSU_SX_bEUlT_E_NS1_11comp_targetILNS1_3genE10ELNS1_11target_archE1200ELNS1_3gpuE4ELNS1_3repE0EEENS1_30default_config_static_selectorELNS0_4arch9wavefront6targetE0EEEvSR_
                                        ; -- End function
	.section	.AMDGPU.csdata,"",@progbits
; Kernel info:
; codeLenInByte = 0
; NumSgprs: 0
; NumVgprs: 0
; ScratchSize: 0
; MemoryBound: 0
; FloatMode: 240
; IeeeMode: 1
; LDSByteSize: 0 bytes/workgroup (compile time only)
; SGPRBlocks: 0
; VGPRBlocks: 0
; NumSGPRsForWavesPerEU: 1
; NumVGPRsForWavesPerEU: 1
; Occupancy: 16
; WaveLimiterHint : 0
; COMPUTE_PGM_RSRC2:SCRATCH_EN: 0
; COMPUTE_PGM_RSRC2:USER_SGPR: 15
; COMPUTE_PGM_RSRC2:TRAP_HANDLER: 0
; COMPUTE_PGM_RSRC2:TGID_X_EN: 1
; COMPUTE_PGM_RSRC2:TGID_Y_EN: 0
; COMPUTE_PGM_RSRC2:TGID_Z_EN: 0
; COMPUTE_PGM_RSRC2:TIDIG_COMP_CNT: 0
	.section	.text._ZN7rocprim17ROCPRIM_400000_NS6detail17trampoline_kernelINS0_14default_configENS1_29binary_search_config_selectorIxN6thrust23THRUST_200600_302600_NS6detail10any_assignEEEZNS1_14transform_implILb0ES3_S9_NS7_15normal_iteratorINS6_10device_ptrIxEEEENS6_16discard_iteratorINS6_11use_defaultEEEZNS1_13binary_searchIS3_S9_SE_SE_SH_NS1_16binary_search_opENS7_16wrapped_functionINS0_4lessIvEEbEEEE10hipError_tPvRmT1_T2_T3_mmT4_T5_P12ihipStream_tbEUlRKxE_EESO_SS_ST_mSU_SX_bEUlT_E_NS1_11comp_targetILNS1_3genE9ELNS1_11target_archE1100ELNS1_3gpuE3ELNS1_3repE0EEENS1_30default_config_static_selectorELNS0_4arch9wavefront6targetE0EEEvSR_,"axG",@progbits,_ZN7rocprim17ROCPRIM_400000_NS6detail17trampoline_kernelINS0_14default_configENS1_29binary_search_config_selectorIxN6thrust23THRUST_200600_302600_NS6detail10any_assignEEEZNS1_14transform_implILb0ES3_S9_NS7_15normal_iteratorINS6_10device_ptrIxEEEENS6_16discard_iteratorINS6_11use_defaultEEEZNS1_13binary_searchIS3_S9_SE_SE_SH_NS1_16binary_search_opENS7_16wrapped_functionINS0_4lessIvEEbEEEE10hipError_tPvRmT1_T2_T3_mmT4_T5_P12ihipStream_tbEUlRKxE_EESO_SS_ST_mSU_SX_bEUlT_E_NS1_11comp_targetILNS1_3genE9ELNS1_11target_archE1100ELNS1_3gpuE3ELNS1_3repE0EEENS1_30default_config_static_selectorELNS0_4arch9wavefront6targetE0EEEvSR_,comdat
	.protected	_ZN7rocprim17ROCPRIM_400000_NS6detail17trampoline_kernelINS0_14default_configENS1_29binary_search_config_selectorIxN6thrust23THRUST_200600_302600_NS6detail10any_assignEEEZNS1_14transform_implILb0ES3_S9_NS7_15normal_iteratorINS6_10device_ptrIxEEEENS6_16discard_iteratorINS6_11use_defaultEEEZNS1_13binary_searchIS3_S9_SE_SE_SH_NS1_16binary_search_opENS7_16wrapped_functionINS0_4lessIvEEbEEEE10hipError_tPvRmT1_T2_T3_mmT4_T5_P12ihipStream_tbEUlRKxE_EESO_SS_ST_mSU_SX_bEUlT_E_NS1_11comp_targetILNS1_3genE9ELNS1_11target_archE1100ELNS1_3gpuE3ELNS1_3repE0EEENS1_30default_config_static_selectorELNS0_4arch9wavefront6targetE0EEEvSR_ ; -- Begin function _ZN7rocprim17ROCPRIM_400000_NS6detail17trampoline_kernelINS0_14default_configENS1_29binary_search_config_selectorIxN6thrust23THRUST_200600_302600_NS6detail10any_assignEEEZNS1_14transform_implILb0ES3_S9_NS7_15normal_iteratorINS6_10device_ptrIxEEEENS6_16discard_iteratorINS6_11use_defaultEEEZNS1_13binary_searchIS3_S9_SE_SE_SH_NS1_16binary_search_opENS7_16wrapped_functionINS0_4lessIvEEbEEEE10hipError_tPvRmT1_T2_T3_mmT4_T5_P12ihipStream_tbEUlRKxE_EESO_SS_ST_mSU_SX_bEUlT_E_NS1_11comp_targetILNS1_3genE9ELNS1_11target_archE1100ELNS1_3gpuE3ELNS1_3repE0EEENS1_30default_config_static_selectorELNS0_4arch9wavefront6targetE0EEEvSR_
	.globl	_ZN7rocprim17ROCPRIM_400000_NS6detail17trampoline_kernelINS0_14default_configENS1_29binary_search_config_selectorIxN6thrust23THRUST_200600_302600_NS6detail10any_assignEEEZNS1_14transform_implILb0ES3_S9_NS7_15normal_iteratorINS6_10device_ptrIxEEEENS6_16discard_iteratorINS6_11use_defaultEEEZNS1_13binary_searchIS3_S9_SE_SE_SH_NS1_16binary_search_opENS7_16wrapped_functionINS0_4lessIvEEbEEEE10hipError_tPvRmT1_T2_T3_mmT4_T5_P12ihipStream_tbEUlRKxE_EESO_SS_ST_mSU_SX_bEUlT_E_NS1_11comp_targetILNS1_3genE9ELNS1_11target_archE1100ELNS1_3gpuE3ELNS1_3repE0EEENS1_30default_config_static_selectorELNS0_4arch9wavefront6targetE0EEEvSR_
	.p2align	8
	.type	_ZN7rocprim17ROCPRIM_400000_NS6detail17trampoline_kernelINS0_14default_configENS1_29binary_search_config_selectorIxN6thrust23THRUST_200600_302600_NS6detail10any_assignEEEZNS1_14transform_implILb0ES3_S9_NS7_15normal_iteratorINS6_10device_ptrIxEEEENS6_16discard_iteratorINS6_11use_defaultEEEZNS1_13binary_searchIS3_S9_SE_SE_SH_NS1_16binary_search_opENS7_16wrapped_functionINS0_4lessIvEEbEEEE10hipError_tPvRmT1_T2_T3_mmT4_T5_P12ihipStream_tbEUlRKxE_EESO_SS_ST_mSU_SX_bEUlT_E_NS1_11comp_targetILNS1_3genE9ELNS1_11target_archE1100ELNS1_3gpuE3ELNS1_3repE0EEENS1_30default_config_static_selectorELNS0_4arch9wavefront6targetE0EEEvSR_,@function
_ZN7rocprim17ROCPRIM_400000_NS6detail17trampoline_kernelINS0_14default_configENS1_29binary_search_config_selectorIxN6thrust23THRUST_200600_302600_NS6detail10any_assignEEEZNS1_14transform_implILb0ES3_S9_NS7_15normal_iteratorINS6_10device_ptrIxEEEENS6_16discard_iteratorINS6_11use_defaultEEEZNS1_13binary_searchIS3_S9_SE_SE_SH_NS1_16binary_search_opENS7_16wrapped_functionINS0_4lessIvEEbEEEE10hipError_tPvRmT1_T2_T3_mmT4_T5_P12ihipStream_tbEUlRKxE_EESO_SS_ST_mSU_SX_bEUlT_E_NS1_11comp_targetILNS1_3genE9ELNS1_11target_archE1100ELNS1_3gpuE3ELNS1_3repE0EEENS1_30default_config_static_selectorELNS0_4arch9wavefront6targetE0EEEvSR_: ; @_ZN7rocprim17ROCPRIM_400000_NS6detail17trampoline_kernelINS0_14default_configENS1_29binary_search_config_selectorIxN6thrust23THRUST_200600_302600_NS6detail10any_assignEEEZNS1_14transform_implILb0ES3_S9_NS7_15normal_iteratorINS6_10device_ptrIxEEEENS6_16discard_iteratorINS6_11use_defaultEEEZNS1_13binary_searchIS3_S9_SE_SE_SH_NS1_16binary_search_opENS7_16wrapped_functionINS0_4lessIvEEbEEEE10hipError_tPvRmT1_T2_T3_mmT4_T5_P12ihipStream_tbEUlRKxE_EESO_SS_ST_mSU_SX_bEUlT_E_NS1_11comp_targetILNS1_3genE9ELNS1_11target_archE1100ELNS1_3gpuE3ELNS1_3repE0EEENS1_30default_config_static_selectorELNS0_4arch9wavefront6targetE0EEEvSR_
; %bb.0:
	s_endpgm
	.section	.rodata,"a",@progbits
	.p2align	6, 0x0
	.amdhsa_kernel _ZN7rocprim17ROCPRIM_400000_NS6detail17trampoline_kernelINS0_14default_configENS1_29binary_search_config_selectorIxN6thrust23THRUST_200600_302600_NS6detail10any_assignEEEZNS1_14transform_implILb0ES3_S9_NS7_15normal_iteratorINS6_10device_ptrIxEEEENS6_16discard_iteratorINS6_11use_defaultEEEZNS1_13binary_searchIS3_S9_SE_SE_SH_NS1_16binary_search_opENS7_16wrapped_functionINS0_4lessIvEEbEEEE10hipError_tPvRmT1_T2_T3_mmT4_T5_P12ihipStream_tbEUlRKxE_EESO_SS_ST_mSU_SX_bEUlT_E_NS1_11comp_targetILNS1_3genE9ELNS1_11target_archE1100ELNS1_3gpuE3ELNS1_3repE0EEENS1_30default_config_static_selectorELNS0_4arch9wavefront6targetE0EEEvSR_
		.amdhsa_group_segment_fixed_size 0
		.amdhsa_private_segment_fixed_size 0
		.amdhsa_kernarg_size 64
		.amdhsa_user_sgpr_count 15
		.amdhsa_user_sgpr_dispatch_ptr 0
		.amdhsa_user_sgpr_queue_ptr 0
		.amdhsa_user_sgpr_kernarg_segment_ptr 1
		.amdhsa_user_sgpr_dispatch_id 0
		.amdhsa_user_sgpr_private_segment_size 0
		.amdhsa_wavefront_size32 1
		.amdhsa_uses_dynamic_stack 0
		.amdhsa_enable_private_segment 0
		.amdhsa_system_sgpr_workgroup_id_x 1
		.amdhsa_system_sgpr_workgroup_id_y 0
		.amdhsa_system_sgpr_workgroup_id_z 0
		.amdhsa_system_sgpr_workgroup_info 0
		.amdhsa_system_vgpr_workitem_id 0
		.amdhsa_next_free_vgpr 1
		.amdhsa_next_free_sgpr 1
		.amdhsa_reserve_vcc 0
		.amdhsa_float_round_mode_32 0
		.amdhsa_float_round_mode_16_64 0
		.amdhsa_float_denorm_mode_32 3
		.amdhsa_float_denorm_mode_16_64 3
		.amdhsa_dx10_clamp 1
		.amdhsa_ieee_mode 1
		.amdhsa_fp16_overflow 0
		.amdhsa_workgroup_processor_mode 1
		.amdhsa_memory_ordered 1
		.amdhsa_forward_progress 0
		.amdhsa_shared_vgpr_count 0
		.amdhsa_exception_fp_ieee_invalid_op 0
		.amdhsa_exception_fp_denorm_src 0
		.amdhsa_exception_fp_ieee_div_zero 0
		.amdhsa_exception_fp_ieee_overflow 0
		.amdhsa_exception_fp_ieee_underflow 0
		.amdhsa_exception_fp_ieee_inexact 0
		.amdhsa_exception_int_div_zero 0
	.end_amdhsa_kernel
	.section	.text._ZN7rocprim17ROCPRIM_400000_NS6detail17trampoline_kernelINS0_14default_configENS1_29binary_search_config_selectorIxN6thrust23THRUST_200600_302600_NS6detail10any_assignEEEZNS1_14transform_implILb0ES3_S9_NS7_15normal_iteratorINS6_10device_ptrIxEEEENS6_16discard_iteratorINS6_11use_defaultEEEZNS1_13binary_searchIS3_S9_SE_SE_SH_NS1_16binary_search_opENS7_16wrapped_functionINS0_4lessIvEEbEEEE10hipError_tPvRmT1_T2_T3_mmT4_T5_P12ihipStream_tbEUlRKxE_EESO_SS_ST_mSU_SX_bEUlT_E_NS1_11comp_targetILNS1_3genE9ELNS1_11target_archE1100ELNS1_3gpuE3ELNS1_3repE0EEENS1_30default_config_static_selectorELNS0_4arch9wavefront6targetE0EEEvSR_,"axG",@progbits,_ZN7rocprim17ROCPRIM_400000_NS6detail17trampoline_kernelINS0_14default_configENS1_29binary_search_config_selectorIxN6thrust23THRUST_200600_302600_NS6detail10any_assignEEEZNS1_14transform_implILb0ES3_S9_NS7_15normal_iteratorINS6_10device_ptrIxEEEENS6_16discard_iteratorINS6_11use_defaultEEEZNS1_13binary_searchIS3_S9_SE_SE_SH_NS1_16binary_search_opENS7_16wrapped_functionINS0_4lessIvEEbEEEE10hipError_tPvRmT1_T2_T3_mmT4_T5_P12ihipStream_tbEUlRKxE_EESO_SS_ST_mSU_SX_bEUlT_E_NS1_11comp_targetILNS1_3genE9ELNS1_11target_archE1100ELNS1_3gpuE3ELNS1_3repE0EEENS1_30default_config_static_selectorELNS0_4arch9wavefront6targetE0EEEvSR_,comdat
.Lfunc_end607:
	.size	_ZN7rocprim17ROCPRIM_400000_NS6detail17trampoline_kernelINS0_14default_configENS1_29binary_search_config_selectorIxN6thrust23THRUST_200600_302600_NS6detail10any_assignEEEZNS1_14transform_implILb0ES3_S9_NS7_15normal_iteratorINS6_10device_ptrIxEEEENS6_16discard_iteratorINS6_11use_defaultEEEZNS1_13binary_searchIS3_S9_SE_SE_SH_NS1_16binary_search_opENS7_16wrapped_functionINS0_4lessIvEEbEEEE10hipError_tPvRmT1_T2_T3_mmT4_T5_P12ihipStream_tbEUlRKxE_EESO_SS_ST_mSU_SX_bEUlT_E_NS1_11comp_targetILNS1_3genE9ELNS1_11target_archE1100ELNS1_3gpuE3ELNS1_3repE0EEENS1_30default_config_static_selectorELNS0_4arch9wavefront6targetE0EEEvSR_, .Lfunc_end607-_ZN7rocprim17ROCPRIM_400000_NS6detail17trampoline_kernelINS0_14default_configENS1_29binary_search_config_selectorIxN6thrust23THRUST_200600_302600_NS6detail10any_assignEEEZNS1_14transform_implILb0ES3_S9_NS7_15normal_iteratorINS6_10device_ptrIxEEEENS6_16discard_iteratorINS6_11use_defaultEEEZNS1_13binary_searchIS3_S9_SE_SE_SH_NS1_16binary_search_opENS7_16wrapped_functionINS0_4lessIvEEbEEEE10hipError_tPvRmT1_T2_T3_mmT4_T5_P12ihipStream_tbEUlRKxE_EESO_SS_ST_mSU_SX_bEUlT_E_NS1_11comp_targetILNS1_3genE9ELNS1_11target_archE1100ELNS1_3gpuE3ELNS1_3repE0EEENS1_30default_config_static_selectorELNS0_4arch9wavefront6targetE0EEEvSR_
                                        ; -- End function
	.section	.AMDGPU.csdata,"",@progbits
; Kernel info:
; codeLenInByte = 4
; NumSgprs: 0
; NumVgprs: 0
; ScratchSize: 0
; MemoryBound: 0
; FloatMode: 240
; IeeeMode: 1
; LDSByteSize: 0 bytes/workgroup (compile time only)
; SGPRBlocks: 0
; VGPRBlocks: 0
; NumSGPRsForWavesPerEU: 1
; NumVGPRsForWavesPerEU: 1
; Occupancy: 16
; WaveLimiterHint : 0
; COMPUTE_PGM_RSRC2:SCRATCH_EN: 0
; COMPUTE_PGM_RSRC2:USER_SGPR: 15
; COMPUTE_PGM_RSRC2:TRAP_HANDLER: 0
; COMPUTE_PGM_RSRC2:TGID_X_EN: 1
; COMPUTE_PGM_RSRC2:TGID_Y_EN: 0
; COMPUTE_PGM_RSRC2:TGID_Z_EN: 0
; COMPUTE_PGM_RSRC2:TIDIG_COMP_CNT: 0
	.section	.text._ZN7rocprim17ROCPRIM_400000_NS6detail17trampoline_kernelINS0_14default_configENS1_29binary_search_config_selectorIxN6thrust23THRUST_200600_302600_NS6detail10any_assignEEEZNS1_14transform_implILb0ES3_S9_NS7_15normal_iteratorINS6_10device_ptrIxEEEENS6_16discard_iteratorINS6_11use_defaultEEEZNS1_13binary_searchIS3_S9_SE_SE_SH_NS1_16binary_search_opENS7_16wrapped_functionINS0_4lessIvEEbEEEE10hipError_tPvRmT1_T2_T3_mmT4_T5_P12ihipStream_tbEUlRKxE_EESO_SS_ST_mSU_SX_bEUlT_E_NS1_11comp_targetILNS1_3genE8ELNS1_11target_archE1030ELNS1_3gpuE2ELNS1_3repE0EEENS1_30default_config_static_selectorELNS0_4arch9wavefront6targetE0EEEvSR_,"axG",@progbits,_ZN7rocprim17ROCPRIM_400000_NS6detail17trampoline_kernelINS0_14default_configENS1_29binary_search_config_selectorIxN6thrust23THRUST_200600_302600_NS6detail10any_assignEEEZNS1_14transform_implILb0ES3_S9_NS7_15normal_iteratorINS6_10device_ptrIxEEEENS6_16discard_iteratorINS6_11use_defaultEEEZNS1_13binary_searchIS3_S9_SE_SE_SH_NS1_16binary_search_opENS7_16wrapped_functionINS0_4lessIvEEbEEEE10hipError_tPvRmT1_T2_T3_mmT4_T5_P12ihipStream_tbEUlRKxE_EESO_SS_ST_mSU_SX_bEUlT_E_NS1_11comp_targetILNS1_3genE8ELNS1_11target_archE1030ELNS1_3gpuE2ELNS1_3repE0EEENS1_30default_config_static_selectorELNS0_4arch9wavefront6targetE0EEEvSR_,comdat
	.protected	_ZN7rocprim17ROCPRIM_400000_NS6detail17trampoline_kernelINS0_14default_configENS1_29binary_search_config_selectorIxN6thrust23THRUST_200600_302600_NS6detail10any_assignEEEZNS1_14transform_implILb0ES3_S9_NS7_15normal_iteratorINS6_10device_ptrIxEEEENS6_16discard_iteratorINS6_11use_defaultEEEZNS1_13binary_searchIS3_S9_SE_SE_SH_NS1_16binary_search_opENS7_16wrapped_functionINS0_4lessIvEEbEEEE10hipError_tPvRmT1_T2_T3_mmT4_T5_P12ihipStream_tbEUlRKxE_EESO_SS_ST_mSU_SX_bEUlT_E_NS1_11comp_targetILNS1_3genE8ELNS1_11target_archE1030ELNS1_3gpuE2ELNS1_3repE0EEENS1_30default_config_static_selectorELNS0_4arch9wavefront6targetE0EEEvSR_ ; -- Begin function _ZN7rocprim17ROCPRIM_400000_NS6detail17trampoline_kernelINS0_14default_configENS1_29binary_search_config_selectorIxN6thrust23THRUST_200600_302600_NS6detail10any_assignEEEZNS1_14transform_implILb0ES3_S9_NS7_15normal_iteratorINS6_10device_ptrIxEEEENS6_16discard_iteratorINS6_11use_defaultEEEZNS1_13binary_searchIS3_S9_SE_SE_SH_NS1_16binary_search_opENS7_16wrapped_functionINS0_4lessIvEEbEEEE10hipError_tPvRmT1_T2_T3_mmT4_T5_P12ihipStream_tbEUlRKxE_EESO_SS_ST_mSU_SX_bEUlT_E_NS1_11comp_targetILNS1_3genE8ELNS1_11target_archE1030ELNS1_3gpuE2ELNS1_3repE0EEENS1_30default_config_static_selectorELNS0_4arch9wavefront6targetE0EEEvSR_
	.globl	_ZN7rocprim17ROCPRIM_400000_NS6detail17trampoline_kernelINS0_14default_configENS1_29binary_search_config_selectorIxN6thrust23THRUST_200600_302600_NS6detail10any_assignEEEZNS1_14transform_implILb0ES3_S9_NS7_15normal_iteratorINS6_10device_ptrIxEEEENS6_16discard_iteratorINS6_11use_defaultEEEZNS1_13binary_searchIS3_S9_SE_SE_SH_NS1_16binary_search_opENS7_16wrapped_functionINS0_4lessIvEEbEEEE10hipError_tPvRmT1_T2_T3_mmT4_T5_P12ihipStream_tbEUlRKxE_EESO_SS_ST_mSU_SX_bEUlT_E_NS1_11comp_targetILNS1_3genE8ELNS1_11target_archE1030ELNS1_3gpuE2ELNS1_3repE0EEENS1_30default_config_static_selectorELNS0_4arch9wavefront6targetE0EEEvSR_
	.p2align	8
	.type	_ZN7rocprim17ROCPRIM_400000_NS6detail17trampoline_kernelINS0_14default_configENS1_29binary_search_config_selectorIxN6thrust23THRUST_200600_302600_NS6detail10any_assignEEEZNS1_14transform_implILb0ES3_S9_NS7_15normal_iteratorINS6_10device_ptrIxEEEENS6_16discard_iteratorINS6_11use_defaultEEEZNS1_13binary_searchIS3_S9_SE_SE_SH_NS1_16binary_search_opENS7_16wrapped_functionINS0_4lessIvEEbEEEE10hipError_tPvRmT1_T2_T3_mmT4_T5_P12ihipStream_tbEUlRKxE_EESO_SS_ST_mSU_SX_bEUlT_E_NS1_11comp_targetILNS1_3genE8ELNS1_11target_archE1030ELNS1_3gpuE2ELNS1_3repE0EEENS1_30default_config_static_selectorELNS0_4arch9wavefront6targetE0EEEvSR_,@function
_ZN7rocprim17ROCPRIM_400000_NS6detail17trampoline_kernelINS0_14default_configENS1_29binary_search_config_selectorIxN6thrust23THRUST_200600_302600_NS6detail10any_assignEEEZNS1_14transform_implILb0ES3_S9_NS7_15normal_iteratorINS6_10device_ptrIxEEEENS6_16discard_iteratorINS6_11use_defaultEEEZNS1_13binary_searchIS3_S9_SE_SE_SH_NS1_16binary_search_opENS7_16wrapped_functionINS0_4lessIvEEbEEEE10hipError_tPvRmT1_T2_T3_mmT4_T5_P12ihipStream_tbEUlRKxE_EESO_SS_ST_mSU_SX_bEUlT_E_NS1_11comp_targetILNS1_3genE8ELNS1_11target_archE1030ELNS1_3gpuE2ELNS1_3repE0EEENS1_30default_config_static_selectorELNS0_4arch9wavefront6targetE0EEEvSR_: ; @_ZN7rocprim17ROCPRIM_400000_NS6detail17trampoline_kernelINS0_14default_configENS1_29binary_search_config_selectorIxN6thrust23THRUST_200600_302600_NS6detail10any_assignEEEZNS1_14transform_implILb0ES3_S9_NS7_15normal_iteratorINS6_10device_ptrIxEEEENS6_16discard_iteratorINS6_11use_defaultEEEZNS1_13binary_searchIS3_S9_SE_SE_SH_NS1_16binary_search_opENS7_16wrapped_functionINS0_4lessIvEEbEEEE10hipError_tPvRmT1_T2_T3_mmT4_T5_P12ihipStream_tbEUlRKxE_EESO_SS_ST_mSU_SX_bEUlT_E_NS1_11comp_targetILNS1_3genE8ELNS1_11target_archE1030ELNS1_3gpuE2ELNS1_3repE0EEENS1_30default_config_static_selectorELNS0_4arch9wavefront6targetE0EEEvSR_
; %bb.0:
	.section	.rodata,"a",@progbits
	.p2align	6, 0x0
	.amdhsa_kernel _ZN7rocprim17ROCPRIM_400000_NS6detail17trampoline_kernelINS0_14default_configENS1_29binary_search_config_selectorIxN6thrust23THRUST_200600_302600_NS6detail10any_assignEEEZNS1_14transform_implILb0ES3_S9_NS7_15normal_iteratorINS6_10device_ptrIxEEEENS6_16discard_iteratorINS6_11use_defaultEEEZNS1_13binary_searchIS3_S9_SE_SE_SH_NS1_16binary_search_opENS7_16wrapped_functionINS0_4lessIvEEbEEEE10hipError_tPvRmT1_T2_T3_mmT4_T5_P12ihipStream_tbEUlRKxE_EESO_SS_ST_mSU_SX_bEUlT_E_NS1_11comp_targetILNS1_3genE8ELNS1_11target_archE1030ELNS1_3gpuE2ELNS1_3repE0EEENS1_30default_config_static_selectorELNS0_4arch9wavefront6targetE0EEEvSR_
		.amdhsa_group_segment_fixed_size 0
		.amdhsa_private_segment_fixed_size 0
		.amdhsa_kernarg_size 64
		.amdhsa_user_sgpr_count 15
		.amdhsa_user_sgpr_dispatch_ptr 0
		.amdhsa_user_sgpr_queue_ptr 0
		.amdhsa_user_sgpr_kernarg_segment_ptr 1
		.amdhsa_user_sgpr_dispatch_id 0
		.amdhsa_user_sgpr_private_segment_size 0
		.amdhsa_wavefront_size32 1
		.amdhsa_uses_dynamic_stack 0
		.amdhsa_enable_private_segment 0
		.amdhsa_system_sgpr_workgroup_id_x 1
		.amdhsa_system_sgpr_workgroup_id_y 0
		.amdhsa_system_sgpr_workgroup_id_z 0
		.amdhsa_system_sgpr_workgroup_info 0
		.amdhsa_system_vgpr_workitem_id 0
		.amdhsa_next_free_vgpr 1
		.amdhsa_next_free_sgpr 1
		.amdhsa_reserve_vcc 0
		.amdhsa_float_round_mode_32 0
		.amdhsa_float_round_mode_16_64 0
		.amdhsa_float_denorm_mode_32 3
		.amdhsa_float_denorm_mode_16_64 3
		.amdhsa_dx10_clamp 1
		.amdhsa_ieee_mode 1
		.amdhsa_fp16_overflow 0
		.amdhsa_workgroup_processor_mode 1
		.amdhsa_memory_ordered 1
		.amdhsa_forward_progress 0
		.amdhsa_shared_vgpr_count 0
		.amdhsa_exception_fp_ieee_invalid_op 0
		.amdhsa_exception_fp_denorm_src 0
		.amdhsa_exception_fp_ieee_div_zero 0
		.amdhsa_exception_fp_ieee_overflow 0
		.amdhsa_exception_fp_ieee_underflow 0
		.amdhsa_exception_fp_ieee_inexact 0
		.amdhsa_exception_int_div_zero 0
	.end_amdhsa_kernel
	.section	.text._ZN7rocprim17ROCPRIM_400000_NS6detail17trampoline_kernelINS0_14default_configENS1_29binary_search_config_selectorIxN6thrust23THRUST_200600_302600_NS6detail10any_assignEEEZNS1_14transform_implILb0ES3_S9_NS7_15normal_iteratorINS6_10device_ptrIxEEEENS6_16discard_iteratorINS6_11use_defaultEEEZNS1_13binary_searchIS3_S9_SE_SE_SH_NS1_16binary_search_opENS7_16wrapped_functionINS0_4lessIvEEbEEEE10hipError_tPvRmT1_T2_T3_mmT4_T5_P12ihipStream_tbEUlRKxE_EESO_SS_ST_mSU_SX_bEUlT_E_NS1_11comp_targetILNS1_3genE8ELNS1_11target_archE1030ELNS1_3gpuE2ELNS1_3repE0EEENS1_30default_config_static_selectorELNS0_4arch9wavefront6targetE0EEEvSR_,"axG",@progbits,_ZN7rocprim17ROCPRIM_400000_NS6detail17trampoline_kernelINS0_14default_configENS1_29binary_search_config_selectorIxN6thrust23THRUST_200600_302600_NS6detail10any_assignEEEZNS1_14transform_implILb0ES3_S9_NS7_15normal_iteratorINS6_10device_ptrIxEEEENS6_16discard_iteratorINS6_11use_defaultEEEZNS1_13binary_searchIS3_S9_SE_SE_SH_NS1_16binary_search_opENS7_16wrapped_functionINS0_4lessIvEEbEEEE10hipError_tPvRmT1_T2_T3_mmT4_T5_P12ihipStream_tbEUlRKxE_EESO_SS_ST_mSU_SX_bEUlT_E_NS1_11comp_targetILNS1_3genE8ELNS1_11target_archE1030ELNS1_3gpuE2ELNS1_3repE0EEENS1_30default_config_static_selectorELNS0_4arch9wavefront6targetE0EEEvSR_,comdat
.Lfunc_end608:
	.size	_ZN7rocprim17ROCPRIM_400000_NS6detail17trampoline_kernelINS0_14default_configENS1_29binary_search_config_selectorIxN6thrust23THRUST_200600_302600_NS6detail10any_assignEEEZNS1_14transform_implILb0ES3_S9_NS7_15normal_iteratorINS6_10device_ptrIxEEEENS6_16discard_iteratorINS6_11use_defaultEEEZNS1_13binary_searchIS3_S9_SE_SE_SH_NS1_16binary_search_opENS7_16wrapped_functionINS0_4lessIvEEbEEEE10hipError_tPvRmT1_T2_T3_mmT4_T5_P12ihipStream_tbEUlRKxE_EESO_SS_ST_mSU_SX_bEUlT_E_NS1_11comp_targetILNS1_3genE8ELNS1_11target_archE1030ELNS1_3gpuE2ELNS1_3repE0EEENS1_30default_config_static_selectorELNS0_4arch9wavefront6targetE0EEEvSR_, .Lfunc_end608-_ZN7rocprim17ROCPRIM_400000_NS6detail17trampoline_kernelINS0_14default_configENS1_29binary_search_config_selectorIxN6thrust23THRUST_200600_302600_NS6detail10any_assignEEEZNS1_14transform_implILb0ES3_S9_NS7_15normal_iteratorINS6_10device_ptrIxEEEENS6_16discard_iteratorINS6_11use_defaultEEEZNS1_13binary_searchIS3_S9_SE_SE_SH_NS1_16binary_search_opENS7_16wrapped_functionINS0_4lessIvEEbEEEE10hipError_tPvRmT1_T2_T3_mmT4_T5_P12ihipStream_tbEUlRKxE_EESO_SS_ST_mSU_SX_bEUlT_E_NS1_11comp_targetILNS1_3genE8ELNS1_11target_archE1030ELNS1_3gpuE2ELNS1_3repE0EEENS1_30default_config_static_selectorELNS0_4arch9wavefront6targetE0EEEvSR_
                                        ; -- End function
	.section	.AMDGPU.csdata,"",@progbits
; Kernel info:
; codeLenInByte = 0
; NumSgprs: 0
; NumVgprs: 0
; ScratchSize: 0
; MemoryBound: 0
; FloatMode: 240
; IeeeMode: 1
; LDSByteSize: 0 bytes/workgroup (compile time only)
; SGPRBlocks: 0
; VGPRBlocks: 0
; NumSGPRsForWavesPerEU: 1
; NumVGPRsForWavesPerEU: 1
; Occupancy: 16
; WaveLimiterHint : 0
; COMPUTE_PGM_RSRC2:SCRATCH_EN: 0
; COMPUTE_PGM_RSRC2:USER_SGPR: 15
; COMPUTE_PGM_RSRC2:TRAP_HANDLER: 0
; COMPUTE_PGM_RSRC2:TGID_X_EN: 1
; COMPUTE_PGM_RSRC2:TGID_Y_EN: 0
; COMPUTE_PGM_RSRC2:TGID_Z_EN: 0
; COMPUTE_PGM_RSRC2:TIDIG_COMP_CNT: 0
	.section	.text._ZN7rocprim17ROCPRIM_400000_NS6detail17trampoline_kernelINS0_14default_configENS1_29binary_search_config_selectorIiN6thrust23THRUST_200600_302600_NS6detail10any_assignEEEZNS1_14transform_implILb0ES3_S9_NS7_15normal_iteratorINS6_10device_ptrIiEEEENS6_16discard_iteratorINS6_11use_defaultEEEZNS1_13binary_searchIS3_S9_SE_SE_SH_NS1_16binary_search_opENS7_16wrapped_functionINS0_4lessIvEEbEEEE10hipError_tPvRmT1_T2_T3_mmT4_T5_P12ihipStream_tbEUlRKiE_EESO_SS_ST_mSU_SX_bEUlT_E_NS1_11comp_targetILNS1_3genE0ELNS1_11target_archE4294967295ELNS1_3gpuE0ELNS1_3repE0EEENS1_30default_config_static_selectorELNS0_4arch9wavefront6targetE0EEEvSR_,"axG",@progbits,_ZN7rocprim17ROCPRIM_400000_NS6detail17trampoline_kernelINS0_14default_configENS1_29binary_search_config_selectorIiN6thrust23THRUST_200600_302600_NS6detail10any_assignEEEZNS1_14transform_implILb0ES3_S9_NS7_15normal_iteratorINS6_10device_ptrIiEEEENS6_16discard_iteratorINS6_11use_defaultEEEZNS1_13binary_searchIS3_S9_SE_SE_SH_NS1_16binary_search_opENS7_16wrapped_functionINS0_4lessIvEEbEEEE10hipError_tPvRmT1_T2_T3_mmT4_T5_P12ihipStream_tbEUlRKiE_EESO_SS_ST_mSU_SX_bEUlT_E_NS1_11comp_targetILNS1_3genE0ELNS1_11target_archE4294967295ELNS1_3gpuE0ELNS1_3repE0EEENS1_30default_config_static_selectorELNS0_4arch9wavefront6targetE0EEEvSR_,comdat
	.protected	_ZN7rocprim17ROCPRIM_400000_NS6detail17trampoline_kernelINS0_14default_configENS1_29binary_search_config_selectorIiN6thrust23THRUST_200600_302600_NS6detail10any_assignEEEZNS1_14transform_implILb0ES3_S9_NS7_15normal_iteratorINS6_10device_ptrIiEEEENS6_16discard_iteratorINS6_11use_defaultEEEZNS1_13binary_searchIS3_S9_SE_SE_SH_NS1_16binary_search_opENS7_16wrapped_functionINS0_4lessIvEEbEEEE10hipError_tPvRmT1_T2_T3_mmT4_T5_P12ihipStream_tbEUlRKiE_EESO_SS_ST_mSU_SX_bEUlT_E_NS1_11comp_targetILNS1_3genE0ELNS1_11target_archE4294967295ELNS1_3gpuE0ELNS1_3repE0EEENS1_30default_config_static_selectorELNS0_4arch9wavefront6targetE0EEEvSR_ ; -- Begin function _ZN7rocprim17ROCPRIM_400000_NS6detail17trampoline_kernelINS0_14default_configENS1_29binary_search_config_selectorIiN6thrust23THRUST_200600_302600_NS6detail10any_assignEEEZNS1_14transform_implILb0ES3_S9_NS7_15normal_iteratorINS6_10device_ptrIiEEEENS6_16discard_iteratorINS6_11use_defaultEEEZNS1_13binary_searchIS3_S9_SE_SE_SH_NS1_16binary_search_opENS7_16wrapped_functionINS0_4lessIvEEbEEEE10hipError_tPvRmT1_T2_T3_mmT4_T5_P12ihipStream_tbEUlRKiE_EESO_SS_ST_mSU_SX_bEUlT_E_NS1_11comp_targetILNS1_3genE0ELNS1_11target_archE4294967295ELNS1_3gpuE0ELNS1_3repE0EEENS1_30default_config_static_selectorELNS0_4arch9wavefront6targetE0EEEvSR_
	.globl	_ZN7rocprim17ROCPRIM_400000_NS6detail17trampoline_kernelINS0_14default_configENS1_29binary_search_config_selectorIiN6thrust23THRUST_200600_302600_NS6detail10any_assignEEEZNS1_14transform_implILb0ES3_S9_NS7_15normal_iteratorINS6_10device_ptrIiEEEENS6_16discard_iteratorINS6_11use_defaultEEEZNS1_13binary_searchIS3_S9_SE_SE_SH_NS1_16binary_search_opENS7_16wrapped_functionINS0_4lessIvEEbEEEE10hipError_tPvRmT1_T2_T3_mmT4_T5_P12ihipStream_tbEUlRKiE_EESO_SS_ST_mSU_SX_bEUlT_E_NS1_11comp_targetILNS1_3genE0ELNS1_11target_archE4294967295ELNS1_3gpuE0ELNS1_3repE0EEENS1_30default_config_static_selectorELNS0_4arch9wavefront6targetE0EEEvSR_
	.p2align	8
	.type	_ZN7rocprim17ROCPRIM_400000_NS6detail17trampoline_kernelINS0_14default_configENS1_29binary_search_config_selectorIiN6thrust23THRUST_200600_302600_NS6detail10any_assignEEEZNS1_14transform_implILb0ES3_S9_NS7_15normal_iteratorINS6_10device_ptrIiEEEENS6_16discard_iteratorINS6_11use_defaultEEEZNS1_13binary_searchIS3_S9_SE_SE_SH_NS1_16binary_search_opENS7_16wrapped_functionINS0_4lessIvEEbEEEE10hipError_tPvRmT1_T2_T3_mmT4_T5_P12ihipStream_tbEUlRKiE_EESO_SS_ST_mSU_SX_bEUlT_E_NS1_11comp_targetILNS1_3genE0ELNS1_11target_archE4294967295ELNS1_3gpuE0ELNS1_3repE0EEENS1_30default_config_static_selectorELNS0_4arch9wavefront6targetE0EEEvSR_,@function
_ZN7rocprim17ROCPRIM_400000_NS6detail17trampoline_kernelINS0_14default_configENS1_29binary_search_config_selectorIiN6thrust23THRUST_200600_302600_NS6detail10any_assignEEEZNS1_14transform_implILb0ES3_S9_NS7_15normal_iteratorINS6_10device_ptrIiEEEENS6_16discard_iteratorINS6_11use_defaultEEEZNS1_13binary_searchIS3_S9_SE_SE_SH_NS1_16binary_search_opENS7_16wrapped_functionINS0_4lessIvEEbEEEE10hipError_tPvRmT1_T2_T3_mmT4_T5_P12ihipStream_tbEUlRKiE_EESO_SS_ST_mSU_SX_bEUlT_E_NS1_11comp_targetILNS1_3genE0ELNS1_11target_archE4294967295ELNS1_3gpuE0ELNS1_3repE0EEENS1_30default_config_static_selectorELNS0_4arch9wavefront6targetE0EEEvSR_: ; @_ZN7rocprim17ROCPRIM_400000_NS6detail17trampoline_kernelINS0_14default_configENS1_29binary_search_config_selectorIiN6thrust23THRUST_200600_302600_NS6detail10any_assignEEEZNS1_14transform_implILb0ES3_S9_NS7_15normal_iteratorINS6_10device_ptrIiEEEENS6_16discard_iteratorINS6_11use_defaultEEEZNS1_13binary_searchIS3_S9_SE_SE_SH_NS1_16binary_search_opENS7_16wrapped_functionINS0_4lessIvEEbEEEE10hipError_tPvRmT1_T2_T3_mmT4_T5_P12ihipStream_tbEUlRKiE_EESO_SS_ST_mSU_SX_bEUlT_E_NS1_11comp_targetILNS1_3genE0ELNS1_11target_archE4294967295ELNS1_3gpuE0ELNS1_3repE0EEENS1_30default_config_static_selectorELNS0_4arch9wavefront6targetE0EEEvSR_
; %bb.0:
	.section	.rodata,"a",@progbits
	.p2align	6, 0x0
	.amdhsa_kernel _ZN7rocprim17ROCPRIM_400000_NS6detail17trampoline_kernelINS0_14default_configENS1_29binary_search_config_selectorIiN6thrust23THRUST_200600_302600_NS6detail10any_assignEEEZNS1_14transform_implILb0ES3_S9_NS7_15normal_iteratorINS6_10device_ptrIiEEEENS6_16discard_iteratorINS6_11use_defaultEEEZNS1_13binary_searchIS3_S9_SE_SE_SH_NS1_16binary_search_opENS7_16wrapped_functionINS0_4lessIvEEbEEEE10hipError_tPvRmT1_T2_T3_mmT4_T5_P12ihipStream_tbEUlRKiE_EESO_SS_ST_mSU_SX_bEUlT_E_NS1_11comp_targetILNS1_3genE0ELNS1_11target_archE4294967295ELNS1_3gpuE0ELNS1_3repE0EEENS1_30default_config_static_selectorELNS0_4arch9wavefront6targetE0EEEvSR_
		.amdhsa_group_segment_fixed_size 0
		.amdhsa_private_segment_fixed_size 0
		.amdhsa_kernarg_size 64
		.amdhsa_user_sgpr_count 15
		.amdhsa_user_sgpr_dispatch_ptr 0
		.amdhsa_user_sgpr_queue_ptr 0
		.amdhsa_user_sgpr_kernarg_segment_ptr 1
		.amdhsa_user_sgpr_dispatch_id 0
		.amdhsa_user_sgpr_private_segment_size 0
		.amdhsa_wavefront_size32 1
		.amdhsa_uses_dynamic_stack 0
		.amdhsa_enable_private_segment 0
		.amdhsa_system_sgpr_workgroup_id_x 1
		.amdhsa_system_sgpr_workgroup_id_y 0
		.amdhsa_system_sgpr_workgroup_id_z 0
		.amdhsa_system_sgpr_workgroup_info 0
		.amdhsa_system_vgpr_workitem_id 0
		.amdhsa_next_free_vgpr 1
		.amdhsa_next_free_sgpr 1
		.amdhsa_reserve_vcc 0
		.amdhsa_float_round_mode_32 0
		.amdhsa_float_round_mode_16_64 0
		.amdhsa_float_denorm_mode_32 3
		.amdhsa_float_denorm_mode_16_64 3
		.amdhsa_dx10_clamp 1
		.amdhsa_ieee_mode 1
		.amdhsa_fp16_overflow 0
		.amdhsa_workgroup_processor_mode 1
		.amdhsa_memory_ordered 1
		.amdhsa_forward_progress 0
		.amdhsa_shared_vgpr_count 0
		.amdhsa_exception_fp_ieee_invalid_op 0
		.amdhsa_exception_fp_denorm_src 0
		.amdhsa_exception_fp_ieee_div_zero 0
		.amdhsa_exception_fp_ieee_overflow 0
		.amdhsa_exception_fp_ieee_underflow 0
		.amdhsa_exception_fp_ieee_inexact 0
		.amdhsa_exception_int_div_zero 0
	.end_amdhsa_kernel
	.section	.text._ZN7rocprim17ROCPRIM_400000_NS6detail17trampoline_kernelINS0_14default_configENS1_29binary_search_config_selectorIiN6thrust23THRUST_200600_302600_NS6detail10any_assignEEEZNS1_14transform_implILb0ES3_S9_NS7_15normal_iteratorINS6_10device_ptrIiEEEENS6_16discard_iteratorINS6_11use_defaultEEEZNS1_13binary_searchIS3_S9_SE_SE_SH_NS1_16binary_search_opENS7_16wrapped_functionINS0_4lessIvEEbEEEE10hipError_tPvRmT1_T2_T3_mmT4_T5_P12ihipStream_tbEUlRKiE_EESO_SS_ST_mSU_SX_bEUlT_E_NS1_11comp_targetILNS1_3genE0ELNS1_11target_archE4294967295ELNS1_3gpuE0ELNS1_3repE0EEENS1_30default_config_static_selectorELNS0_4arch9wavefront6targetE0EEEvSR_,"axG",@progbits,_ZN7rocprim17ROCPRIM_400000_NS6detail17trampoline_kernelINS0_14default_configENS1_29binary_search_config_selectorIiN6thrust23THRUST_200600_302600_NS6detail10any_assignEEEZNS1_14transform_implILb0ES3_S9_NS7_15normal_iteratorINS6_10device_ptrIiEEEENS6_16discard_iteratorINS6_11use_defaultEEEZNS1_13binary_searchIS3_S9_SE_SE_SH_NS1_16binary_search_opENS7_16wrapped_functionINS0_4lessIvEEbEEEE10hipError_tPvRmT1_T2_T3_mmT4_T5_P12ihipStream_tbEUlRKiE_EESO_SS_ST_mSU_SX_bEUlT_E_NS1_11comp_targetILNS1_3genE0ELNS1_11target_archE4294967295ELNS1_3gpuE0ELNS1_3repE0EEENS1_30default_config_static_selectorELNS0_4arch9wavefront6targetE0EEEvSR_,comdat
.Lfunc_end609:
	.size	_ZN7rocprim17ROCPRIM_400000_NS6detail17trampoline_kernelINS0_14default_configENS1_29binary_search_config_selectorIiN6thrust23THRUST_200600_302600_NS6detail10any_assignEEEZNS1_14transform_implILb0ES3_S9_NS7_15normal_iteratorINS6_10device_ptrIiEEEENS6_16discard_iteratorINS6_11use_defaultEEEZNS1_13binary_searchIS3_S9_SE_SE_SH_NS1_16binary_search_opENS7_16wrapped_functionINS0_4lessIvEEbEEEE10hipError_tPvRmT1_T2_T3_mmT4_T5_P12ihipStream_tbEUlRKiE_EESO_SS_ST_mSU_SX_bEUlT_E_NS1_11comp_targetILNS1_3genE0ELNS1_11target_archE4294967295ELNS1_3gpuE0ELNS1_3repE0EEENS1_30default_config_static_selectorELNS0_4arch9wavefront6targetE0EEEvSR_, .Lfunc_end609-_ZN7rocprim17ROCPRIM_400000_NS6detail17trampoline_kernelINS0_14default_configENS1_29binary_search_config_selectorIiN6thrust23THRUST_200600_302600_NS6detail10any_assignEEEZNS1_14transform_implILb0ES3_S9_NS7_15normal_iteratorINS6_10device_ptrIiEEEENS6_16discard_iteratorINS6_11use_defaultEEEZNS1_13binary_searchIS3_S9_SE_SE_SH_NS1_16binary_search_opENS7_16wrapped_functionINS0_4lessIvEEbEEEE10hipError_tPvRmT1_T2_T3_mmT4_T5_P12ihipStream_tbEUlRKiE_EESO_SS_ST_mSU_SX_bEUlT_E_NS1_11comp_targetILNS1_3genE0ELNS1_11target_archE4294967295ELNS1_3gpuE0ELNS1_3repE0EEENS1_30default_config_static_selectorELNS0_4arch9wavefront6targetE0EEEvSR_
                                        ; -- End function
	.section	.AMDGPU.csdata,"",@progbits
; Kernel info:
; codeLenInByte = 0
; NumSgprs: 0
; NumVgprs: 0
; ScratchSize: 0
; MemoryBound: 0
; FloatMode: 240
; IeeeMode: 1
; LDSByteSize: 0 bytes/workgroup (compile time only)
; SGPRBlocks: 0
; VGPRBlocks: 0
; NumSGPRsForWavesPerEU: 1
; NumVGPRsForWavesPerEU: 1
; Occupancy: 16
; WaveLimiterHint : 0
; COMPUTE_PGM_RSRC2:SCRATCH_EN: 0
; COMPUTE_PGM_RSRC2:USER_SGPR: 15
; COMPUTE_PGM_RSRC2:TRAP_HANDLER: 0
; COMPUTE_PGM_RSRC2:TGID_X_EN: 1
; COMPUTE_PGM_RSRC2:TGID_Y_EN: 0
; COMPUTE_PGM_RSRC2:TGID_Z_EN: 0
; COMPUTE_PGM_RSRC2:TIDIG_COMP_CNT: 0
	.section	.text._ZN7rocprim17ROCPRIM_400000_NS6detail17trampoline_kernelINS0_14default_configENS1_29binary_search_config_selectorIiN6thrust23THRUST_200600_302600_NS6detail10any_assignEEEZNS1_14transform_implILb0ES3_S9_NS7_15normal_iteratorINS6_10device_ptrIiEEEENS6_16discard_iteratorINS6_11use_defaultEEEZNS1_13binary_searchIS3_S9_SE_SE_SH_NS1_16binary_search_opENS7_16wrapped_functionINS0_4lessIvEEbEEEE10hipError_tPvRmT1_T2_T3_mmT4_T5_P12ihipStream_tbEUlRKiE_EESO_SS_ST_mSU_SX_bEUlT_E_NS1_11comp_targetILNS1_3genE5ELNS1_11target_archE942ELNS1_3gpuE9ELNS1_3repE0EEENS1_30default_config_static_selectorELNS0_4arch9wavefront6targetE0EEEvSR_,"axG",@progbits,_ZN7rocprim17ROCPRIM_400000_NS6detail17trampoline_kernelINS0_14default_configENS1_29binary_search_config_selectorIiN6thrust23THRUST_200600_302600_NS6detail10any_assignEEEZNS1_14transform_implILb0ES3_S9_NS7_15normal_iteratorINS6_10device_ptrIiEEEENS6_16discard_iteratorINS6_11use_defaultEEEZNS1_13binary_searchIS3_S9_SE_SE_SH_NS1_16binary_search_opENS7_16wrapped_functionINS0_4lessIvEEbEEEE10hipError_tPvRmT1_T2_T3_mmT4_T5_P12ihipStream_tbEUlRKiE_EESO_SS_ST_mSU_SX_bEUlT_E_NS1_11comp_targetILNS1_3genE5ELNS1_11target_archE942ELNS1_3gpuE9ELNS1_3repE0EEENS1_30default_config_static_selectorELNS0_4arch9wavefront6targetE0EEEvSR_,comdat
	.protected	_ZN7rocprim17ROCPRIM_400000_NS6detail17trampoline_kernelINS0_14default_configENS1_29binary_search_config_selectorIiN6thrust23THRUST_200600_302600_NS6detail10any_assignEEEZNS1_14transform_implILb0ES3_S9_NS7_15normal_iteratorINS6_10device_ptrIiEEEENS6_16discard_iteratorINS6_11use_defaultEEEZNS1_13binary_searchIS3_S9_SE_SE_SH_NS1_16binary_search_opENS7_16wrapped_functionINS0_4lessIvEEbEEEE10hipError_tPvRmT1_T2_T3_mmT4_T5_P12ihipStream_tbEUlRKiE_EESO_SS_ST_mSU_SX_bEUlT_E_NS1_11comp_targetILNS1_3genE5ELNS1_11target_archE942ELNS1_3gpuE9ELNS1_3repE0EEENS1_30default_config_static_selectorELNS0_4arch9wavefront6targetE0EEEvSR_ ; -- Begin function _ZN7rocprim17ROCPRIM_400000_NS6detail17trampoline_kernelINS0_14default_configENS1_29binary_search_config_selectorIiN6thrust23THRUST_200600_302600_NS6detail10any_assignEEEZNS1_14transform_implILb0ES3_S9_NS7_15normal_iteratorINS6_10device_ptrIiEEEENS6_16discard_iteratorINS6_11use_defaultEEEZNS1_13binary_searchIS3_S9_SE_SE_SH_NS1_16binary_search_opENS7_16wrapped_functionINS0_4lessIvEEbEEEE10hipError_tPvRmT1_T2_T3_mmT4_T5_P12ihipStream_tbEUlRKiE_EESO_SS_ST_mSU_SX_bEUlT_E_NS1_11comp_targetILNS1_3genE5ELNS1_11target_archE942ELNS1_3gpuE9ELNS1_3repE0EEENS1_30default_config_static_selectorELNS0_4arch9wavefront6targetE0EEEvSR_
	.globl	_ZN7rocprim17ROCPRIM_400000_NS6detail17trampoline_kernelINS0_14default_configENS1_29binary_search_config_selectorIiN6thrust23THRUST_200600_302600_NS6detail10any_assignEEEZNS1_14transform_implILb0ES3_S9_NS7_15normal_iteratorINS6_10device_ptrIiEEEENS6_16discard_iteratorINS6_11use_defaultEEEZNS1_13binary_searchIS3_S9_SE_SE_SH_NS1_16binary_search_opENS7_16wrapped_functionINS0_4lessIvEEbEEEE10hipError_tPvRmT1_T2_T3_mmT4_T5_P12ihipStream_tbEUlRKiE_EESO_SS_ST_mSU_SX_bEUlT_E_NS1_11comp_targetILNS1_3genE5ELNS1_11target_archE942ELNS1_3gpuE9ELNS1_3repE0EEENS1_30default_config_static_selectorELNS0_4arch9wavefront6targetE0EEEvSR_
	.p2align	8
	.type	_ZN7rocprim17ROCPRIM_400000_NS6detail17trampoline_kernelINS0_14default_configENS1_29binary_search_config_selectorIiN6thrust23THRUST_200600_302600_NS6detail10any_assignEEEZNS1_14transform_implILb0ES3_S9_NS7_15normal_iteratorINS6_10device_ptrIiEEEENS6_16discard_iteratorINS6_11use_defaultEEEZNS1_13binary_searchIS3_S9_SE_SE_SH_NS1_16binary_search_opENS7_16wrapped_functionINS0_4lessIvEEbEEEE10hipError_tPvRmT1_T2_T3_mmT4_T5_P12ihipStream_tbEUlRKiE_EESO_SS_ST_mSU_SX_bEUlT_E_NS1_11comp_targetILNS1_3genE5ELNS1_11target_archE942ELNS1_3gpuE9ELNS1_3repE0EEENS1_30default_config_static_selectorELNS0_4arch9wavefront6targetE0EEEvSR_,@function
_ZN7rocprim17ROCPRIM_400000_NS6detail17trampoline_kernelINS0_14default_configENS1_29binary_search_config_selectorIiN6thrust23THRUST_200600_302600_NS6detail10any_assignEEEZNS1_14transform_implILb0ES3_S9_NS7_15normal_iteratorINS6_10device_ptrIiEEEENS6_16discard_iteratorINS6_11use_defaultEEEZNS1_13binary_searchIS3_S9_SE_SE_SH_NS1_16binary_search_opENS7_16wrapped_functionINS0_4lessIvEEbEEEE10hipError_tPvRmT1_T2_T3_mmT4_T5_P12ihipStream_tbEUlRKiE_EESO_SS_ST_mSU_SX_bEUlT_E_NS1_11comp_targetILNS1_3genE5ELNS1_11target_archE942ELNS1_3gpuE9ELNS1_3repE0EEENS1_30default_config_static_selectorELNS0_4arch9wavefront6targetE0EEEvSR_: ; @_ZN7rocprim17ROCPRIM_400000_NS6detail17trampoline_kernelINS0_14default_configENS1_29binary_search_config_selectorIiN6thrust23THRUST_200600_302600_NS6detail10any_assignEEEZNS1_14transform_implILb0ES3_S9_NS7_15normal_iteratorINS6_10device_ptrIiEEEENS6_16discard_iteratorINS6_11use_defaultEEEZNS1_13binary_searchIS3_S9_SE_SE_SH_NS1_16binary_search_opENS7_16wrapped_functionINS0_4lessIvEEbEEEE10hipError_tPvRmT1_T2_T3_mmT4_T5_P12ihipStream_tbEUlRKiE_EESO_SS_ST_mSU_SX_bEUlT_E_NS1_11comp_targetILNS1_3genE5ELNS1_11target_archE942ELNS1_3gpuE9ELNS1_3repE0EEENS1_30default_config_static_selectorELNS0_4arch9wavefront6targetE0EEEvSR_
; %bb.0:
	.section	.rodata,"a",@progbits
	.p2align	6, 0x0
	.amdhsa_kernel _ZN7rocprim17ROCPRIM_400000_NS6detail17trampoline_kernelINS0_14default_configENS1_29binary_search_config_selectorIiN6thrust23THRUST_200600_302600_NS6detail10any_assignEEEZNS1_14transform_implILb0ES3_S9_NS7_15normal_iteratorINS6_10device_ptrIiEEEENS6_16discard_iteratorINS6_11use_defaultEEEZNS1_13binary_searchIS3_S9_SE_SE_SH_NS1_16binary_search_opENS7_16wrapped_functionINS0_4lessIvEEbEEEE10hipError_tPvRmT1_T2_T3_mmT4_T5_P12ihipStream_tbEUlRKiE_EESO_SS_ST_mSU_SX_bEUlT_E_NS1_11comp_targetILNS1_3genE5ELNS1_11target_archE942ELNS1_3gpuE9ELNS1_3repE0EEENS1_30default_config_static_selectorELNS0_4arch9wavefront6targetE0EEEvSR_
		.amdhsa_group_segment_fixed_size 0
		.amdhsa_private_segment_fixed_size 0
		.amdhsa_kernarg_size 64
		.amdhsa_user_sgpr_count 15
		.amdhsa_user_sgpr_dispatch_ptr 0
		.amdhsa_user_sgpr_queue_ptr 0
		.amdhsa_user_sgpr_kernarg_segment_ptr 1
		.amdhsa_user_sgpr_dispatch_id 0
		.amdhsa_user_sgpr_private_segment_size 0
		.amdhsa_wavefront_size32 1
		.amdhsa_uses_dynamic_stack 0
		.amdhsa_enable_private_segment 0
		.amdhsa_system_sgpr_workgroup_id_x 1
		.amdhsa_system_sgpr_workgroup_id_y 0
		.amdhsa_system_sgpr_workgroup_id_z 0
		.amdhsa_system_sgpr_workgroup_info 0
		.amdhsa_system_vgpr_workitem_id 0
		.amdhsa_next_free_vgpr 1
		.amdhsa_next_free_sgpr 1
		.amdhsa_reserve_vcc 0
		.amdhsa_float_round_mode_32 0
		.amdhsa_float_round_mode_16_64 0
		.amdhsa_float_denorm_mode_32 3
		.amdhsa_float_denorm_mode_16_64 3
		.amdhsa_dx10_clamp 1
		.amdhsa_ieee_mode 1
		.amdhsa_fp16_overflow 0
		.amdhsa_workgroup_processor_mode 1
		.amdhsa_memory_ordered 1
		.amdhsa_forward_progress 0
		.amdhsa_shared_vgpr_count 0
		.amdhsa_exception_fp_ieee_invalid_op 0
		.amdhsa_exception_fp_denorm_src 0
		.amdhsa_exception_fp_ieee_div_zero 0
		.amdhsa_exception_fp_ieee_overflow 0
		.amdhsa_exception_fp_ieee_underflow 0
		.amdhsa_exception_fp_ieee_inexact 0
		.amdhsa_exception_int_div_zero 0
	.end_amdhsa_kernel
	.section	.text._ZN7rocprim17ROCPRIM_400000_NS6detail17trampoline_kernelINS0_14default_configENS1_29binary_search_config_selectorIiN6thrust23THRUST_200600_302600_NS6detail10any_assignEEEZNS1_14transform_implILb0ES3_S9_NS7_15normal_iteratorINS6_10device_ptrIiEEEENS6_16discard_iteratorINS6_11use_defaultEEEZNS1_13binary_searchIS3_S9_SE_SE_SH_NS1_16binary_search_opENS7_16wrapped_functionINS0_4lessIvEEbEEEE10hipError_tPvRmT1_T2_T3_mmT4_T5_P12ihipStream_tbEUlRKiE_EESO_SS_ST_mSU_SX_bEUlT_E_NS1_11comp_targetILNS1_3genE5ELNS1_11target_archE942ELNS1_3gpuE9ELNS1_3repE0EEENS1_30default_config_static_selectorELNS0_4arch9wavefront6targetE0EEEvSR_,"axG",@progbits,_ZN7rocprim17ROCPRIM_400000_NS6detail17trampoline_kernelINS0_14default_configENS1_29binary_search_config_selectorIiN6thrust23THRUST_200600_302600_NS6detail10any_assignEEEZNS1_14transform_implILb0ES3_S9_NS7_15normal_iteratorINS6_10device_ptrIiEEEENS6_16discard_iteratorINS6_11use_defaultEEEZNS1_13binary_searchIS3_S9_SE_SE_SH_NS1_16binary_search_opENS7_16wrapped_functionINS0_4lessIvEEbEEEE10hipError_tPvRmT1_T2_T3_mmT4_T5_P12ihipStream_tbEUlRKiE_EESO_SS_ST_mSU_SX_bEUlT_E_NS1_11comp_targetILNS1_3genE5ELNS1_11target_archE942ELNS1_3gpuE9ELNS1_3repE0EEENS1_30default_config_static_selectorELNS0_4arch9wavefront6targetE0EEEvSR_,comdat
.Lfunc_end610:
	.size	_ZN7rocprim17ROCPRIM_400000_NS6detail17trampoline_kernelINS0_14default_configENS1_29binary_search_config_selectorIiN6thrust23THRUST_200600_302600_NS6detail10any_assignEEEZNS1_14transform_implILb0ES3_S9_NS7_15normal_iteratorINS6_10device_ptrIiEEEENS6_16discard_iteratorINS6_11use_defaultEEEZNS1_13binary_searchIS3_S9_SE_SE_SH_NS1_16binary_search_opENS7_16wrapped_functionINS0_4lessIvEEbEEEE10hipError_tPvRmT1_T2_T3_mmT4_T5_P12ihipStream_tbEUlRKiE_EESO_SS_ST_mSU_SX_bEUlT_E_NS1_11comp_targetILNS1_3genE5ELNS1_11target_archE942ELNS1_3gpuE9ELNS1_3repE0EEENS1_30default_config_static_selectorELNS0_4arch9wavefront6targetE0EEEvSR_, .Lfunc_end610-_ZN7rocprim17ROCPRIM_400000_NS6detail17trampoline_kernelINS0_14default_configENS1_29binary_search_config_selectorIiN6thrust23THRUST_200600_302600_NS6detail10any_assignEEEZNS1_14transform_implILb0ES3_S9_NS7_15normal_iteratorINS6_10device_ptrIiEEEENS6_16discard_iteratorINS6_11use_defaultEEEZNS1_13binary_searchIS3_S9_SE_SE_SH_NS1_16binary_search_opENS7_16wrapped_functionINS0_4lessIvEEbEEEE10hipError_tPvRmT1_T2_T3_mmT4_T5_P12ihipStream_tbEUlRKiE_EESO_SS_ST_mSU_SX_bEUlT_E_NS1_11comp_targetILNS1_3genE5ELNS1_11target_archE942ELNS1_3gpuE9ELNS1_3repE0EEENS1_30default_config_static_selectorELNS0_4arch9wavefront6targetE0EEEvSR_
                                        ; -- End function
	.section	.AMDGPU.csdata,"",@progbits
; Kernel info:
; codeLenInByte = 0
; NumSgprs: 0
; NumVgprs: 0
; ScratchSize: 0
; MemoryBound: 0
; FloatMode: 240
; IeeeMode: 1
; LDSByteSize: 0 bytes/workgroup (compile time only)
; SGPRBlocks: 0
; VGPRBlocks: 0
; NumSGPRsForWavesPerEU: 1
; NumVGPRsForWavesPerEU: 1
; Occupancy: 16
; WaveLimiterHint : 0
; COMPUTE_PGM_RSRC2:SCRATCH_EN: 0
; COMPUTE_PGM_RSRC2:USER_SGPR: 15
; COMPUTE_PGM_RSRC2:TRAP_HANDLER: 0
; COMPUTE_PGM_RSRC2:TGID_X_EN: 1
; COMPUTE_PGM_RSRC2:TGID_Y_EN: 0
; COMPUTE_PGM_RSRC2:TGID_Z_EN: 0
; COMPUTE_PGM_RSRC2:TIDIG_COMP_CNT: 0
	.section	.text._ZN7rocprim17ROCPRIM_400000_NS6detail17trampoline_kernelINS0_14default_configENS1_29binary_search_config_selectorIiN6thrust23THRUST_200600_302600_NS6detail10any_assignEEEZNS1_14transform_implILb0ES3_S9_NS7_15normal_iteratorINS6_10device_ptrIiEEEENS6_16discard_iteratorINS6_11use_defaultEEEZNS1_13binary_searchIS3_S9_SE_SE_SH_NS1_16binary_search_opENS7_16wrapped_functionINS0_4lessIvEEbEEEE10hipError_tPvRmT1_T2_T3_mmT4_T5_P12ihipStream_tbEUlRKiE_EESO_SS_ST_mSU_SX_bEUlT_E_NS1_11comp_targetILNS1_3genE4ELNS1_11target_archE910ELNS1_3gpuE8ELNS1_3repE0EEENS1_30default_config_static_selectorELNS0_4arch9wavefront6targetE0EEEvSR_,"axG",@progbits,_ZN7rocprim17ROCPRIM_400000_NS6detail17trampoline_kernelINS0_14default_configENS1_29binary_search_config_selectorIiN6thrust23THRUST_200600_302600_NS6detail10any_assignEEEZNS1_14transform_implILb0ES3_S9_NS7_15normal_iteratorINS6_10device_ptrIiEEEENS6_16discard_iteratorINS6_11use_defaultEEEZNS1_13binary_searchIS3_S9_SE_SE_SH_NS1_16binary_search_opENS7_16wrapped_functionINS0_4lessIvEEbEEEE10hipError_tPvRmT1_T2_T3_mmT4_T5_P12ihipStream_tbEUlRKiE_EESO_SS_ST_mSU_SX_bEUlT_E_NS1_11comp_targetILNS1_3genE4ELNS1_11target_archE910ELNS1_3gpuE8ELNS1_3repE0EEENS1_30default_config_static_selectorELNS0_4arch9wavefront6targetE0EEEvSR_,comdat
	.protected	_ZN7rocprim17ROCPRIM_400000_NS6detail17trampoline_kernelINS0_14default_configENS1_29binary_search_config_selectorIiN6thrust23THRUST_200600_302600_NS6detail10any_assignEEEZNS1_14transform_implILb0ES3_S9_NS7_15normal_iteratorINS6_10device_ptrIiEEEENS6_16discard_iteratorINS6_11use_defaultEEEZNS1_13binary_searchIS3_S9_SE_SE_SH_NS1_16binary_search_opENS7_16wrapped_functionINS0_4lessIvEEbEEEE10hipError_tPvRmT1_T2_T3_mmT4_T5_P12ihipStream_tbEUlRKiE_EESO_SS_ST_mSU_SX_bEUlT_E_NS1_11comp_targetILNS1_3genE4ELNS1_11target_archE910ELNS1_3gpuE8ELNS1_3repE0EEENS1_30default_config_static_selectorELNS0_4arch9wavefront6targetE0EEEvSR_ ; -- Begin function _ZN7rocprim17ROCPRIM_400000_NS6detail17trampoline_kernelINS0_14default_configENS1_29binary_search_config_selectorIiN6thrust23THRUST_200600_302600_NS6detail10any_assignEEEZNS1_14transform_implILb0ES3_S9_NS7_15normal_iteratorINS6_10device_ptrIiEEEENS6_16discard_iteratorINS6_11use_defaultEEEZNS1_13binary_searchIS3_S9_SE_SE_SH_NS1_16binary_search_opENS7_16wrapped_functionINS0_4lessIvEEbEEEE10hipError_tPvRmT1_T2_T3_mmT4_T5_P12ihipStream_tbEUlRKiE_EESO_SS_ST_mSU_SX_bEUlT_E_NS1_11comp_targetILNS1_3genE4ELNS1_11target_archE910ELNS1_3gpuE8ELNS1_3repE0EEENS1_30default_config_static_selectorELNS0_4arch9wavefront6targetE0EEEvSR_
	.globl	_ZN7rocprim17ROCPRIM_400000_NS6detail17trampoline_kernelINS0_14default_configENS1_29binary_search_config_selectorIiN6thrust23THRUST_200600_302600_NS6detail10any_assignEEEZNS1_14transform_implILb0ES3_S9_NS7_15normal_iteratorINS6_10device_ptrIiEEEENS6_16discard_iteratorINS6_11use_defaultEEEZNS1_13binary_searchIS3_S9_SE_SE_SH_NS1_16binary_search_opENS7_16wrapped_functionINS0_4lessIvEEbEEEE10hipError_tPvRmT1_T2_T3_mmT4_T5_P12ihipStream_tbEUlRKiE_EESO_SS_ST_mSU_SX_bEUlT_E_NS1_11comp_targetILNS1_3genE4ELNS1_11target_archE910ELNS1_3gpuE8ELNS1_3repE0EEENS1_30default_config_static_selectorELNS0_4arch9wavefront6targetE0EEEvSR_
	.p2align	8
	.type	_ZN7rocprim17ROCPRIM_400000_NS6detail17trampoline_kernelINS0_14default_configENS1_29binary_search_config_selectorIiN6thrust23THRUST_200600_302600_NS6detail10any_assignEEEZNS1_14transform_implILb0ES3_S9_NS7_15normal_iteratorINS6_10device_ptrIiEEEENS6_16discard_iteratorINS6_11use_defaultEEEZNS1_13binary_searchIS3_S9_SE_SE_SH_NS1_16binary_search_opENS7_16wrapped_functionINS0_4lessIvEEbEEEE10hipError_tPvRmT1_T2_T3_mmT4_T5_P12ihipStream_tbEUlRKiE_EESO_SS_ST_mSU_SX_bEUlT_E_NS1_11comp_targetILNS1_3genE4ELNS1_11target_archE910ELNS1_3gpuE8ELNS1_3repE0EEENS1_30default_config_static_selectorELNS0_4arch9wavefront6targetE0EEEvSR_,@function
_ZN7rocprim17ROCPRIM_400000_NS6detail17trampoline_kernelINS0_14default_configENS1_29binary_search_config_selectorIiN6thrust23THRUST_200600_302600_NS6detail10any_assignEEEZNS1_14transform_implILb0ES3_S9_NS7_15normal_iteratorINS6_10device_ptrIiEEEENS6_16discard_iteratorINS6_11use_defaultEEEZNS1_13binary_searchIS3_S9_SE_SE_SH_NS1_16binary_search_opENS7_16wrapped_functionINS0_4lessIvEEbEEEE10hipError_tPvRmT1_T2_T3_mmT4_T5_P12ihipStream_tbEUlRKiE_EESO_SS_ST_mSU_SX_bEUlT_E_NS1_11comp_targetILNS1_3genE4ELNS1_11target_archE910ELNS1_3gpuE8ELNS1_3repE0EEENS1_30default_config_static_selectorELNS0_4arch9wavefront6targetE0EEEvSR_: ; @_ZN7rocprim17ROCPRIM_400000_NS6detail17trampoline_kernelINS0_14default_configENS1_29binary_search_config_selectorIiN6thrust23THRUST_200600_302600_NS6detail10any_assignEEEZNS1_14transform_implILb0ES3_S9_NS7_15normal_iteratorINS6_10device_ptrIiEEEENS6_16discard_iteratorINS6_11use_defaultEEEZNS1_13binary_searchIS3_S9_SE_SE_SH_NS1_16binary_search_opENS7_16wrapped_functionINS0_4lessIvEEbEEEE10hipError_tPvRmT1_T2_T3_mmT4_T5_P12ihipStream_tbEUlRKiE_EESO_SS_ST_mSU_SX_bEUlT_E_NS1_11comp_targetILNS1_3genE4ELNS1_11target_archE910ELNS1_3gpuE8ELNS1_3repE0EEENS1_30default_config_static_selectorELNS0_4arch9wavefront6targetE0EEEvSR_
; %bb.0:
	.section	.rodata,"a",@progbits
	.p2align	6, 0x0
	.amdhsa_kernel _ZN7rocprim17ROCPRIM_400000_NS6detail17trampoline_kernelINS0_14default_configENS1_29binary_search_config_selectorIiN6thrust23THRUST_200600_302600_NS6detail10any_assignEEEZNS1_14transform_implILb0ES3_S9_NS7_15normal_iteratorINS6_10device_ptrIiEEEENS6_16discard_iteratorINS6_11use_defaultEEEZNS1_13binary_searchIS3_S9_SE_SE_SH_NS1_16binary_search_opENS7_16wrapped_functionINS0_4lessIvEEbEEEE10hipError_tPvRmT1_T2_T3_mmT4_T5_P12ihipStream_tbEUlRKiE_EESO_SS_ST_mSU_SX_bEUlT_E_NS1_11comp_targetILNS1_3genE4ELNS1_11target_archE910ELNS1_3gpuE8ELNS1_3repE0EEENS1_30default_config_static_selectorELNS0_4arch9wavefront6targetE0EEEvSR_
		.amdhsa_group_segment_fixed_size 0
		.amdhsa_private_segment_fixed_size 0
		.amdhsa_kernarg_size 64
		.amdhsa_user_sgpr_count 15
		.amdhsa_user_sgpr_dispatch_ptr 0
		.amdhsa_user_sgpr_queue_ptr 0
		.amdhsa_user_sgpr_kernarg_segment_ptr 1
		.amdhsa_user_sgpr_dispatch_id 0
		.amdhsa_user_sgpr_private_segment_size 0
		.amdhsa_wavefront_size32 1
		.amdhsa_uses_dynamic_stack 0
		.amdhsa_enable_private_segment 0
		.amdhsa_system_sgpr_workgroup_id_x 1
		.amdhsa_system_sgpr_workgroup_id_y 0
		.amdhsa_system_sgpr_workgroup_id_z 0
		.amdhsa_system_sgpr_workgroup_info 0
		.amdhsa_system_vgpr_workitem_id 0
		.amdhsa_next_free_vgpr 1
		.amdhsa_next_free_sgpr 1
		.amdhsa_reserve_vcc 0
		.amdhsa_float_round_mode_32 0
		.amdhsa_float_round_mode_16_64 0
		.amdhsa_float_denorm_mode_32 3
		.amdhsa_float_denorm_mode_16_64 3
		.amdhsa_dx10_clamp 1
		.amdhsa_ieee_mode 1
		.amdhsa_fp16_overflow 0
		.amdhsa_workgroup_processor_mode 1
		.amdhsa_memory_ordered 1
		.amdhsa_forward_progress 0
		.amdhsa_shared_vgpr_count 0
		.amdhsa_exception_fp_ieee_invalid_op 0
		.amdhsa_exception_fp_denorm_src 0
		.amdhsa_exception_fp_ieee_div_zero 0
		.amdhsa_exception_fp_ieee_overflow 0
		.amdhsa_exception_fp_ieee_underflow 0
		.amdhsa_exception_fp_ieee_inexact 0
		.amdhsa_exception_int_div_zero 0
	.end_amdhsa_kernel
	.section	.text._ZN7rocprim17ROCPRIM_400000_NS6detail17trampoline_kernelINS0_14default_configENS1_29binary_search_config_selectorIiN6thrust23THRUST_200600_302600_NS6detail10any_assignEEEZNS1_14transform_implILb0ES3_S9_NS7_15normal_iteratorINS6_10device_ptrIiEEEENS6_16discard_iteratorINS6_11use_defaultEEEZNS1_13binary_searchIS3_S9_SE_SE_SH_NS1_16binary_search_opENS7_16wrapped_functionINS0_4lessIvEEbEEEE10hipError_tPvRmT1_T2_T3_mmT4_T5_P12ihipStream_tbEUlRKiE_EESO_SS_ST_mSU_SX_bEUlT_E_NS1_11comp_targetILNS1_3genE4ELNS1_11target_archE910ELNS1_3gpuE8ELNS1_3repE0EEENS1_30default_config_static_selectorELNS0_4arch9wavefront6targetE0EEEvSR_,"axG",@progbits,_ZN7rocprim17ROCPRIM_400000_NS6detail17trampoline_kernelINS0_14default_configENS1_29binary_search_config_selectorIiN6thrust23THRUST_200600_302600_NS6detail10any_assignEEEZNS1_14transform_implILb0ES3_S9_NS7_15normal_iteratorINS6_10device_ptrIiEEEENS6_16discard_iteratorINS6_11use_defaultEEEZNS1_13binary_searchIS3_S9_SE_SE_SH_NS1_16binary_search_opENS7_16wrapped_functionINS0_4lessIvEEbEEEE10hipError_tPvRmT1_T2_T3_mmT4_T5_P12ihipStream_tbEUlRKiE_EESO_SS_ST_mSU_SX_bEUlT_E_NS1_11comp_targetILNS1_3genE4ELNS1_11target_archE910ELNS1_3gpuE8ELNS1_3repE0EEENS1_30default_config_static_selectorELNS0_4arch9wavefront6targetE0EEEvSR_,comdat
.Lfunc_end611:
	.size	_ZN7rocprim17ROCPRIM_400000_NS6detail17trampoline_kernelINS0_14default_configENS1_29binary_search_config_selectorIiN6thrust23THRUST_200600_302600_NS6detail10any_assignEEEZNS1_14transform_implILb0ES3_S9_NS7_15normal_iteratorINS6_10device_ptrIiEEEENS6_16discard_iteratorINS6_11use_defaultEEEZNS1_13binary_searchIS3_S9_SE_SE_SH_NS1_16binary_search_opENS7_16wrapped_functionINS0_4lessIvEEbEEEE10hipError_tPvRmT1_T2_T3_mmT4_T5_P12ihipStream_tbEUlRKiE_EESO_SS_ST_mSU_SX_bEUlT_E_NS1_11comp_targetILNS1_3genE4ELNS1_11target_archE910ELNS1_3gpuE8ELNS1_3repE0EEENS1_30default_config_static_selectorELNS0_4arch9wavefront6targetE0EEEvSR_, .Lfunc_end611-_ZN7rocprim17ROCPRIM_400000_NS6detail17trampoline_kernelINS0_14default_configENS1_29binary_search_config_selectorIiN6thrust23THRUST_200600_302600_NS6detail10any_assignEEEZNS1_14transform_implILb0ES3_S9_NS7_15normal_iteratorINS6_10device_ptrIiEEEENS6_16discard_iteratorINS6_11use_defaultEEEZNS1_13binary_searchIS3_S9_SE_SE_SH_NS1_16binary_search_opENS7_16wrapped_functionINS0_4lessIvEEbEEEE10hipError_tPvRmT1_T2_T3_mmT4_T5_P12ihipStream_tbEUlRKiE_EESO_SS_ST_mSU_SX_bEUlT_E_NS1_11comp_targetILNS1_3genE4ELNS1_11target_archE910ELNS1_3gpuE8ELNS1_3repE0EEENS1_30default_config_static_selectorELNS0_4arch9wavefront6targetE0EEEvSR_
                                        ; -- End function
	.section	.AMDGPU.csdata,"",@progbits
; Kernel info:
; codeLenInByte = 0
; NumSgprs: 0
; NumVgprs: 0
; ScratchSize: 0
; MemoryBound: 0
; FloatMode: 240
; IeeeMode: 1
; LDSByteSize: 0 bytes/workgroup (compile time only)
; SGPRBlocks: 0
; VGPRBlocks: 0
; NumSGPRsForWavesPerEU: 1
; NumVGPRsForWavesPerEU: 1
; Occupancy: 16
; WaveLimiterHint : 0
; COMPUTE_PGM_RSRC2:SCRATCH_EN: 0
; COMPUTE_PGM_RSRC2:USER_SGPR: 15
; COMPUTE_PGM_RSRC2:TRAP_HANDLER: 0
; COMPUTE_PGM_RSRC2:TGID_X_EN: 1
; COMPUTE_PGM_RSRC2:TGID_Y_EN: 0
; COMPUTE_PGM_RSRC2:TGID_Z_EN: 0
; COMPUTE_PGM_RSRC2:TIDIG_COMP_CNT: 0
	.section	.text._ZN7rocprim17ROCPRIM_400000_NS6detail17trampoline_kernelINS0_14default_configENS1_29binary_search_config_selectorIiN6thrust23THRUST_200600_302600_NS6detail10any_assignEEEZNS1_14transform_implILb0ES3_S9_NS7_15normal_iteratorINS6_10device_ptrIiEEEENS6_16discard_iteratorINS6_11use_defaultEEEZNS1_13binary_searchIS3_S9_SE_SE_SH_NS1_16binary_search_opENS7_16wrapped_functionINS0_4lessIvEEbEEEE10hipError_tPvRmT1_T2_T3_mmT4_T5_P12ihipStream_tbEUlRKiE_EESO_SS_ST_mSU_SX_bEUlT_E_NS1_11comp_targetILNS1_3genE3ELNS1_11target_archE908ELNS1_3gpuE7ELNS1_3repE0EEENS1_30default_config_static_selectorELNS0_4arch9wavefront6targetE0EEEvSR_,"axG",@progbits,_ZN7rocprim17ROCPRIM_400000_NS6detail17trampoline_kernelINS0_14default_configENS1_29binary_search_config_selectorIiN6thrust23THRUST_200600_302600_NS6detail10any_assignEEEZNS1_14transform_implILb0ES3_S9_NS7_15normal_iteratorINS6_10device_ptrIiEEEENS6_16discard_iteratorINS6_11use_defaultEEEZNS1_13binary_searchIS3_S9_SE_SE_SH_NS1_16binary_search_opENS7_16wrapped_functionINS0_4lessIvEEbEEEE10hipError_tPvRmT1_T2_T3_mmT4_T5_P12ihipStream_tbEUlRKiE_EESO_SS_ST_mSU_SX_bEUlT_E_NS1_11comp_targetILNS1_3genE3ELNS1_11target_archE908ELNS1_3gpuE7ELNS1_3repE0EEENS1_30default_config_static_selectorELNS0_4arch9wavefront6targetE0EEEvSR_,comdat
	.protected	_ZN7rocprim17ROCPRIM_400000_NS6detail17trampoline_kernelINS0_14default_configENS1_29binary_search_config_selectorIiN6thrust23THRUST_200600_302600_NS6detail10any_assignEEEZNS1_14transform_implILb0ES3_S9_NS7_15normal_iteratorINS6_10device_ptrIiEEEENS6_16discard_iteratorINS6_11use_defaultEEEZNS1_13binary_searchIS3_S9_SE_SE_SH_NS1_16binary_search_opENS7_16wrapped_functionINS0_4lessIvEEbEEEE10hipError_tPvRmT1_T2_T3_mmT4_T5_P12ihipStream_tbEUlRKiE_EESO_SS_ST_mSU_SX_bEUlT_E_NS1_11comp_targetILNS1_3genE3ELNS1_11target_archE908ELNS1_3gpuE7ELNS1_3repE0EEENS1_30default_config_static_selectorELNS0_4arch9wavefront6targetE0EEEvSR_ ; -- Begin function _ZN7rocprim17ROCPRIM_400000_NS6detail17trampoline_kernelINS0_14default_configENS1_29binary_search_config_selectorIiN6thrust23THRUST_200600_302600_NS6detail10any_assignEEEZNS1_14transform_implILb0ES3_S9_NS7_15normal_iteratorINS6_10device_ptrIiEEEENS6_16discard_iteratorINS6_11use_defaultEEEZNS1_13binary_searchIS3_S9_SE_SE_SH_NS1_16binary_search_opENS7_16wrapped_functionINS0_4lessIvEEbEEEE10hipError_tPvRmT1_T2_T3_mmT4_T5_P12ihipStream_tbEUlRKiE_EESO_SS_ST_mSU_SX_bEUlT_E_NS1_11comp_targetILNS1_3genE3ELNS1_11target_archE908ELNS1_3gpuE7ELNS1_3repE0EEENS1_30default_config_static_selectorELNS0_4arch9wavefront6targetE0EEEvSR_
	.globl	_ZN7rocprim17ROCPRIM_400000_NS6detail17trampoline_kernelINS0_14default_configENS1_29binary_search_config_selectorIiN6thrust23THRUST_200600_302600_NS6detail10any_assignEEEZNS1_14transform_implILb0ES3_S9_NS7_15normal_iteratorINS6_10device_ptrIiEEEENS6_16discard_iteratorINS6_11use_defaultEEEZNS1_13binary_searchIS3_S9_SE_SE_SH_NS1_16binary_search_opENS7_16wrapped_functionINS0_4lessIvEEbEEEE10hipError_tPvRmT1_T2_T3_mmT4_T5_P12ihipStream_tbEUlRKiE_EESO_SS_ST_mSU_SX_bEUlT_E_NS1_11comp_targetILNS1_3genE3ELNS1_11target_archE908ELNS1_3gpuE7ELNS1_3repE0EEENS1_30default_config_static_selectorELNS0_4arch9wavefront6targetE0EEEvSR_
	.p2align	8
	.type	_ZN7rocprim17ROCPRIM_400000_NS6detail17trampoline_kernelINS0_14default_configENS1_29binary_search_config_selectorIiN6thrust23THRUST_200600_302600_NS6detail10any_assignEEEZNS1_14transform_implILb0ES3_S9_NS7_15normal_iteratorINS6_10device_ptrIiEEEENS6_16discard_iteratorINS6_11use_defaultEEEZNS1_13binary_searchIS3_S9_SE_SE_SH_NS1_16binary_search_opENS7_16wrapped_functionINS0_4lessIvEEbEEEE10hipError_tPvRmT1_T2_T3_mmT4_T5_P12ihipStream_tbEUlRKiE_EESO_SS_ST_mSU_SX_bEUlT_E_NS1_11comp_targetILNS1_3genE3ELNS1_11target_archE908ELNS1_3gpuE7ELNS1_3repE0EEENS1_30default_config_static_selectorELNS0_4arch9wavefront6targetE0EEEvSR_,@function
_ZN7rocprim17ROCPRIM_400000_NS6detail17trampoline_kernelINS0_14default_configENS1_29binary_search_config_selectorIiN6thrust23THRUST_200600_302600_NS6detail10any_assignEEEZNS1_14transform_implILb0ES3_S9_NS7_15normal_iteratorINS6_10device_ptrIiEEEENS6_16discard_iteratorINS6_11use_defaultEEEZNS1_13binary_searchIS3_S9_SE_SE_SH_NS1_16binary_search_opENS7_16wrapped_functionINS0_4lessIvEEbEEEE10hipError_tPvRmT1_T2_T3_mmT4_T5_P12ihipStream_tbEUlRKiE_EESO_SS_ST_mSU_SX_bEUlT_E_NS1_11comp_targetILNS1_3genE3ELNS1_11target_archE908ELNS1_3gpuE7ELNS1_3repE0EEENS1_30default_config_static_selectorELNS0_4arch9wavefront6targetE0EEEvSR_: ; @_ZN7rocprim17ROCPRIM_400000_NS6detail17trampoline_kernelINS0_14default_configENS1_29binary_search_config_selectorIiN6thrust23THRUST_200600_302600_NS6detail10any_assignEEEZNS1_14transform_implILb0ES3_S9_NS7_15normal_iteratorINS6_10device_ptrIiEEEENS6_16discard_iteratorINS6_11use_defaultEEEZNS1_13binary_searchIS3_S9_SE_SE_SH_NS1_16binary_search_opENS7_16wrapped_functionINS0_4lessIvEEbEEEE10hipError_tPvRmT1_T2_T3_mmT4_T5_P12ihipStream_tbEUlRKiE_EESO_SS_ST_mSU_SX_bEUlT_E_NS1_11comp_targetILNS1_3genE3ELNS1_11target_archE908ELNS1_3gpuE7ELNS1_3repE0EEENS1_30default_config_static_selectorELNS0_4arch9wavefront6targetE0EEEvSR_
; %bb.0:
	.section	.rodata,"a",@progbits
	.p2align	6, 0x0
	.amdhsa_kernel _ZN7rocprim17ROCPRIM_400000_NS6detail17trampoline_kernelINS0_14default_configENS1_29binary_search_config_selectorIiN6thrust23THRUST_200600_302600_NS6detail10any_assignEEEZNS1_14transform_implILb0ES3_S9_NS7_15normal_iteratorINS6_10device_ptrIiEEEENS6_16discard_iteratorINS6_11use_defaultEEEZNS1_13binary_searchIS3_S9_SE_SE_SH_NS1_16binary_search_opENS7_16wrapped_functionINS0_4lessIvEEbEEEE10hipError_tPvRmT1_T2_T3_mmT4_T5_P12ihipStream_tbEUlRKiE_EESO_SS_ST_mSU_SX_bEUlT_E_NS1_11comp_targetILNS1_3genE3ELNS1_11target_archE908ELNS1_3gpuE7ELNS1_3repE0EEENS1_30default_config_static_selectorELNS0_4arch9wavefront6targetE0EEEvSR_
		.amdhsa_group_segment_fixed_size 0
		.amdhsa_private_segment_fixed_size 0
		.amdhsa_kernarg_size 64
		.amdhsa_user_sgpr_count 15
		.amdhsa_user_sgpr_dispatch_ptr 0
		.amdhsa_user_sgpr_queue_ptr 0
		.amdhsa_user_sgpr_kernarg_segment_ptr 1
		.amdhsa_user_sgpr_dispatch_id 0
		.amdhsa_user_sgpr_private_segment_size 0
		.amdhsa_wavefront_size32 1
		.amdhsa_uses_dynamic_stack 0
		.amdhsa_enable_private_segment 0
		.amdhsa_system_sgpr_workgroup_id_x 1
		.amdhsa_system_sgpr_workgroup_id_y 0
		.amdhsa_system_sgpr_workgroup_id_z 0
		.amdhsa_system_sgpr_workgroup_info 0
		.amdhsa_system_vgpr_workitem_id 0
		.amdhsa_next_free_vgpr 1
		.amdhsa_next_free_sgpr 1
		.amdhsa_reserve_vcc 0
		.amdhsa_float_round_mode_32 0
		.amdhsa_float_round_mode_16_64 0
		.amdhsa_float_denorm_mode_32 3
		.amdhsa_float_denorm_mode_16_64 3
		.amdhsa_dx10_clamp 1
		.amdhsa_ieee_mode 1
		.amdhsa_fp16_overflow 0
		.amdhsa_workgroup_processor_mode 1
		.amdhsa_memory_ordered 1
		.amdhsa_forward_progress 0
		.amdhsa_shared_vgpr_count 0
		.amdhsa_exception_fp_ieee_invalid_op 0
		.amdhsa_exception_fp_denorm_src 0
		.amdhsa_exception_fp_ieee_div_zero 0
		.amdhsa_exception_fp_ieee_overflow 0
		.amdhsa_exception_fp_ieee_underflow 0
		.amdhsa_exception_fp_ieee_inexact 0
		.amdhsa_exception_int_div_zero 0
	.end_amdhsa_kernel
	.section	.text._ZN7rocprim17ROCPRIM_400000_NS6detail17trampoline_kernelINS0_14default_configENS1_29binary_search_config_selectorIiN6thrust23THRUST_200600_302600_NS6detail10any_assignEEEZNS1_14transform_implILb0ES3_S9_NS7_15normal_iteratorINS6_10device_ptrIiEEEENS6_16discard_iteratorINS6_11use_defaultEEEZNS1_13binary_searchIS3_S9_SE_SE_SH_NS1_16binary_search_opENS7_16wrapped_functionINS0_4lessIvEEbEEEE10hipError_tPvRmT1_T2_T3_mmT4_T5_P12ihipStream_tbEUlRKiE_EESO_SS_ST_mSU_SX_bEUlT_E_NS1_11comp_targetILNS1_3genE3ELNS1_11target_archE908ELNS1_3gpuE7ELNS1_3repE0EEENS1_30default_config_static_selectorELNS0_4arch9wavefront6targetE0EEEvSR_,"axG",@progbits,_ZN7rocprim17ROCPRIM_400000_NS6detail17trampoline_kernelINS0_14default_configENS1_29binary_search_config_selectorIiN6thrust23THRUST_200600_302600_NS6detail10any_assignEEEZNS1_14transform_implILb0ES3_S9_NS7_15normal_iteratorINS6_10device_ptrIiEEEENS6_16discard_iteratorINS6_11use_defaultEEEZNS1_13binary_searchIS3_S9_SE_SE_SH_NS1_16binary_search_opENS7_16wrapped_functionINS0_4lessIvEEbEEEE10hipError_tPvRmT1_T2_T3_mmT4_T5_P12ihipStream_tbEUlRKiE_EESO_SS_ST_mSU_SX_bEUlT_E_NS1_11comp_targetILNS1_3genE3ELNS1_11target_archE908ELNS1_3gpuE7ELNS1_3repE0EEENS1_30default_config_static_selectorELNS0_4arch9wavefront6targetE0EEEvSR_,comdat
.Lfunc_end612:
	.size	_ZN7rocprim17ROCPRIM_400000_NS6detail17trampoline_kernelINS0_14default_configENS1_29binary_search_config_selectorIiN6thrust23THRUST_200600_302600_NS6detail10any_assignEEEZNS1_14transform_implILb0ES3_S9_NS7_15normal_iteratorINS6_10device_ptrIiEEEENS6_16discard_iteratorINS6_11use_defaultEEEZNS1_13binary_searchIS3_S9_SE_SE_SH_NS1_16binary_search_opENS7_16wrapped_functionINS0_4lessIvEEbEEEE10hipError_tPvRmT1_T2_T3_mmT4_T5_P12ihipStream_tbEUlRKiE_EESO_SS_ST_mSU_SX_bEUlT_E_NS1_11comp_targetILNS1_3genE3ELNS1_11target_archE908ELNS1_3gpuE7ELNS1_3repE0EEENS1_30default_config_static_selectorELNS0_4arch9wavefront6targetE0EEEvSR_, .Lfunc_end612-_ZN7rocprim17ROCPRIM_400000_NS6detail17trampoline_kernelINS0_14default_configENS1_29binary_search_config_selectorIiN6thrust23THRUST_200600_302600_NS6detail10any_assignEEEZNS1_14transform_implILb0ES3_S9_NS7_15normal_iteratorINS6_10device_ptrIiEEEENS6_16discard_iteratorINS6_11use_defaultEEEZNS1_13binary_searchIS3_S9_SE_SE_SH_NS1_16binary_search_opENS7_16wrapped_functionINS0_4lessIvEEbEEEE10hipError_tPvRmT1_T2_T3_mmT4_T5_P12ihipStream_tbEUlRKiE_EESO_SS_ST_mSU_SX_bEUlT_E_NS1_11comp_targetILNS1_3genE3ELNS1_11target_archE908ELNS1_3gpuE7ELNS1_3repE0EEENS1_30default_config_static_selectorELNS0_4arch9wavefront6targetE0EEEvSR_
                                        ; -- End function
	.section	.AMDGPU.csdata,"",@progbits
; Kernel info:
; codeLenInByte = 0
; NumSgprs: 0
; NumVgprs: 0
; ScratchSize: 0
; MemoryBound: 0
; FloatMode: 240
; IeeeMode: 1
; LDSByteSize: 0 bytes/workgroup (compile time only)
; SGPRBlocks: 0
; VGPRBlocks: 0
; NumSGPRsForWavesPerEU: 1
; NumVGPRsForWavesPerEU: 1
; Occupancy: 16
; WaveLimiterHint : 0
; COMPUTE_PGM_RSRC2:SCRATCH_EN: 0
; COMPUTE_PGM_RSRC2:USER_SGPR: 15
; COMPUTE_PGM_RSRC2:TRAP_HANDLER: 0
; COMPUTE_PGM_RSRC2:TGID_X_EN: 1
; COMPUTE_PGM_RSRC2:TGID_Y_EN: 0
; COMPUTE_PGM_RSRC2:TGID_Z_EN: 0
; COMPUTE_PGM_RSRC2:TIDIG_COMP_CNT: 0
	.section	.text._ZN7rocprim17ROCPRIM_400000_NS6detail17trampoline_kernelINS0_14default_configENS1_29binary_search_config_selectorIiN6thrust23THRUST_200600_302600_NS6detail10any_assignEEEZNS1_14transform_implILb0ES3_S9_NS7_15normal_iteratorINS6_10device_ptrIiEEEENS6_16discard_iteratorINS6_11use_defaultEEEZNS1_13binary_searchIS3_S9_SE_SE_SH_NS1_16binary_search_opENS7_16wrapped_functionINS0_4lessIvEEbEEEE10hipError_tPvRmT1_T2_T3_mmT4_T5_P12ihipStream_tbEUlRKiE_EESO_SS_ST_mSU_SX_bEUlT_E_NS1_11comp_targetILNS1_3genE2ELNS1_11target_archE906ELNS1_3gpuE6ELNS1_3repE0EEENS1_30default_config_static_selectorELNS0_4arch9wavefront6targetE0EEEvSR_,"axG",@progbits,_ZN7rocprim17ROCPRIM_400000_NS6detail17trampoline_kernelINS0_14default_configENS1_29binary_search_config_selectorIiN6thrust23THRUST_200600_302600_NS6detail10any_assignEEEZNS1_14transform_implILb0ES3_S9_NS7_15normal_iteratorINS6_10device_ptrIiEEEENS6_16discard_iteratorINS6_11use_defaultEEEZNS1_13binary_searchIS3_S9_SE_SE_SH_NS1_16binary_search_opENS7_16wrapped_functionINS0_4lessIvEEbEEEE10hipError_tPvRmT1_T2_T3_mmT4_T5_P12ihipStream_tbEUlRKiE_EESO_SS_ST_mSU_SX_bEUlT_E_NS1_11comp_targetILNS1_3genE2ELNS1_11target_archE906ELNS1_3gpuE6ELNS1_3repE0EEENS1_30default_config_static_selectorELNS0_4arch9wavefront6targetE0EEEvSR_,comdat
	.protected	_ZN7rocprim17ROCPRIM_400000_NS6detail17trampoline_kernelINS0_14default_configENS1_29binary_search_config_selectorIiN6thrust23THRUST_200600_302600_NS6detail10any_assignEEEZNS1_14transform_implILb0ES3_S9_NS7_15normal_iteratorINS6_10device_ptrIiEEEENS6_16discard_iteratorINS6_11use_defaultEEEZNS1_13binary_searchIS3_S9_SE_SE_SH_NS1_16binary_search_opENS7_16wrapped_functionINS0_4lessIvEEbEEEE10hipError_tPvRmT1_T2_T3_mmT4_T5_P12ihipStream_tbEUlRKiE_EESO_SS_ST_mSU_SX_bEUlT_E_NS1_11comp_targetILNS1_3genE2ELNS1_11target_archE906ELNS1_3gpuE6ELNS1_3repE0EEENS1_30default_config_static_selectorELNS0_4arch9wavefront6targetE0EEEvSR_ ; -- Begin function _ZN7rocprim17ROCPRIM_400000_NS6detail17trampoline_kernelINS0_14default_configENS1_29binary_search_config_selectorIiN6thrust23THRUST_200600_302600_NS6detail10any_assignEEEZNS1_14transform_implILb0ES3_S9_NS7_15normal_iteratorINS6_10device_ptrIiEEEENS6_16discard_iteratorINS6_11use_defaultEEEZNS1_13binary_searchIS3_S9_SE_SE_SH_NS1_16binary_search_opENS7_16wrapped_functionINS0_4lessIvEEbEEEE10hipError_tPvRmT1_T2_T3_mmT4_T5_P12ihipStream_tbEUlRKiE_EESO_SS_ST_mSU_SX_bEUlT_E_NS1_11comp_targetILNS1_3genE2ELNS1_11target_archE906ELNS1_3gpuE6ELNS1_3repE0EEENS1_30default_config_static_selectorELNS0_4arch9wavefront6targetE0EEEvSR_
	.globl	_ZN7rocprim17ROCPRIM_400000_NS6detail17trampoline_kernelINS0_14default_configENS1_29binary_search_config_selectorIiN6thrust23THRUST_200600_302600_NS6detail10any_assignEEEZNS1_14transform_implILb0ES3_S9_NS7_15normal_iteratorINS6_10device_ptrIiEEEENS6_16discard_iteratorINS6_11use_defaultEEEZNS1_13binary_searchIS3_S9_SE_SE_SH_NS1_16binary_search_opENS7_16wrapped_functionINS0_4lessIvEEbEEEE10hipError_tPvRmT1_T2_T3_mmT4_T5_P12ihipStream_tbEUlRKiE_EESO_SS_ST_mSU_SX_bEUlT_E_NS1_11comp_targetILNS1_3genE2ELNS1_11target_archE906ELNS1_3gpuE6ELNS1_3repE0EEENS1_30default_config_static_selectorELNS0_4arch9wavefront6targetE0EEEvSR_
	.p2align	8
	.type	_ZN7rocprim17ROCPRIM_400000_NS6detail17trampoline_kernelINS0_14default_configENS1_29binary_search_config_selectorIiN6thrust23THRUST_200600_302600_NS6detail10any_assignEEEZNS1_14transform_implILb0ES3_S9_NS7_15normal_iteratorINS6_10device_ptrIiEEEENS6_16discard_iteratorINS6_11use_defaultEEEZNS1_13binary_searchIS3_S9_SE_SE_SH_NS1_16binary_search_opENS7_16wrapped_functionINS0_4lessIvEEbEEEE10hipError_tPvRmT1_T2_T3_mmT4_T5_P12ihipStream_tbEUlRKiE_EESO_SS_ST_mSU_SX_bEUlT_E_NS1_11comp_targetILNS1_3genE2ELNS1_11target_archE906ELNS1_3gpuE6ELNS1_3repE0EEENS1_30default_config_static_selectorELNS0_4arch9wavefront6targetE0EEEvSR_,@function
_ZN7rocprim17ROCPRIM_400000_NS6detail17trampoline_kernelINS0_14default_configENS1_29binary_search_config_selectorIiN6thrust23THRUST_200600_302600_NS6detail10any_assignEEEZNS1_14transform_implILb0ES3_S9_NS7_15normal_iteratorINS6_10device_ptrIiEEEENS6_16discard_iteratorINS6_11use_defaultEEEZNS1_13binary_searchIS3_S9_SE_SE_SH_NS1_16binary_search_opENS7_16wrapped_functionINS0_4lessIvEEbEEEE10hipError_tPvRmT1_T2_T3_mmT4_T5_P12ihipStream_tbEUlRKiE_EESO_SS_ST_mSU_SX_bEUlT_E_NS1_11comp_targetILNS1_3genE2ELNS1_11target_archE906ELNS1_3gpuE6ELNS1_3repE0EEENS1_30default_config_static_selectorELNS0_4arch9wavefront6targetE0EEEvSR_: ; @_ZN7rocprim17ROCPRIM_400000_NS6detail17trampoline_kernelINS0_14default_configENS1_29binary_search_config_selectorIiN6thrust23THRUST_200600_302600_NS6detail10any_assignEEEZNS1_14transform_implILb0ES3_S9_NS7_15normal_iteratorINS6_10device_ptrIiEEEENS6_16discard_iteratorINS6_11use_defaultEEEZNS1_13binary_searchIS3_S9_SE_SE_SH_NS1_16binary_search_opENS7_16wrapped_functionINS0_4lessIvEEbEEEE10hipError_tPvRmT1_T2_T3_mmT4_T5_P12ihipStream_tbEUlRKiE_EESO_SS_ST_mSU_SX_bEUlT_E_NS1_11comp_targetILNS1_3genE2ELNS1_11target_archE906ELNS1_3gpuE6ELNS1_3repE0EEENS1_30default_config_static_selectorELNS0_4arch9wavefront6targetE0EEEvSR_
; %bb.0:
	.section	.rodata,"a",@progbits
	.p2align	6, 0x0
	.amdhsa_kernel _ZN7rocprim17ROCPRIM_400000_NS6detail17trampoline_kernelINS0_14default_configENS1_29binary_search_config_selectorIiN6thrust23THRUST_200600_302600_NS6detail10any_assignEEEZNS1_14transform_implILb0ES3_S9_NS7_15normal_iteratorINS6_10device_ptrIiEEEENS6_16discard_iteratorINS6_11use_defaultEEEZNS1_13binary_searchIS3_S9_SE_SE_SH_NS1_16binary_search_opENS7_16wrapped_functionINS0_4lessIvEEbEEEE10hipError_tPvRmT1_T2_T3_mmT4_T5_P12ihipStream_tbEUlRKiE_EESO_SS_ST_mSU_SX_bEUlT_E_NS1_11comp_targetILNS1_3genE2ELNS1_11target_archE906ELNS1_3gpuE6ELNS1_3repE0EEENS1_30default_config_static_selectorELNS0_4arch9wavefront6targetE0EEEvSR_
		.amdhsa_group_segment_fixed_size 0
		.amdhsa_private_segment_fixed_size 0
		.amdhsa_kernarg_size 64
		.amdhsa_user_sgpr_count 15
		.amdhsa_user_sgpr_dispatch_ptr 0
		.amdhsa_user_sgpr_queue_ptr 0
		.amdhsa_user_sgpr_kernarg_segment_ptr 1
		.amdhsa_user_sgpr_dispatch_id 0
		.amdhsa_user_sgpr_private_segment_size 0
		.amdhsa_wavefront_size32 1
		.amdhsa_uses_dynamic_stack 0
		.amdhsa_enable_private_segment 0
		.amdhsa_system_sgpr_workgroup_id_x 1
		.amdhsa_system_sgpr_workgroup_id_y 0
		.amdhsa_system_sgpr_workgroup_id_z 0
		.amdhsa_system_sgpr_workgroup_info 0
		.amdhsa_system_vgpr_workitem_id 0
		.amdhsa_next_free_vgpr 1
		.amdhsa_next_free_sgpr 1
		.amdhsa_reserve_vcc 0
		.amdhsa_float_round_mode_32 0
		.amdhsa_float_round_mode_16_64 0
		.amdhsa_float_denorm_mode_32 3
		.amdhsa_float_denorm_mode_16_64 3
		.amdhsa_dx10_clamp 1
		.amdhsa_ieee_mode 1
		.amdhsa_fp16_overflow 0
		.amdhsa_workgroup_processor_mode 1
		.amdhsa_memory_ordered 1
		.amdhsa_forward_progress 0
		.amdhsa_shared_vgpr_count 0
		.amdhsa_exception_fp_ieee_invalid_op 0
		.amdhsa_exception_fp_denorm_src 0
		.amdhsa_exception_fp_ieee_div_zero 0
		.amdhsa_exception_fp_ieee_overflow 0
		.amdhsa_exception_fp_ieee_underflow 0
		.amdhsa_exception_fp_ieee_inexact 0
		.amdhsa_exception_int_div_zero 0
	.end_amdhsa_kernel
	.section	.text._ZN7rocprim17ROCPRIM_400000_NS6detail17trampoline_kernelINS0_14default_configENS1_29binary_search_config_selectorIiN6thrust23THRUST_200600_302600_NS6detail10any_assignEEEZNS1_14transform_implILb0ES3_S9_NS7_15normal_iteratorINS6_10device_ptrIiEEEENS6_16discard_iteratorINS6_11use_defaultEEEZNS1_13binary_searchIS3_S9_SE_SE_SH_NS1_16binary_search_opENS7_16wrapped_functionINS0_4lessIvEEbEEEE10hipError_tPvRmT1_T2_T3_mmT4_T5_P12ihipStream_tbEUlRKiE_EESO_SS_ST_mSU_SX_bEUlT_E_NS1_11comp_targetILNS1_3genE2ELNS1_11target_archE906ELNS1_3gpuE6ELNS1_3repE0EEENS1_30default_config_static_selectorELNS0_4arch9wavefront6targetE0EEEvSR_,"axG",@progbits,_ZN7rocprim17ROCPRIM_400000_NS6detail17trampoline_kernelINS0_14default_configENS1_29binary_search_config_selectorIiN6thrust23THRUST_200600_302600_NS6detail10any_assignEEEZNS1_14transform_implILb0ES3_S9_NS7_15normal_iteratorINS6_10device_ptrIiEEEENS6_16discard_iteratorINS6_11use_defaultEEEZNS1_13binary_searchIS3_S9_SE_SE_SH_NS1_16binary_search_opENS7_16wrapped_functionINS0_4lessIvEEbEEEE10hipError_tPvRmT1_T2_T3_mmT4_T5_P12ihipStream_tbEUlRKiE_EESO_SS_ST_mSU_SX_bEUlT_E_NS1_11comp_targetILNS1_3genE2ELNS1_11target_archE906ELNS1_3gpuE6ELNS1_3repE0EEENS1_30default_config_static_selectorELNS0_4arch9wavefront6targetE0EEEvSR_,comdat
.Lfunc_end613:
	.size	_ZN7rocprim17ROCPRIM_400000_NS6detail17trampoline_kernelINS0_14default_configENS1_29binary_search_config_selectorIiN6thrust23THRUST_200600_302600_NS6detail10any_assignEEEZNS1_14transform_implILb0ES3_S9_NS7_15normal_iteratorINS6_10device_ptrIiEEEENS6_16discard_iteratorINS6_11use_defaultEEEZNS1_13binary_searchIS3_S9_SE_SE_SH_NS1_16binary_search_opENS7_16wrapped_functionINS0_4lessIvEEbEEEE10hipError_tPvRmT1_T2_T3_mmT4_T5_P12ihipStream_tbEUlRKiE_EESO_SS_ST_mSU_SX_bEUlT_E_NS1_11comp_targetILNS1_3genE2ELNS1_11target_archE906ELNS1_3gpuE6ELNS1_3repE0EEENS1_30default_config_static_selectorELNS0_4arch9wavefront6targetE0EEEvSR_, .Lfunc_end613-_ZN7rocprim17ROCPRIM_400000_NS6detail17trampoline_kernelINS0_14default_configENS1_29binary_search_config_selectorIiN6thrust23THRUST_200600_302600_NS6detail10any_assignEEEZNS1_14transform_implILb0ES3_S9_NS7_15normal_iteratorINS6_10device_ptrIiEEEENS6_16discard_iteratorINS6_11use_defaultEEEZNS1_13binary_searchIS3_S9_SE_SE_SH_NS1_16binary_search_opENS7_16wrapped_functionINS0_4lessIvEEbEEEE10hipError_tPvRmT1_T2_T3_mmT4_T5_P12ihipStream_tbEUlRKiE_EESO_SS_ST_mSU_SX_bEUlT_E_NS1_11comp_targetILNS1_3genE2ELNS1_11target_archE906ELNS1_3gpuE6ELNS1_3repE0EEENS1_30default_config_static_selectorELNS0_4arch9wavefront6targetE0EEEvSR_
                                        ; -- End function
	.section	.AMDGPU.csdata,"",@progbits
; Kernel info:
; codeLenInByte = 0
; NumSgprs: 0
; NumVgprs: 0
; ScratchSize: 0
; MemoryBound: 0
; FloatMode: 240
; IeeeMode: 1
; LDSByteSize: 0 bytes/workgroup (compile time only)
; SGPRBlocks: 0
; VGPRBlocks: 0
; NumSGPRsForWavesPerEU: 1
; NumVGPRsForWavesPerEU: 1
; Occupancy: 16
; WaveLimiterHint : 0
; COMPUTE_PGM_RSRC2:SCRATCH_EN: 0
; COMPUTE_PGM_RSRC2:USER_SGPR: 15
; COMPUTE_PGM_RSRC2:TRAP_HANDLER: 0
; COMPUTE_PGM_RSRC2:TGID_X_EN: 1
; COMPUTE_PGM_RSRC2:TGID_Y_EN: 0
; COMPUTE_PGM_RSRC2:TGID_Z_EN: 0
; COMPUTE_PGM_RSRC2:TIDIG_COMP_CNT: 0
	.section	.text._ZN7rocprim17ROCPRIM_400000_NS6detail17trampoline_kernelINS0_14default_configENS1_29binary_search_config_selectorIiN6thrust23THRUST_200600_302600_NS6detail10any_assignEEEZNS1_14transform_implILb0ES3_S9_NS7_15normal_iteratorINS6_10device_ptrIiEEEENS6_16discard_iteratorINS6_11use_defaultEEEZNS1_13binary_searchIS3_S9_SE_SE_SH_NS1_16binary_search_opENS7_16wrapped_functionINS0_4lessIvEEbEEEE10hipError_tPvRmT1_T2_T3_mmT4_T5_P12ihipStream_tbEUlRKiE_EESO_SS_ST_mSU_SX_bEUlT_E_NS1_11comp_targetILNS1_3genE10ELNS1_11target_archE1201ELNS1_3gpuE5ELNS1_3repE0EEENS1_30default_config_static_selectorELNS0_4arch9wavefront6targetE0EEEvSR_,"axG",@progbits,_ZN7rocprim17ROCPRIM_400000_NS6detail17trampoline_kernelINS0_14default_configENS1_29binary_search_config_selectorIiN6thrust23THRUST_200600_302600_NS6detail10any_assignEEEZNS1_14transform_implILb0ES3_S9_NS7_15normal_iteratorINS6_10device_ptrIiEEEENS6_16discard_iteratorINS6_11use_defaultEEEZNS1_13binary_searchIS3_S9_SE_SE_SH_NS1_16binary_search_opENS7_16wrapped_functionINS0_4lessIvEEbEEEE10hipError_tPvRmT1_T2_T3_mmT4_T5_P12ihipStream_tbEUlRKiE_EESO_SS_ST_mSU_SX_bEUlT_E_NS1_11comp_targetILNS1_3genE10ELNS1_11target_archE1201ELNS1_3gpuE5ELNS1_3repE0EEENS1_30default_config_static_selectorELNS0_4arch9wavefront6targetE0EEEvSR_,comdat
	.protected	_ZN7rocprim17ROCPRIM_400000_NS6detail17trampoline_kernelINS0_14default_configENS1_29binary_search_config_selectorIiN6thrust23THRUST_200600_302600_NS6detail10any_assignEEEZNS1_14transform_implILb0ES3_S9_NS7_15normal_iteratorINS6_10device_ptrIiEEEENS6_16discard_iteratorINS6_11use_defaultEEEZNS1_13binary_searchIS3_S9_SE_SE_SH_NS1_16binary_search_opENS7_16wrapped_functionINS0_4lessIvEEbEEEE10hipError_tPvRmT1_T2_T3_mmT4_T5_P12ihipStream_tbEUlRKiE_EESO_SS_ST_mSU_SX_bEUlT_E_NS1_11comp_targetILNS1_3genE10ELNS1_11target_archE1201ELNS1_3gpuE5ELNS1_3repE0EEENS1_30default_config_static_selectorELNS0_4arch9wavefront6targetE0EEEvSR_ ; -- Begin function _ZN7rocprim17ROCPRIM_400000_NS6detail17trampoline_kernelINS0_14default_configENS1_29binary_search_config_selectorIiN6thrust23THRUST_200600_302600_NS6detail10any_assignEEEZNS1_14transform_implILb0ES3_S9_NS7_15normal_iteratorINS6_10device_ptrIiEEEENS6_16discard_iteratorINS6_11use_defaultEEEZNS1_13binary_searchIS3_S9_SE_SE_SH_NS1_16binary_search_opENS7_16wrapped_functionINS0_4lessIvEEbEEEE10hipError_tPvRmT1_T2_T3_mmT4_T5_P12ihipStream_tbEUlRKiE_EESO_SS_ST_mSU_SX_bEUlT_E_NS1_11comp_targetILNS1_3genE10ELNS1_11target_archE1201ELNS1_3gpuE5ELNS1_3repE0EEENS1_30default_config_static_selectorELNS0_4arch9wavefront6targetE0EEEvSR_
	.globl	_ZN7rocprim17ROCPRIM_400000_NS6detail17trampoline_kernelINS0_14default_configENS1_29binary_search_config_selectorIiN6thrust23THRUST_200600_302600_NS6detail10any_assignEEEZNS1_14transform_implILb0ES3_S9_NS7_15normal_iteratorINS6_10device_ptrIiEEEENS6_16discard_iteratorINS6_11use_defaultEEEZNS1_13binary_searchIS3_S9_SE_SE_SH_NS1_16binary_search_opENS7_16wrapped_functionINS0_4lessIvEEbEEEE10hipError_tPvRmT1_T2_T3_mmT4_T5_P12ihipStream_tbEUlRKiE_EESO_SS_ST_mSU_SX_bEUlT_E_NS1_11comp_targetILNS1_3genE10ELNS1_11target_archE1201ELNS1_3gpuE5ELNS1_3repE0EEENS1_30default_config_static_selectorELNS0_4arch9wavefront6targetE0EEEvSR_
	.p2align	8
	.type	_ZN7rocprim17ROCPRIM_400000_NS6detail17trampoline_kernelINS0_14default_configENS1_29binary_search_config_selectorIiN6thrust23THRUST_200600_302600_NS6detail10any_assignEEEZNS1_14transform_implILb0ES3_S9_NS7_15normal_iteratorINS6_10device_ptrIiEEEENS6_16discard_iteratorINS6_11use_defaultEEEZNS1_13binary_searchIS3_S9_SE_SE_SH_NS1_16binary_search_opENS7_16wrapped_functionINS0_4lessIvEEbEEEE10hipError_tPvRmT1_T2_T3_mmT4_T5_P12ihipStream_tbEUlRKiE_EESO_SS_ST_mSU_SX_bEUlT_E_NS1_11comp_targetILNS1_3genE10ELNS1_11target_archE1201ELNS1_3gpuE5ELNS1_3repE0EEENS1_30default_config_static_selectorELNS0_4arch9wavefront6targetE0EEEvSR_,@function
_ZN7rocprim17ROCPRIM_400000_NS6detail17trampoline_kernelINS0_14default_configENS1_29binary_search_config_selectorIiN6thrust23THRUST_200600_302600_NS6detail10any_assignEEEZNS1_14transform_implILb0ES3_S9_NS7_15normal_iteratorINS6_10device_ptrIiEEEENS6_16discard_iteratorINS6_11use_defaultEEEZNS1_13binary_searchIS3_S9_SE_SE_SH_NS1_16binary_search_opENS7_16wrapped_functionINS0_4lessIvEEbEEEE10hipError_tPvRmT1_T2_T3_mmT4_T5_P12ihipStream_tbEUlRKiE_EESO_SS_ST_mSU_SX_bEUlT_E_NS1_11comp_targetILNS1_3genE10ELNS1_11target_archE1201ELNS1_3gpuE5ELNS1_3repE0EEENS1_30default_config_static_selectorELNS0_4arch9wavefront6targetE0EEEvSR_: ; @_ZN7rocprim17ROCPRIM_400000_NS6detail17trampoline_kernelINS0_14default_configENS1_29binary_search_config_selectorIiN6thrust23THRUST_200600_302600_NS6detail10any_assignEEEZNS1_14transform_implILb0ES3_S9_NS7_15normal_iteratorINS6_10device_ptrIiEEEENS6_16discard_iteratorINS6_11use_defaultEEEZNS1_13binary_searchIS3_S9_SE_SE_SH_NS1_16binary_search_opENS7_16wrapped_functionINS0_4lessIvEEbEEEE10hipError_tPvRmT1_T2_T3_mmT4_T5_P12ihipStream_tbEUlRKiE_EESO_SS_ST_mSU_SX_bEUlT_E_NS1_11comp_targetILNS1_3genE10ELNS1_11target_archE1201ELNS1_3gpuE5ELNS1_3repE0EEENS1_30default_config_static_selectorELNS0_4arch9wavefront6targetE0EEEvSR_
; %bb.0:
	.section	.rodata,"a",@progbits
	.p2align	6, 0x0
	.amdhsa_kernel _ZN7rocprim17ROCPRIM_400000_NS6detail17trampoline_kernelINS0_14default_configENS1_29binary_search_config_selectorIiN6thrust23THRUST_200600_302600_NS6detail10any_assignEEEZNS1_14transform_implILb0ES3_S9_NS7_15normal_iteratorINS6_10device_ptrIiEEEENS6_16discard_iteratorINS6_11use_defaultEEEZNS1_13binary_searchIS3_S9_SE_SE_SH_NS1_16binary_search_opENS7_16wrapped_functionINS0_4lessIvEEbEEEE10hipError_tPvRmT1_T2_T3_mmT4_T5_P12ihipStream_tbEUlRKiE_EESO_SS_ST_mSU_SX_bEUlT_E_NS1_11comp_targetILNS1_3genE10ELNS1_11target_archE1201ELNS1_3gpuE5ELNS1_3repE0EEENS1_30default_config_static_selectorELNS0_4arch9wavefront6targetE0EEEvSR_
		.amdhsa_group_segment_fixed_size 0
		.amdhsa_private_segment_fixed_size 0
		.amdhsa_kernarg_size 64
		.amdhsa_user_sgpr_count 15
		.amdhsa_user_sgpr_dispatch_ptr 0
		.amdhsa_user_sgpr_queue_ptr 0
		.amdhsa_user_sgpr_kernarg_segment_ptr 1
		.amdhsa_user_sgpr_dispatch_id 0
		.amdhsa_user_sgpr_private_segment_size 0
		.amdhsa_wavefront_size32 1
		.amdhsa_uses_dynamic_stack 0
		.amdhsa_enable_private_segment 0
		.amdhsa_system_sgpr_workgroup_id_x 1
		.amdhsa_system_sgpr_workgroup_id_y 0
		.amdhsa_system_sgpr_workgroup_id_z 0
		.amdhsa_system_sgpr_workgroup_info 0
		.amdhsa_system_vgpr_workitem_id 0
		.amdhsa_next_free_vgpr 1
		.amdhsa_next_free_sgpr 1
		.amdhsa_reserve_vcc 0
		.amdhsa_float_round_mode_32 0
		.amdhsa_float_round_mode_16_64 0
		.amdhsa_float_denorm_mode_32 3
		.amdhsa_float_denorm_mode_16_64 3
		.amdhsa_dx10_clamp 1
		.amdhsa_ieee_mode 1
		.amdhsa_fp16_overflow 0
		.amdhsa_workgroup_processor_mode 1
		.amdhsa_memory_ordered 1
		.amdhsa_forward_progress 0
		.amdhsa_shared_vgpr_count 0
		.amdhsa_exception_fp_ieee_invalid_op 0
		.amdhsa_exception_fp_denorm_src 0
		.amdhsa_exception_fp_ieee_div_zero 0
		.amdhsa_exception_fp_ieee_overflow 0
		.amdhsa_exception_fp_ieee_underflow 0
		.amdhsa_exception_fp_ieee_inexact 0
		.amdhsa_exception_int_div_zero 0
	.end_amdhsa_kernel
	.section	.text._ZN7rocprim17ROCPRIM_400000_NS6detail17trampoline_kernelINS0_14default_configENS1_29binary_search_config_selectorIiN6thrust23THRUST_200600_302600_NS6detail10any_assignEEEZNS1_14transform_implILb0ES3_S9_NS7_15normal_iteratorINS6_10device_ptrIiEEEENS6_16discard_iteratorINS6_11use_defaultEEEZNS1_13binary_searchIS3_S9_SE_SE_SH_NS1_16binary_search_opENS7_16wrapped_functionINS0_4lessIvEEbEEEE10hipError_tPvRmT1_T2_T3_mmT4_T5_P12ihipStream_tbEUlRKiE_EESO_SS_ST_mSU_SX_bEUlT_E_NS1_11comp_targetILNS1_3genE10ELNS1_11target_archE1201ELNS1_3gpuE5ELNS1_3repE0EEENS1_30default_config_static_selectorELNS0_4arch9wavefront6targetE0EEEvSR_,"axG",@progbits,_ZN7rocprim17ROCPRIM_400000_NS6detail17trampoline_kernelINS0_14default_configENS1_29binary_search_config_selectorIiN6thrust23THRUST_200600_302600_NS6detail10any_assignEEEZNS1_14transform_implILb0ES3_S9_NS7_15normal_iteratorINS6_10device_ptrIiEEEENS6_16discard_iteratorINS6_11use_defaultEEEZNS1_13binary_searchIS3_S9_SE_SE_SH_NS1_16binary_search_opENS7_16wrapped_functionINS0_4lessIvEEbEEEE10hipError_tPvRmT1_T2_T3_mmT4_T5_P12ihipStream_tbEUlRKiE_EESO_SS_ST_mSU_SX_bEUlT_E_NS1_11comp_targetILNS1_3genE10ELNS1_11target_archE1201ELNS1_3gpuE5ELNS1_3repE0EEENS1_30default_config_static_selectorELNS0_4arch9wavefront6targetE0EEEvSR_,comdat
.Lfunc_end614:
	.size	_ZN7rocprim17ROCPRIM_400000_NS6detail17trampoline_kernelINS0_14default_configENS1_29binary_search_config_selectorIiN6thrust23THRUST_200600_302600_NS6detail10any_assignEEEZNS1_14transform_implILb0ES3_S9_NS7_15normal_iteratorINS6_10device_ptrIiEEEENS6_16discard_iteratorINS6_11use_defaultEEEZNS1_13binary_searchIS3_S9_SE_SE_SH_NS1_16binary_search_opENS7_16wrapped_functionINS0_4lessIvEEbEEEE10hipError_tPvRmT1_T2_T3_mmT4_T5_P12ihipStream_tbEUlRKiE_EESO_SS_ST_mSU_SX_bEUlT_E_NS1_11comp_targetILNS1_3genE10ELNS1_11target_archE1201ELNS1_3gpuE5ELNS1_3repE0EEENS1_30default_config_static_selectorELNS0_4arch9wavefront6targetE0EEEvSR_, .Lfunc_end614-_ZN7rocprim17ROCPRIM_400000_NS6detail17trampoline_kernelINS0_14default_configENS1_29binary_search_config_selectorIiN6thrust23THRUST_200600_302600_NS6detail10any_assignEEEZNS1_14transform_implILb0ES3_S9_NS7_15normal_iteratorINS6_10device_ptrIiEEEENS6_16discard_iteratorINS6_11use_defaultEEEZNS1_13binary_searchIS3_S9_SE_SE_SH_NS1_16binary_search_opENS7_16wrapped_functionINS0_4lessIvEEbEEEE10hipError_tPvRmT1_T2_T3_mmT4_T5_P12ihipStream_tbEUlRKiE_EESO_SS_ST_mSU_SX_bEUlT_E_NS1_11comp_targetILNS1_3genE10ELNS1_11target_archE1201ELNS1_3gpuE5ELNS1_3repE0EEENS1_30default_config_static_selectorELNS0_4arch9wavefront6targetE0EEEvSR_
                                        ; -- End function
	.section	.AMDGPU.csdata,"",@progbits
; Kernel info:
; codeLenInByte = 0
; NumSgprs: 0
; NumVgprs: 0
; ScratchSize: 0
; MemoryBound: 0
; FloatMode: 240
; IeeeMode: 1
; LDSByteSize: 0 bytes/workgroup (compile time only)
; SGPRBlocks: 0
; VGPRBlocks: 0
; NumSGPRsForWavesPerEU: 1
; NumVGPRsForWavesPerEU: 1
; Occupancy: 16
; WaveLimiterHint : 0
; COMPUTE_PGM_RSRC2:SCRATCH_EN: 0
; COMPUTE_PGM_RSRC2:USER_SGPR: 15
; COMPUTE_PGM_RSRC2:TRAP_HANDLER: 0
; COMPUTE_PGM_RSRC2:TGID_X_EN: 1
; COMPUTE_PGM_RSRC2:TGID_Y_EN: 0
; COMPUTE_PGM_RSRC2:TGID_Z_EN: 0
; COMPUTE_PGM_RSRC2:TIDIG_COMP_CNT: 0
	.section	.text._ZN7rocprim17ROCPRIM_400000_NS6detail17trampoline_kernelINS0_14default_configENS1_29binary_search_config_selectorIiN6thrust23THRUST_200600_302600_NS6detail10any_assignEEEZNS1_14transform_implILb0ES3_S9_NS7_15normal_iteratorINS6_10device_ptrIiEEEENS6_16discard_iteratorINS6_11use_defaultEEEZNS1_13binary_searchIS3_S9_SE_SE_SH_NS1_16binary_search_opENS7_16wrapped_functionINS0_4lessIvEEbEEEE10hipError_tPvRmT1_T2_T3_mmT4_T5_P12ihipStream_tbEUlRKiE_EESO_SS_ST_mSU_SX_bEUlT_E_NS1_11comp_targetILNS1_3genE10ELNS1_11target_archE1200ELNS1_3gpuE4ELNS1_3repE0EEENS1_30default_config_static_selectorELNS0_4arch9wavefront6targetE0EEEvSR_,"axG",@progbits,_ZN7rocprim17ROCPRIM_400000_NS6detail17trampoline_kernelINS0_14default_configENS1_29binary_search_config_selectorIiN6thrust23THRUST_200600_302600_NS6detail10any_assignEEEZNS1_14transform_implILb0ES3_S9_NS7_15normal_iteratorINS6_10device_ptrIiEEEENS6_16discard_iteratorINS6_11use_defaultEEEZNS1_13binary_searchIS3_S9_SE_SE_SH_NS1_16binary_search_opENS7_16wrapped_functionINS0_4lessIvEEbEEEE10hipError_tPvRmT1_T2_T3_mmT4_T5_P12ihipStream_tbEUlRKiE_EESO_SS_ST_mSU_SX_bEUlT_E_NS1_11comp_targetILNS1_3genE10ELNS1_11target_archE1200ELNS1_3gpuE4ELNS1_3repE0EEENS1_30default_config_static_selectorELNS0_4arch9wavefront6targetE0EEEvSR_,comdat
	.protected	_ZN7rocprim17ROCPRIM_400000_NS6detail17trampoline_kernelINS0_14default_configENS1_29binary_search_config_selectorIiN6thrust23THRUST_200600_302600_NS6detail10any_assignEEEZNS1_14transform_implILb0ES3_S9_NS7_15normal_iteratorINS6_10device_ptrIiEEEENS6_16discard_iteratorINS6_11use_defaultEEEZNS1_13binary_searchIS3_S9_SE_SE_SH_NS1_16binary_search_opENS7_16wrapped_functionINS0_4lessIvEEbEEEE10hipError_tPvRmT1_T2_T3_mmT4_T5_P12ihipStream_tbEUlRKiE_EESO_SS_ST_mSU_SX_bEUlT_E_NS1_11comp_targetILNS1_3genE10ELNS1_11target_archE1200ELNS1_3gpuE4ELNS1_3repE0EEENS1_30default_config_static_selectorELNS0_4arch9wavefront6targetE0EEEvSR_ ; -- Begin function _ZN7rocprim17ROCPRIM_400000_NS6detail17trampoline_kernelINS0_14default_configENS1_29binary_search_config_selectorIiN6thrust23THRUST_200600_302600_NS6detail10any_assignEEEZNS1_14transform_implILb0ES3_S9_NS7_15normal_iteratorINS6_10device_ptrIiEEEENS6_16discard_iteratorINS6_11use_defaultEEEZNS1_13binary_searchIS3_S9_SE_SE_SH_NS1_16binary_search_opENS7_16wrapped_functionINS0_4lessIvEEbEEEE10hipError_tPvRmT1_T2_T3_mmT4_T5_P12ihipStream_tbEUlRKiE_EESO_SS_ST_mSU_SX_bEUlT_E_NS1_11comp_targetILNS1_3genE10ELNS1_11target_archE1200ELNS1_3gpuE4ELNS1_3repE0EEENS1_30default_config_static_selectorELNS0_4arch9wavefront6targetE0EEEvSR_
	.globl	_ZN7rocprim17ROCPRIM_400000_NS6detail17trampoline_kernelINS0_14default_configENS1_29binary_search_config_selectorIiN6thrust23THRUST_200600_302600_NS6detail10any_assignEEEZNS1_14transform_implILb0ES3_S9_NS7_15normal_iteratorINS6_10device_ptrIiEEEENS6_16discard_iteratorINS6_11use_defaultEEEZNS1_13binary_searchIS3_S9_SE_SE_SH_NS1_16binary_search_opENS7_16wrapped_functionINS0_4lessIvEEbEEEE10hipError_tPvRmT1_T2_T3_mmT4_T5_P12ihipStream_tbEUlRKiE_EESO_SS_ST_mSU_SX_bEUlT_E_NS1_11comp_targetILNS1_3genE10ELNS1_11target_archE1200ELNS1_3gpuE4ELNS1_3repE0EEENS1_30default_config_static_selectorELNS0_4arch9wavefront6targetE0EEEvSR_
	.p2align	8
	.type	_ZN7rocprim17ROCPRIM_400000_NS6detail17trampoline_kernelINS0_14default_configENS1_29binary_search_config_selectorIiN6thrust23THRUST_200600_302600_NS6detail10any_assignEEEZNS1_14transform_implILb0ES3_S9_NS7_15normal_iteratorINS6_10device_ptrIiEEEENS6_16discard_iteratorINS6_11use_defaultEEEZNS1_13binary_searchIS3_S9_SE_SE_SH_NS1_16binary_search_opENS7_16wrapped_functionINS0_4lessIvEEbEEEE10hipError_tPvRmT1_T2_T3_mmT4_T5_P12ihipStream_tbEUlRKiE_EESO_SS_ST_mSU_SX_bEUlT_E_NS1_11comp_targetILNS1_3genE10ELNS1_11target_archE1200ELNS1_3gpuE4ELNS1_3repE0EEENS1_30default_config_static_selectorELNS0_4arch9wavefront6targetE0EEEvSR_,@function
_ZN7rocprim17ROCPRIM_400000_NS6detail17trampoline_kernelINS0_14default_configENS1_29binary_search_config_selectorIiN6thrust23THRUST_200600_302600_NS6detail10any_assignEEEZNS1_14transform_implILb0ES3_S9_NS7_15normal_iteratorINS6_10device_ptrIiEEEENS6_16discard_iteratorINS6_11use_defaultEEEZNS1_13binary_searchIS3_S9_SE_SE_SH_NS1_16binary_search_opENS7_16wrapped_functionINS0_4lessIvEEbEEEE10hipError_tPvRmT1_T2_T3_mmT4_T5_P12ihipStream_tbEUlRKiE_EESO_SS_ST_mSU_SX_bEUlT_E_NS1_11comp_targetILNS1_3genE10ELNS1_11target_archE1200ELNS1_3gpuE4ELNS1_3repE0EEENS1_30default_config_static_selectorELNS0_4arch9wavefront6targetE0EEEvSR_: ; @_ZN7rocprim17ROCPRIM_400000_NS6detail17trampoline_kernelINS0_14default_configENS1_29binary_search_config_selectorIiN6thrust23THRUST_200600_302600_NS6detail10any_assignEEEZNS1_14transform_implILb0ES3_S9_NS7_15normal_iteratorINS6_10device_ptrIiEEEENS6_16discard_iteratorINS6_11use_defaultEEEZNS1_13binary_searchIS3_S9_SE_SE_SH_NS1_16binary_search_opENS7_16wrapped_functionINS0_4lessIvEEbEEEE10hipError_tPvRmT1_T2_T3_mmT4_T5_P12ihipStream_tbEUlRKiE_EESO_SS_ST_mSU_SX_bEUlT_E_NS1_11comp_targetILNS1_3genE10ELNS1_11target_archE1200ELNS1_3gpuE4ELNS1_3repE0EEENS1_30default_config_static_selectorELNS0_4arch9wavefront6targetE0EEEvSR_
; %bb.0:
	.section	.rodata,"a",@progbits
	.p2align	6, 0x0
	.amdhsa_kernel _ZN7rocprim17ROCPRIM_400000_NS6detail17trampoline_kernelINS0_14default_configENS1_29binary_search_config_selectorIiN6thrust23THRUST_200600_302600_NS6detail10any_assignEEEZNS1_14transform_implILb0ES3_S9_NS7_15normal_iteratorINS6_10device_ptrIiEEEENS6_16discard_iteratorINS6_11use_defaultEEEZNS1_13binary_searchIS3_S9_SE_SE_SH_NS1_16binary_search_opENS7_16wrapped_functionINS0_4lessIvEEbEEEE10hipError_tPvRmT1_T2_T3_mmT4_T5_P12ihipStream_tbEUlRKiE_EESO_SS_ST_mSU_SX_bEUlT_E_NS1_11comp_targetILNS1_3genE10ELNS1_11target_archE1200ELNS1_3gpuE4ELNS1_3repE0EEENS1_30default_config_static_selectorELNS0_4arch9wavefront6targetE0EEEvSR_
		.amdhsa_group_segment_fixed_size 0
		.amdhsa_private_segment_fixed_size 0
		.amdhsa_kernarg_size 64
		.amdhsa_user_sgpr_count 15
		.amdhsa_user_sgpr_dispatch_ptr 0
		.amdhsa_user_sgpr_queue_ptr 0
		.amdhsa_user_sgpr_kernarg_segment_ptr 1
		.amdhsa_user_sgpr_dispatch_id 0
		.amdhsa_user_sgpr_private_segment_size 0
		.amdhsa_wavefront_size32 1
		.amdhsa_uses_dynamic_stack 0
		.amdhsa_enable_private_segment 0
		.amdhsa_system_sgpr_workgroup_id_x 1
		.amdhsa_system_sgpr_workgroup_id_y 0
		.amdhsa_system_sgpr_workgroup_id_z 0
		.amdhsa_system_sgpr_workgroup_info 0
		.amdhsa_system_vgpr_workitem_id 0
		.amdhsa_next_free_vgpr 1
		.amdhsa_next_free_sgpr 1
		.amdhsa_reserve_vcc 0
		.amdhsa_float_round_mode_32 0
		.amdhsa_float_round_mode_16_64 0
		.amdhsa_float_denorm_mode_32 3
		.amdhsa_float_denorm_mode_16_64 3
		.amdhsa_dx10_clamp 1
		.amdhsa_ieee_mode 1
		.amdhsa_fp16_overflow 0
		.amdhsa_workgroup_processor_mode 1
		.amdhsa_memory_ordered 1
		.amdhsa_forward_progress 0
		.amdhsa_shared_vgpr_count 0
		.amdhsa_exception_fp_ieee_invalid_op 0
		.amdhsa_exception_fp_denorm_src 0
		.amdhsa_exception_fp_ieee_div_zero 0
		.amdhsa_exception_fp_ieee_overflow 0
		.amdhsa_exception_fp_ieee_underflow 0
		.amdhsa_exception_fp_ieee_inexact 0
		.amdhsa_exception_int_div_zero 0
	.end_amdhsa_kernel
	.section	.text._ZN7rocprim17ROCPRIM_400000_NS6detail17trampoline_kernelINS0_14default_configENS1_29binary_search_config_selectorIiN6thrust23THRUST_200600_302600_NS6detail10any_assignEEEZNS1_14transform_implILb0ES3_S9_NS7_15normal_iteratorINS6_10device_ptrIiEEEENS6_16discard_iteratorINS6_11use_defaultEEEZNS1_13binary_searchIS3_S9_SE_SE_SH_NS1_16binary_search_opENS7_16wrapped_functionINS0_4lessIvEEbEEEE10hipError_tPvRmT1_T2_T3_mmT4_T5_P12ihipStream_tbEUlRKiE_EESO_SS_ST_mSU_SX_bEUlT_E_NS1_11comp_targetILNS1_3genE10ELNS1_11target_archE1200ELNS1_3gpuE4ELNS1_3repE0EEENS1_30default_config_static_selectorELNS0_4arch9wavefront6targetE0EEEvSR_,"axG",@progbits,_ZN7rocprim17ROCPRIM_400000_NS6detail17trampoline_kernelINS0_14default_configENS1_29binary_search_config_selectorIiN6thrust23THRUST_200600_302600_NS6detail10any_assignEEEZNS1_14transform_implILb0ES3_S9_NS7_15normal_iteratorINS6_10device_ptrIiEEEENS6_16discard_iteratorINS6_11use_defaultEEEZNS1_13binary_searchIS3_S9_SE_SE_SH_NS1_16binary_search_opENS7_16wrapped_functionINS0_4lessIvEEbEEEE10hipError_tPvRmT1_T2_T3_mmT4_T5_P12ihipStream_tbEUlRKiE_EESO_SS_ST_mSU_SX_bEUlT_E_NS1_11comp_targetILNS1_3genE10ELNS1_11target_archE1200ELNS1_3gpuE4ELNS1_3repE0EEENS1_30default_config_static_selectorELNS0_4arch9wavefront6targetE0EEEvSR_,comdat
.Lfunc_end615:
	.size	_ZN7rocprim17ROCPRIM_400000_NS6detail17trampoline_kernelINS0_14default_configENS1_29binary_search_config_selectorIiN6thrust23THRUST_200600_302600_NS6detail10any_assignEEEZNS1_14transform_implILb0ES3_S9_NS7_15normal_iteratorINS6_10device_ptrIiEEEENS6_16discard_iteratorINS6_11use_defaultEEEZNS1_13binary_searchIS3_S9_SE_SE_SH_NS1_16binary_search_opENS7_16wrapped_functionINS0_4lessIvEEbEEEE10hipError_tPvRmT1_T2_T3_mmT4_T5_P12ihipStream_tbEUlRKiE_EESO_SS_ST_mSU_SX_bEUlT_E_NS1_11comp_targetILNS1_3genE10ELNS1_11target_archE1200ELNS1_3gpuE4ELNS1_3repE0EEENS1_30default_config_static_selectorELNS0_4arch9wavefront6targetE0EEEvSR_, .Lfunc_end615-_ZN7rocprim17ROCPRIM_400000_NS6detail17trampoline_kernelINS0_14default_configENS1_29binary_search_config_selectorIiN6thrust23THRUST_200600_302600_NS6detail10any_assignEEEZNS1_14transform_implILb0ES3_S9_NS7_15normal_iteratorINS6_10device_ptrIiEEEENS6_16discard_iteratorINS6_11use_defaultEEEZNS1_13binary_searchIS3_S9_SE_SE_SH_NS1_16binary_search_opENS7_16wrapped_functionINS0_4lessIvEEbEEEE10hipError_tPvRmT1_T2_T3_mmT4_T5_P12ihipStream_tbEUlRKiE_EESO_SS_ST_mSU_SX_bEUlT_E_NS1_11comp_targetILNS1_3genE10ELNS1_11target_archE1200ELNS1_3gpuE4ELNS1_3repE0EEENS1_30default_config_static_selectorELNS0_4arch9wavefront6targetE0EEEvSR_
                                        ; -- End function
	.section	.AMDGPU.csdata,"",@progbits
; Kernel info:
; codeLenInByte = 0
; NumSgprs: 0
; NumVgprs: 0
; ScratchSize: 0
; MemoryBound: 0
; FloatMode: 240
; IeeeMode: 1
; LDSByteSize: 0 bytes/workgroup (compile time only)
; SGPRBlocks: 0
; VGPRBlocks: 0
; NumSGPRsForWavesPerEU: 1
; NumVGPRsForWavesPerEU: 1
; Occupancy: 16
; WaveLimiterHint : 0
; COMPUTE_PGM_RSRC2:SCRATCH_EN: 0
; COMPUTE_PGM_RSRC2:USER_SGPR: 15
; COMPUTE_PGM_RSRC2:TRAP_HANDLER: 0
; COMPUTE_PGM_RSRC2:TGID_X_EN: 1
; COMPUTE_PGM_RSRC2:TGID_Y_EN: 0
; COMPUTE_PGM_RSRC2:TGID_Z_EN: 0
; COMPUTE_PGM_RSRC2:TIDIG_COMP_CNT: 0
	.section	.text._ZN7rocprim17ROCPRIM_400000_NS6detail17trampoline_kernelINS0_14default_configENS1_29binary_search_config_selectorIiN6thrust23THRUST_200600_302600_NS6detail10any_assignEEEZNS1_14transform_implILb0ES3_S9_NS7_15normal_iteratorINS6_10device_ptrIiEEEENS6_16discard_iteratorINS6_11use_defaultEEEZNS1_13binary_searchIS3_S9_SE_SE_SH_NS1_16binary_search_opENS7_16wrapped_functionINS0_4lessIvEEbEEEE10hipError_tPvRmT1_T2_T3_mmT4_T5_P12ihipStream_tbEUlRKiE_EESO_SS_ST_mSU_SX_bEUlT_E_NS1_11comp_targetILNS1_3genE9ELNS1_11target_archE1100ELNS1_3gpuE3ELNS1_3repE0EEENS1_30default_config_static_selectorELNS0_4arch9wavefront6targetE0EEEvSR_,"axG",@progbits,_ZN7rocprim17ROCPRIM_400000_NS6detail17trampoline_kernelINS0_14default_configENS1_29binary_search_config_selectorIiN6thrust23THRUST_200600_302600_NS6detail10any_assignEEEZNS1_14transform_implILb0ES3_S9_NS7_15normal_iteratorINS6_10device_ptrIiEEEENS6_16discard_iteratorINS6_11use_defaultEEEZNS1_13binary_searchIS3_S9_SE_SE_SH_NS1_16binary_search_opENS7_16wrapped_functionINS0_4lessIvEEbEEEE10hipError_tPvRmT1_T2_T3_mmT4_T5_P12ihipStream_tbEUlRKiE_EESO_SS_ST_mSU_SX_bEUlT_E_NS1_11comp_targetILNS1_3genE9ELNS1_11target_archE1100ELNS1_3gpuE3ELNS1_3repE0EEENS1_30default_config_static_selectorELNS0_4arch9wavefront6targetE0EEEvSR_,comdat
	.protected	_ZN7rocprim17ROCPRIM_400000_NS6detail17trampoline_kernelINS0_14default_configENS1_29binary_search_config_selectorIiN6thrust23THRUST_200600_302600_NS6detail10any_assignEEEZNS1_14transform_implILb0ES3_S9_NS7_15normal_iteratorINS6_10device_ptrIiEEEENS6_16discard_iteratorINS6_11use_defaultEEEZNS1_13binary_searchIS3_S9_SE_SE_SH_NS1_16binary_search_opENS7_16wrapped_functionINS0_4lessIvEEbEEEE10hipError_tPvRmT1_T2_T3_mmT4_T5_P12ihipStream_tbEUlRKiE_EESO_SS_ST_mSU_SX_bEUlT_E_NS1_11comp_targetILNS1_3genE9ELNS1_11target_archE1100ELNS1_3gpuE3ELNS1_3repE0EEENS1_30default_config_static_selectorELNS0_4arch9wavefront6targetE0EEEvSR_ ; -- Begin function _ZN7rocprim17ROCPRIM_400000_NS6detail17trampoline_kernelINS0_14default_configENS1_29binary_search_config_selectorIiN6thrust23THRUST_200600_302600_NS6detail10any_assignEEEZNS1_14transform_implILb0ES3_S9_NS7_15normal_iteratorINS6_10device_ptrIiEEEENS6_16discard_iteratorINS6_11use_defaultEEEZNS1_13binary_searchIS3_S9_SE_SE_SH_NS1_16binary_search_opENS7_16wrapped_functionINS0_4lessIvEEbEEEE10hipError_tPvRmT1_T2_T3_mmT4_T5_P12ihipStream_tbEUlRKiE_EESO_SS_ST_mSU_SX_bEUlT_E_NS1_11comp_targetILNS1_3genE9ELNS1_11target_archE1100ELNS1_3gpuE3ELNS1_3repE0EEENS1_30default_config_static_selectorELNS0_4arch9wavefront6targetE0EEEvSR_
	.globl	_ZN7rocprim17ROCPRIM_400000_NS6detail17trampoline_kernelINS0_14default_configENS1_29binary_search_config_selectorIiN6thrust23THRUST_200600_302600_NS6detail10any_assignEEEZNS1_14transform_implILb0ES3_S9_NS7_15normal_iteratorINS6_10device_ptrIiEEEENS6_16discard_iteratorINS6_11use_defaultEEEZNS1_13binary_searchIS3_S9_SE_SE_SH_NS1_16binary_search_opENS7_16wrapped_functionINS0_4lessIvEEbEEEE10hipError_tPvRmT1_T2_T3_mmT4_T5_P12ihipStream_tbEUlRKiE_EESO_SS_ST_mSU_SX_bEUlT_E_NS1_11comp_targetILNS1_3genE9ELNS1_11target_archE1100ELNS1_3gpuE3ELNS1_3repE0EEENS1_30default_config_static_selectorELNS0_4arch9wavefront6targetE0EEEvSR_
	.p2align	8
	.type	_ZN7rocprim17ROCPRIM_400000_NS6detail17trampoline_kernelINS0_14default_configENS1_29binary_search_config_selectorIiN6thrust23THRUST_200600_302600_NS6detail10any_assignEEEZNS1_14transform_implILb0ES3_S9_NS7_15normal_iteratorINS6_10device_ptrIiEEEENS6_16discard_iteratorINS6_11use_defaultEEEZNS1_13binary_searchIS3_S9_SE_SE_SH_NS1_16binary_search_opENS7_16wrapped_functionINS0_4lessIvEEbEEEE10hipError_tPvRmT1_T2_T3_mmT4_T5_P12ihipStream_tbEUlRKiE_EESO_SS_ST_mSU_SX_bEUlT_E_NS1_11comp_targetILNS1_3genE9ELNS1_11target_archE1100ELNS1_3gpuE3ELNS1_3repE0EEENS1_30default_config_static_selectorELNS0_4arch9wavefront6targetE0EEEvSR_,@function
_ZN7rocprim17ROCPRIM_400000_NS6detail17trampoline_kernelINS0_14default_configENS1_29binary_search_config_selectorIiN6thrust23THRUST_200600_302600_NS6detail10any_assignEEEZNS1_14transform_implILb0ES3_S9_NS7_15normal_iteratorINS6_10device_ptrIiEEEENS6_16discard_iteratorINS6_11use_defaultEEEZNS1_13binary_searchIS3_S9_SE_SE_SH_NS1_16binary_search_opENS7_16wrapped_functionINS0_4lessIvEEbEEEE10hipError_tPvRmT1_T2_T3_mmT4_T5_P12ihipStream_tbEUlRKiE_EESO_SS_ST_mSU_SX_bEUlT_E_NS1_11comp_targetILNS1_3genE9ELNS1_11target_archE1100ELNS1_3gpuE3ELNS1_3repE0EEENS1_30default_config_static_selectorELNS0_4arch9wavefront6targetE0EEEvSR_: ; @_ZN7rocprim17ROCPRIM_400000_NS6detail17trampoline_kernelINS0_14default_configENS1_29binary_search_config_selectorIiN6thrust23THRUST_200600_302600_NS6detail10any_assignEEEZNS1_14transform_implILb0ES3_S9_NS7_15normal_iteratorINS6_10device_ptrIiEEEENS6_16discard_iteratorINS6_11use_defaultEEEZNS1_13binary_searchIS3_S9_SE_SE_SH_NS1_16binary_search_opENS7_16wrapped_functionINS0_4lessIvEEbEEEE10hipError_tPvRmT1_T2_T3_mmT4_T5_P12ihipStream_tbEUlRKiE_EESO_SS_ST_mSU_SX_bEUlT_E_NS1_11comp_targetILNS1_3genE9ELNS1_11target_archE1100ELNS1_3gpuE3ELNS1_3repE0EEENS1_30default_config_static_selectorELNS0_4arch9wavefront6targetE0EEEvSR_
; %bb.0:
	s_endpgm
	.section	.rodata,"a",@progbits
	.p2align	6, 0x0
	.amdhsa_kernel _ZN7rocprim17ROCPRIM_400000_NS6detail17trampoline_kernelINS0_14default_configENS1_29binary_search_config_selectorIiN6thrust23THRUST_200600_302600_NS6detail10any_assignEEEZNS1_14transform_implILb0ES3_S9_NS7_15normal_iteratorINS6_10device_ptrIiEEEENS6_16discard_iteratorINS6_11use_defaultEEEZNS1_13binary_searchIS3_S9_SE_SE_SH_NS1_16binary_search_opENS7_16wrapped_functionINS0_4lessIvEEbEEEE10hipError_tPvRmT1_T2_T3_mmT4_T5_P12ihipStream_tbEUlRKiE_EESO_SS_ST_mSU_SX_bEUlT_E_NS1_11comp_targetILNS1_3genE9ELNS1_11target_archE1100ELNS1_3gpuE3ELNS1_3repE0EEENS1_30default_config_static_selectorELNS0_4arch9wavefront6targetE0EEEvSR_
		.amdhsa_group_segment_fixed_size 0
		.amdhsa_private_segment_fixed_size 0
		.amdhsa_kernarg_size 64
		.amdhsa_user_sgpr_count 15
		.amdhsa_user_sgpr_dispatch_ptr 0
		.amdhsa_user_sgpr_queue_ptr 0
		.amdhsa_user_sgpr_kernarg_segment_ptr 1
		.amdhsa_user_sgpr_dispatch_id 0
		.amdhsa_user_sgpr_private_segment_size 0
		.amdhsa_wavefront_size32 1
		.amdhsa_uses_dynamic_stack 0
		.amdhsa_enable_private_segment 0
		.amdhsa_system_sgpr_workgroup_id_x 1
		.amdhsa_system_sgpr_workgroup_id_y 0
		.amdhsa_system_sgpr_workgroup_id_z 0
		.amdhsa_system_sgpr_workgroup_info 0
		.amdhsa_system_vgpr_workitem_id 0
		.amdhsa_next_free_vgpr 1
		.amdhsa_next_free_sgpr 1
		.amdhsa_reserve_vcc 0
		.amdhsa_float_round_mode_32 0
		.amdhsa_float_round_mode_16_64 0
		.amdhsa_float_denorm_mode_32 3
		.amdhsa_float_denorm_mode_16_64 3
		.amdhsa_dx10_clamp 1
		.amdhsa_ieee_mode 1
		.amdhsa_fp16_overflow 0
		.amdhsa_workgroup_processor_mode 1
		.amdhsa_memory_ordered 1
		.amdhsa_forward_progress 0
		.amdhsa_shared_vgpr_count 0
		.amdhsa_exception_fp_ieee_invalid_op 0
		.amdhsa_exception_fp_denorm_src 0
		.amdhsa_exception_fp_ieee_div_zero 0
		.amdhsa_exception_fp_ieee_overflow 0
		.amdhsa_exception_fp_ieee_underflow 0
		.amdhsa_exception_fp_ieee_inexact 0
		.amdhsa_exception_int_div_zero 0
	.end_amdhsa_kernel
	.section	.text._ZN7rocprim17ROCPRIM_400000_NS6detail17trampoline_kernelINS0_14default_configENS1_29binary_search_config_selectorIiN6thrust23THRUST_200600_302600_NS6detail10any_assignEEEZNS1_14transform_implILb0ES3_S9_NS7_15normal_iteratorINS6_10device_ptrIiEEEENS6_16discard_iteratorINS6_11use_defaultEEEZNS1_13binary_searchIS3_S9_SE_SE_SH_NS1_16binary_search_opENS7_16wrapped_functionINS0_4lessIvEEbEEEE10hipError_tPvRmT1_T2_T3_mmT4_T5_P12ihipStream_tbEUlRKiE_EESO_SS_ST_mSU_SX_bEUlT_E_NS1_11comp_targetILNS1_3genE9ELNS1_11target_archE1100ELNS1_3gpuE3ELNS1_3repE0EEENS1_30default_config_static_selectorELNS0_4arch9wavefront6targetE0EEEvSR_,"axG",@progbits,_ZN7rocprim17ROCPRIM_400000_NS6detail17trampoline_kernelINS0_14default_configENS1_29binary_search_config_selectorIiN6thrust23THRUST_200600_302600_NS6detail10any_assignEEEZNS1_14transform_implILb0ES3_S9_NS7_15normal_iteratorINS6_10device_ptrIiEEEENS6_16discard_iteratorINS6_11use_defaultEEEZNS1_13binary_searchIS3_S9_SE_SE_SH_NS1_16binary_search_opENS7_16wrapped_functionINS0_4lessIvEEbEEEE10hipError_tPvRmT1_T2_T3_mmT4_T5_P12ihipStream_tbEUlRKiE_EESO_SS_ST_mSU_SX_bEUlT_E_NS1_11comp_targetILNS1_3genE9ELNS1_11target_archE1100ELNS1_3gpuE3ELNS1_3repE0EEENS1_30default_config_static_selectorELNS0_4arch9wavefront6targetE0EEEvSR_,comdat
.Lfunc_end616:
	.size	_ZN7rocprim17ROCPRIM_400000_NS6detail17trampoline_kernelINS0_14default_configENS1_29binary_search_config_selectorIiN6thrust23THRUST_200600_302600_NS6detail10any_assignEEEZNS1_14transform_implILb0ES3_S9_NS7_15normal_iteratorINS6_10device_ptrIiEEEENS6_16discard_iteratorINS6_11use_defaultEEEZNS1_13binary_searchIS3_S9_SE_SE_SH_NS1_16binary_search_opENS7_16wrapped_functionINS0_4lessIvEEbEEEE10hipError_tPvRmT1_T2_T3_mmT4_T5_P12ihipStream_tbEUlRKiE_EESO_SS_ST_mSU_SX_bEUlT_E_NS1_11comp_targetILNS1_3genE9ELNS1_11target_archE1100ELNS1_3gpuE3ELNS1_3repE0EEENS1_30default_config_static_selectorELNS0_4arch9wavefront6targetE0EEEvSR_, .Lfunc_end616-_ZN7rocprim17ROCPRIM_400000_NS6detail17trampoline_kernelINS0_14default_configENS1_29binary_search_config_selectorIiN6thrust23THRUST_200600_302600_NS6detail10any_assignEEEZNS1_14transform_implILb0ES3_S9_NS7_15normal_iteratorINS6_10device_ptrIiEEEENS6_16discard_iteratorINS6_11use_defaultEEEZNS1_13binary_searchIS3_S9_SE_SE_SH_NS1_16binary_search_opENS7_16wrapped_functionINS0_4lessIvEEbEEEE10hipError_tPvRmT1_T2_T3_mmT4_T5_P12ihipStream_tbEUlRKiE_EESO_SS_ST_mSU_SX_bEUlT_E_NS1_11comp_targetILNS1_3genE9ELNS1_11target_archE1100ELNS1_3gpuE3ELNS1_3repE0EEENS1_30default_config_static_selectorELNS0_4arch9wavefront6targetE0EEEvSR_
                                        ; -- End function
	.section	.AMDGPU.csdata,"",@progbits
; Kernel info:
; codeLenInByte = 4
; NumSgprs: 0
; NumVgprs: 0
; ScratchSize: 0
; MemoryBound: 0
; FloatMode: 240
; IeeeMode: 1
; LDSByteSize: 0 bytes/workgroup (compile time only)
; SGPRBlocks: 0
; VGPRBlocks: 0
; NumSGPRsForWavesPerEU: 1
; NumVGPRsForWavesPerEU: 1
; Occupancy: 16
; WaveLimiterHint : 0
; COMPUTE_PGM_RSRC2:SCRATCH_EN: 0
; COMPUTE_PGM_RSRC2:USER_SGPR: 15
; COMPUTE_PGM_RSRC2:TRAP_HANDLER: 0
; COMPUTE_PGM_RSRC2:TGID_X_EN: 1
; COMPUTE_PGM_RSRC2:TGID_Y_EN: 0
; COMPUTE_PGM_RSRC2:TGID_Z_EN: 0
; COMPUTE_PGM_RSRC2:TIDIG_COMP_CNT: 0
	.section	.text._ZN7rocprim17ROCPRIM_400000_NS6detail17trampoline_kernelINS0_14default_configENS1_29binary_search_config_selectorIiN6thrust23THRUST_200600_302600_NS6detail10any_assignEEEZNS1_14transform_implILb0ES3_S9_NS7_15normal_iteratorINS6_10device_ptrIiEEEENS6_16discard_iteratorINS6_11use_defaultEEEZNS1_13binary_searchIS3_S9_SE_SE_SH_NS1_16binary_search_opENS7_16wrapped_functionINS0_4lessIvEEbEEEE10hipError_tPvRmT1_T2_T3_mmT4_T5_P12ihipStream_tbEUlRKiE_EESO_SS_ST_mSU_SX_bEUlT_E_NS1_11comp_targetILNS1_3genE8ELNS1_11target_archE1030ELNS1_3gpuE2ELNS1_3repE0EEENS1_30default_config_static_selectorELNS0_4arch9wavefront6targetE0EEEvSR_,"axG",@progbits,_ZN7rocprim17ROCPRIM_400000_NS6detail17trampoline_kernelINS0_14default_configENS1_29binary_search_config_selectorIiN6thrust23THRUST_200600_302600_NS6detail10any_assignEEEZNS1_14transform_implILb0ES3_S9_NS7_15normal_iteratorINS6_10device_ptrIiEEEENS6_16discard_iteratorINS6_11use_defaultEEEZNS1_13binary_searchIS3_S9_SE_SE_SH_NS1_16binary_search_opENS7_16wrapped_functionINS0_4lessIvEEbEEEE10hipError_tPvRmT1_T2_T3_mmT4_T5_P12ihipStream_tbEUlRKiE_EESO_SS_ST_mSU_SX_bEUlT_E_NS1_11comp_targetILNS1_3genE8ELNS1_11target_archE1030ELNS1_3gpuE2ELNS1_3repE0EEENS1_30default_config_static_selectorELNS0_4arch9wavefront6targetE0EEEvSR_,comdat
	.protected	_ZN7rocprim17ROCPRIM_400000_NS6detail17trampoline_kernelINS0_14default_configENS1_29binary_search_config_selectorIiN6thrust23THRUST_200600_302600_NS6detail10any_assignEEEZNS1_14transform_implILb0ES3_S9_NS7_15normal_iteratorINS6_10device_ptrIiEEEENS6_16discard_iteratorINS6_11use_defaultEEEZNS1_13binary_searchIS3_S9_SE_SE_SH_NS1_16binary_search_opENS7_16wrapped_functionINS0_4lessIvEEbEEEE10hipError_tPvRmT1_T2_T3_mmT4_T5_P12ihipStream_tbEUlRKiE_EESO_SS_ST_mSU_SX_bEUlT_E_NS1_11comp_targetILNS1_3genE8ELNS1_11target_archE1030ELNS1_3gpuE2ELNS1_3repE0EEENS1_30default_config_static_selectorELNS0_4arch9wavefront6targetE0EEEvSR_ ; -- Begin function _ZN7rocprim17ROCPRIM_400000_NS6detail17trampoline_kernelINS0_14default_configENS1_29binary_search_config_selectorIiN6thrust23THRUST_200600_302600_NS6detail10any_assignEEEZNS1_14transform_implILb0ES3_S9_NS7_15normal_iteratorINS6_10device_ptrIiEEEENS6_16discard_iteratorINS6_11use_defaultEEEZNS1_13binary_searchIS3_S9_SE_SE_SH_NS1_16binary_search_opENS7_16wrapped_functionINS0_4lessIvEEbEEEE10hipError_tPvRmT1_T2_T3_mmT4_T5_P12ihipStream_tbEUlRKiE_EESO_SS_ST_mSU_SX_bEUlT_E_NS1_11comp_targetILNS1_3genE8ELNS1_11target_archE1030ELNS1_3gpuE2ELNS1_3repE0EEENS1_30default_config_static_selectorELNS0_4arch9wavefront6targetE0EEEvSR_
	.globl	_ZN7rocprim17ROCPRIM_400000_NS6detail17trampoline_kernelINS0_14default_configENS1_29binary_search_config_selectorIiN6thrust23THRUST_200600_302600_NS6detail10any_assignEEEZNS1_14transform_implILb0ES3_S9_NS7_15normal_iteratorINS6_10device_ptrIiEEEENS6_16discard_iteratorINS6_11use_defaultEEEZNS1_13binary_searchIS3_S9_SE_SE_SH_NS1_16binary_search_opENS7_16wrapped_functionINS0_4lessIvEEbEEEE10hipError_tPvRmT1_T2_T3_mmT4_T5_P12ihipStream_tbEUlRKiE_EESO_SS_ST_mSU_SX_bEUlT_E_NS1_11comp_targetILNS1_3genE8ELNS1_11target_archE1030ELNS1_3gpuE2ELNS1_3repE0EEENS1_30default_config_static_selectorELNS0_4arch9wavefront6targetE0EEEvSR_
	.p2align	8
	.type	_ZN7rocprim17ROCPRIM_400000_NS6detail17trampoline_kernelINS0_14default_configENS1_29binary_search_config_selectorIiN6thrust23THRUST_200600_302600_NS6detail10any_assignEEEZNS1_14transform_implILb0ES3_S9_NS7_15normal_iteratorINS6_10device_ptrIiEEEENS6_16discard_iteratorINS6_11use_defaultEEEZNS1_13binary_searchIS3_S9_SE_SE_SH_NS1_16binary_search_opENS7_16wrapped_functionINS0_4lessIvEEbEEEE10hipError_tPvRmT1_T2_T3_mmT4_T5_P12ihipStream_tbEUlRKiE_EESO_SS_ST_mSU_SX_bEUlT_E_NS1_11comp_targetILNS1_3genE8ELNS1_11target_archE1030ELNS1_3gpuE2ELNS1_3repE0EEENS1_30default_config_static_selectorELNS0_4arch9wavefront6targetE0EEEvSR_,@function
_ZN7rocprim17ROCPRIM_400000_NS6detail17trampoline_kernelINS0_14default_configENS1_29binary_search_config_selectorIiN6thrust23THRUST_200600_302600_NS6detail10any_assignEEEZNS1_14transform_implILb0ES3_S9_NS7_15normal_iteratorINS6_10device_ptrIiEEEENS6_16discard_iteratorINS6_11use_defaultEEEZNS1_13binary_searchIS3_S9_SE_SE_SH_NS1_16binary_search_opENS7_16wrapped_functionINS0_4lessIvEEbEEEE10hipError_tPvRmT1_T2_T3_mmT4_T5_P12ihipStream_tbEUlRKiE_EESO_SS_ST_mSU_SX_bEUlT_E_NS1_11comp_targetILNS1_3genE8ELNS1_11target_archE1030ELNS1_3gpuE2ELNS1_3repE0EEENS1_30default_config_static_selectorELNS0_4arch9wavefront6targetE0EEEvSR_: ; @_ZN7rocprim17ROCPRIM_400000_NS6detail17trampoline_kernelINS0_14default_configENS1_29binary_search_config_selectorIiN6thrust23THRUST_200600_302600_NS6detail10any_assignEEEZNS1_14transform_implILb0ES3_S9_NS7_15normal_iteratorINS6_10device_ptrIiEEEENS6_16discard_iteratorINS6_11use_defaultEEEZNS1_13binary_searchIS3_S9_SE_SE_SH_NS1_16binary_search_opENS7_16wrapped_functionINS0_4lessIvEEbEEEE10hipError_tPvRmT1_T2_T3_mmT4_T5_P12ihipStream_tbEUlRKiE_EESO_SS_ST_mSU_SX_bEUlT_E_NS1_11comp_targetILNS1_3genE8ELNS1_11target_archE1030ELNS1_3gpuE2ELNS1_3repE0EEENS1_30default_config_static_selectorELNS0_4arch9wavefront6targetE0EEEvSR_
; %bb.0:
	.section	.rodata,"a",@progbits
	.p2align	6, 0x0
	.amdhsa_kernel _ZN7rocprim17ROCPRIM_400000_NS6detail17trampoline_kernelINS0_14default_configENS1_29binary_search_config_selectorIiN6thrust23THRUST_200600_302600_NS6detail10any_assignEEEZNS1_14transform_implILb0ES3_S9_NS7_15normal_iteratorINS6_10device_ptrIiEEEENS6_16discard_iteratorINS6_11use_defaultEEEZNS1_13binary_searchIS3_S9_SE_SE_SH_NS1_16binary_search_opENS7_16wrapped_functionINS0_4lessIvEEbEEEE10hipError_tPvRmT1_T2_T3_mmT4_T5_P12ihipStream_tbEUlRKiE_EESO_SS_ST_mSU_SX_bEUlT_E_NS1_11comp_targetILNS1_3genE8ELNS1_11target_archE1030ELNS1_3gpuE2ELNS1_3repE0EEENS1_30default_config_static_selectorELNS0_4arch9wavefront6targetE0EEEvSR_
		.amdhsa_group_segment_fixed_size 0
		.amdhsa_private_segment_fixed_size 0
		.amdhsa_kernarg_size 64
		.amdhsa_user_sgpr_count 15
		.amdhsa_user_sgpr_dispatch_ptr 0
		.amdhsa_user_sgpr_queue_ptr 0
		.amdhsa_user_sgpr_kernarg_segment_ptr 1
		.amdhsa_user_sgpr_dispatch_id 0
		.amdhsa_user_sgpr_private_segment_size 0
		.amdhsa_wavefront_size32 1
		.amdhsa_uses_dynamic_stack 0
		.amdhsa_enable_private_segment 0
		.amdhsa_system_sgpr_workgroup_id_x 1
		.amdhsa_system_sgpr_workgroup_id_y 0
		.amdhsa_system_sgpr_workgroup_id_z 0
		.amdhsa_system_sgpr_workgroup_info 0
		.amdhsa_system_vgpr_workitem_id 0
		.amdhsa_next_free_vgpr 1
		.amdhsa_next_free_sgpr 1
		.amdhsa_reserve_vcc 0
		.amdhsa_float_round_mode_32 0
		.amdhsa_float_round_mode_16_64 0
		.amdhsa_float_denorm_mode_32 3
		.amdhsa_float_denorm_mode_16_64 3
		.amdhsa_dx10_clamp 1
		.amdhsa_ieee_mode 1
		.amdhsa_fp16_overflow 0
		.amdhsa_workgroup_processor_mode 1
		.amdhsa_memory_ordered 1
		.amdhsa_forward_progress 0
		.amdhsa_shared_vgpr_count 0
		.amdhsa_exception_fp_ieee_invalid_op 0
		.amdhsa_exception_fp_denorm_src 0
		.amdhsa_exception_fp_ieee_div_zero 0
		.amdhsa_exception_fp_ieee_overflow 0
		.amdhsa_exception_fp_ieee_underflow 0
		.amdhsa_exception_fp_ieee_inexact 0
		.amdhsa_exception_int_div_zero 0
	.end_amdhsa_kernel
	.section	.text._ZN7rocprim17ROCPRIM_400000_NS6detail17trampoline_kernelINS0_14default_configENS1_29binary_search_config_selectorIiN6thrust23THRUST_200600_302600_NS6detail10any_assignEEEZNS1_14transform_implILb0ES3_S9_NS7_15normal_iteratorINS6_10device_ptrIiEEEENS6_16discard_iteratorINS6_11use_defaultEEEZNS1_13binary_searchIS3_S9_SE_SE_SH_NS1_16binary_search_opENS7_16wrapped_functionINS0_4lessIvEEbEEEE10hipError_tPvRmT1_T2_T3_mmT4_T5_P12ihipStream_tbEUlRKiE_EESO_SS_ST_mSU_SX_bEUlT_E_NS1_11comp_targetILNS1_3genE8ELNS1_11target_archE1030ELNS1_3gpuE2ELNS1_3repE0EEENS1_30default_config_static_selectorELNS0_4arch9wavefront6targetE0EEEvSR_,"axG",@progbits,_ZN7rocprim17ROCPRIM_400000_NS6detail17trampoline_kernelINS0_14default_configENS1_29binary_search_config_selectorIiN6thrust23THRUST_200600_302600_NS6detail10any_assignEEEZNS1_14transform_implILb0ES3_S9_NS7_15normal_iteratorINS6_10device_ptrIiEEEENS6_16discard_iteratorINS6_11use_defaultEEEZNS1_13binary_searchIS3_S9_SE_SE_SH_NS1_16binary_search_opENS7_16wrapped_functionINS0_4lessIvEEbEEEE10hipError_tPvRmT1_T2_T3_mmT4_T5_P12ihipStream_tbEUlRKiE_EESO_SS_ST_mSU_SX_bEUlT_E_NS1_11comp_targetILNS1_3genE8ELNS1_11target_archE1030ELNS1_3gpuE2ELNS1_3repE0EEENS1_30default_config_static_selectorELNS0_4arch9wavefront6targetE0EEEvSR_,comdat
.Lfunc_end617:
	.size	_ZN7rocprim17ROCPRIM_400000_NS6detail17trampoline_kernelINS0_14default_configENS1_29binary_search_config_selectorIiN6thrust23THRUST_200600_302600_NS6detail10any_assignEEEZNS1_14transform_implILb0ES3_S9_NS7_15normal_iteratorINS6_10device_ptrIiEEEENS6_16discard_iteratorINS6_11use_defaultEEEZNS1_13binary_searchIS3_S9_SE_SE_SH_NS1_16binary_search_opENS7_16wrapped_functionINS0_4lessIvEEbEEEE10hipError_tPvRmT1_T2_T3_mmT4_T5_P12ihipStream_tbEUlRKiE_EESO_SS_ST_mSU_SX_bEUlT_E_NS1_11comp_targetILNS1_3genE8ELNS1_11target_archE1030ELNS1_3gpuE2ELNS1_3repE0EEENS1_30default_config_static_selectorELNS0_4arch9wavefront6targetE0EEEvSR_, .Lfunc_end617-_ZN7rocprim17ROCPRIM_400000_NS6detail17trampoline_kernelINS0_14default_configENS1_29binary_search_config_selectorIiN6thrust23THRUST_200600_302600_NS6detail10any_assignEEEZNS1_14transform_implILb0ES3_S9_NS7_15normal_iteratorINS6_10device_ptrIiEEEENS6_16discard_iteratorINS6_11use_defaultEEEZNS1_13binary_searchIS3_S9_SE_SE_SH_NS1_16binary_search_opENS7_16wrapped_functionINS0_4lessIvEEbEEEE10hipError_tPvRmT1_T2_T3_mmT4_T5_P12ihipStream_tbEUlRKiE_EESO_SS_ST_mSU_SX_bEUlT_E_NS1_11comp_targetILNS1_3genE8ELNS1_11target_archE1030ELNS1_3gpuE2ELNS1_3repE0EEENS1_30default_config_static_selectorELNS0_4arch9wavefront6targetE0EEEvSR_
                                        ; -- End function
	.section	.AMDGPU.csdata,"",@progbits
; Kernel info:
; codeLenInByte = 0
; NumSgprs: 0
; NumVgprs: 0
; ScratchSize: 0
; MemoryBound: 0
; FloatMode: 240
; IeeeMode: 1
; LDSByteSize: 0 bytes/workgroup (compile time only)
; SGPRBlocks: 0
; VGPRBlocks: 0
; NumSGPRsForWavesPerEU: 1
; NumVGPRsForWavesPerEU: 1
; Occupancy: 16
; WaveLimiterHint : 0
; COMPUTE_PGM_RSRC2:SCRATCH_EN: 0
; COMPUTE_PGM_RSRC2:USER_SGPR: 15
; COMPUTE_PGM_RSRC2:TRAP_HANDLER: 0
; COMPUTE_PGM_RSRC2:TGID_X_EN: 1
; COMPUTE_PGM_RSRC2:TGID_Y_EN: 0
; COMPUTE_PGM_RSRC2:TGID_Z_EN: 0
; COMPUTE_PGM_RSRC2:TIDIG_COMP_CNT: 0
	.section	.text._ZN7rocprim17ROCPRIM_400000_NS6detail17trampoline_kernelINS0_14default_configENS1_29binary_search_config_selectorIsN6thrust23THRUST_200600_302600_NS6detail10any_assignEEEZNS1_14transform_implILb0ES3_S9_NS7_15normal_iteratorINS6_10device_ptrIsEEEENS6_16discard_iteratorINS6_11use_defaultEEEZNS1_13binary_searchIS3_S9_SE_SE_SH_NS1_16binary_search_opENS7_16wrapped_functionINS0_4lessIvEEbEEEE10hipError_tPvRmT1_T2_T3_mmT4_T5_P12ihipStream_tbEUlRKsE_EESO_SS_ST_mSU_SX_bEUlT_E_NS1_11comp_targetILNS1_3genE0ELNS1_11target_archE4294967295ELNS1_3gpuE0ELNS1_3repE0EEENS1_30default_config_static_selectorELNS0_4arch9wavefront6targetE0EEEvSR_,"axG",@progbits,_ZN7rocprim17ROCPRIM_400000_NS6detail17trampoline_kernelINS0_14default_configENS1_29binary_search_config_selectorIsN6thrust23THRUST_200600_302600_NS6detail10any_assignEEEZNS1_14transform_implILb0ES3_S9_NS7_15normal_iteratorINS6_10device_ptrIsEEEENS6_16discard_iteratorINS6_11use_defaultEEEZNS1_13binary_searchIS3_S9_SE_SE_SH_NS1_16binary_search_opENS7_16wrapped_functionINS0_4lessIvEEbEEEE10hipError_tPvRmT1_T2_T3_mmT4_T5_P12ihipStream_tbEUlRKsE_EESO_SS_ST_mSU_SX_bEUlT_E_NS1_11comp_targetILNS1_3genE0ELNS1_11target_archE4294967295ELNS1_3gpuE0ELNS1_3repE0EEENS1_30default_config_static_selectorELNS0_4arch9wavefront6targetE0EEEvSR_,comdat
	.protected	_ZN7rocprim17ROCPRIM_400000_NS6detail17trampoline_kernelINS0_14default_configENS1_29binary_search_config_selectorIsN6thrust23THRUST_200600_302600_NS6detail10any_assignEEEZNS1_14transform_implILb0ES3_S9_NS7_15normal_iteratorINS6_10device_ptrIsEEEENS6_16discard_iteratorINS6_11use_defaultEEEZNS1_13binary_searchIS3_S9_SE_SE_SH_NS1_16binary_search_opENS7_16wrapped_functionINS0_4lessIvEEbEEEE10hipError_tPvRmT1_T2_T3_mmT4_T5_P12ihipStream_tbEUlRKsE_EESO_SS_ST_mSU_SX_bEUlT_E_NS1_11comp_targetILNS1_3genE0ELNS1_11target_archE4294967295ELNS1_3gpuE0ELNS1_3repE0EEENS1_30default_config_static_selectorELNS0_4arch9wavefront6targetE0EEEvSR_ ; -- Begin function _ZN7rocprim17ROCPRIM_400000_NS6detail17trampoline_kernelINS0_14default_configENS1_29binary_search_config_selectorIsN6thrust23THRUST_200600_302600_NS6detail10any_assignEEEZNS1_14transform_implILb0ES3_S9_NS7_15normal_iteratorINS6_10device_ptrIsEEEENS6_16discard_iteratorINS6_11use_defaultEEEZNS1_13binary_searchIS3_S9_SE_SE_SH_NS1_16binary_search_opENS7_16wrapped_functionINS0_4lessIvEEbEEEE10hipError_tPvRmT1_T2_T3_mmT4_T5_P12ihipStream_tbEUlRKsE_EESO_SS_ST_mSU_SX_bEUlT_E_NS1_11comp_targetILNS1_3genE0ELNS1_11target_archE4294967295ELNS1_3gpuE0ELNS1_3repE0EEENS1_30default_config_static_selectorELNS0_4arch9wavefront6targetE0EEEvSR_
	.globl	_ZN7rocprim17ROCPRIM_400000_NS6detail17trampoline_kernelINS0_14default_configENS1_29binary_search_config_selectorIsN6thrust23THRUST_200600_302600_NS6detail10any_assignEEEZNS1_14transform_implILb0ES3_S9_NS7_15normal_iteratorINS6_10device_ptrIsEEEENS6_16discard_iteratorINS6_11use_defaultEEEZNS1_13binary_searchIS3_S9_SE_SE_SH_NS1_16binary_search_opENS7_16wrapped_functionINS0_4lessIvEEbEEEE10hipError_tPvRmT1_T2_T3_mmT4_T5_P12ihipStream_tbEUlRKsE_EESO_SS_ST_mSU_SX_bEUlT_E_NS1_11comp_targetILNS1_3genE0ELNS1_11target_archE4294967295ELNS1_3gpuE0ELNS1_3repE0EEENS1_30default_config_static_selectorELNS0_4arch9wavefront6targetE0EEEvSR_
	.p2align	8
	.type	_ZN7rocprim17ROCPRIM_400000_NS6detail17trampoline_kernelINS0_14default_configENS1_29binary_search_config_selectorIsN6thrust23THRUST_200600_302600_NS6detail10any_assignEEEZNS1_14transform_implILb0ES3_S9_NS7_15normal_iteratorINS6_10device_ptrIsEEEENS6_16discard_iteratorINS6_11use_defaultEEEZNS1_13binary_searchIS3_S9_SE_SE_SH_NS1_16binary_search_opENS7_16wrapped_functionINS0_4lessIvEEbEEEE10hipError_tPvRmT1_T2_T3_mmT4_T5_P12ihipStream_tbEUlRKsE_EESO_SS_ST_mSU_SX_bEUlT_E_NS1_11comp_targetILNS1_3genE0ELNS1_11target_archE4294967295ELNS1_3gpuE0ELNS1_3repE0EEENS1_30default_config_static_selectorELNS0_4arch9wavefront6targetE0EEEvSR_,@function
_ZN7rocprim17ROCPRIM_400000_NS6detail17trampoline_kernelINS0_14default_configENS1_29binary_search_config_selectorIsN6thrust23THRUST_200600_302600_NS6detail10any_assignEEEZNS1_14transform_implILb0ES3_S9_NS7_15normal_iteratorINS6_10device_ptrIsEEEENS6_16discard_iteratorINS6_11use_defaultEEEZNS1_13binary_searchIS3_S9_SE_SE_SH_NS1_16binary_search_opENS7_16wrapped_functionINS0_4lessIvEEbEEEE10hipError_tPvRmT1_T2_T3_mmT4_T5_P12ihipStream_tbEUlRKsE_EESO_SS_ST_mSU_SX_bEUlT_E_NS1_11comp_targetILNS1_3genE0ELNS1_11target_archE4294967295ELNS1_3gpuE0ELNS1_3repE0EEENS1_30default_config_static_selectorELNS0_4arch9wavefront6targetE0EEEvSR_: ; @_ZN7rocprim17ROCPRIM_400000_NS6detail17trampoline_kernelINS0_14default_configENS1_29binary_search_config_selectorIsN6thrust23THRUST_200600_302600_NS6detail10any_assignEEEZNS1_14transform_implILb0ES3_S9_NS7_15normal_iteratorINS6_10device_ptrIsEEEENS6_16discard_iteratorINS6_11use_defaultEEEZNS1_13binary_searchIS3_S9_SE_SE_SH_NS1_16binary_search_opENS7_16wrapped_functionINS0_4lessIvEEbEEEE10hipError_tPvRmT1_T2_T3_mmT4_T5_P12ihipStream_tbEUlRKsE_EESO_SS_ST_mSU_SX_bEUlT_E_NS1_11comp_targetILNS1_3genE0ELNS1_11target_archE4294967295ELNS1_3gpuE0ELNS1_3repE0EEENS1_30default_config_static_selectorELNS0_4arch9wavefront6targetE0EEEvSR_
; %bb.0:
	.section	.rodata,"a",@progbits
	.p2align	6, 0x0
	.amdhsa_kernel _ZN7rocprim17ROCPRIM_400000_NS6detail17trampoline_kernelINS0_14default_configENS1_29binary_search_config_selectorIsN6thrust23THRUST_200600_302600_NS6detail10any_assignEEEZNS1_14transform_implILb0ES3_S9_NS7_15normal_iteratorINS6_10device_ptrIsEEEENS6_16discard_iteratorINS6_11use_defaultEEEZNS1_13binary_searchIS3_S9_SE_SE_SH_NS1_16binary_search_opENS7_16wrapped_functionINS0_4lessIvEEbEEEE10hipError_tPvRmT1_T2_T3_mmT4_T5_P12ihipStream_tbEUlRKsE_EESO_SS_ST_mSU_SX_bEUlT_E_NS1_11comp_targetILNS1_3genE0ELNS1_11target_archE4294967295ELNS1_3gpuE0ELNS1_3repE0EEENS1_30default_config_static_selectorELNS0_4arch9wavefront6targetE0EEEvSR_
		.amdhsa_group_segment_fixed_size 0
		.amdhsa_private_segment_fixed_size 0
		.amdhsa_kernarg_size 64
		.amdhsa_user_sgpr_count 15
		.amdhsa_user_sgpr_dispatch_ptr 0
		.amdhsa_user_sgpr_queue_ptr 0
		.amdhsa_user_sgpr_kernarg_segment_ptr 1
		.amdhsa_user_sgpr_dispatch_id 0
		.amdhsa_user_sgpr_private_segment_size 0
		.amdhsa_wavefront_size32 1
		.amdhsa_uses_dynamic_stack 0
		.amdhsa_enable_private_segment 0
		.amdhsa_system_sgpr_workgroup_id_x 1
		.amdhsa_system_sgpr_workgroup_id_y 0
		.amdhsa_system_sgpr_workgroup_id_z 0
		.amdhsa_system_sgpr_workgroup_info 0
		.amdhsa_system_vgpr_workitem_id 0
		.amdhsa_next_free_vgpr 1
		.amdhsa_next_free_sgpr 1
		.amdhsa_reserve_vcc 0
		.amdhsa_float_round_mode_32 0
		.amdhsa_float_round_mode_16_64 0
		.amdhsa_float_denorm_mode_32 3
		.amdhsa_float_denorm_mode_16_64 3
		.amdhsa_dx10_clamp 1
		.amdhsa_ieee_mode 1
		.amdhsa_fp16_overflow 0
		.amdhsa_workgroup_processor_mode 1
		.amdhsa_memory_ordered 1
		.amdhsa_forward_progress 0
		.amdhsa_shared_vgpr_count 0
		.amdhsa_exception_fp_ieee_invalid_op 0
		.amdhsa_exception_fp_denorm_src 0
		.amdhsa_exception_fp_ieee_div_zero 0
		.amdhsa_exception_fp_ieee_overflow 0
		.amdhsa_exception_fp_ieee_underflow 0
		.amdhsa_exception_fp_ieee_inexact 0
		.amdhsa_exception_int_div_zero 0
	.end_amdhsa_kernel
	.section	.text._ZN7rocprim17ROCPRIM_400000_NS6detail17trampoline_kernelINS0_14default_configENS1_29binary_search_config_selectorIsN6thrust23THRUST_200600_302600_NS6detail10any_assignEEEZNS1_14transform_implILb0ES3_S9_NS7_15normal_iteratorINS6_10device_ptrIsEEEENS6_16discard_iteratorINS6_11use_defaultEEEZNS1_13binary_searchIS3_S9_SE_SE_SH_NS1_16binary_search_opENS7_16wrapped_functionINS0_4lessIvEEbEEEE10hipError_tPvRmT1_T2_T3_mmT4_T5_P12ihipStream_tbEUlRKsE_EESO_SS_ST_mSU_SX_bEUlT_E_NS1_11comp_targetILNS1_3genE0ELNS1_11target_archE4294967295ELNS1_3gpuE0ELNS1_3repE0EEENS1_30default_config_static_selectorELNS0_4arch9wavefront6targetE0EEEvSR_,"axG",@progbits,_ZN7rocprim17ROCPRIM_400000_NS6detail17trampoline_kernelINS0_14default_configENS1_29binary_search_config_selectorIsN6thrust23THRUST_200600_302600_NS6detail10any_assignEEEZNS1_14transform_implILb0ES3_S9_NS7_15normal_iteratorINS6_10device_ptrIsEEEENS6_16discard_iteratorINS6_11use_defaultEEEZNS1_13binary_searchIS3_S9_SE_SE_SH_NS1_16binary_search_opENS7_16wrapped_functionINS0_4lessIvEEbEEEE10hipError_tPvRmT1_T2_T3_mmT4_T5_P12ihipStream_tbEUlRKsE_EESO_SS_ST_mSU_SX_bEUlT_E_NS1_11comp_targetILNS1_3genE0ELNS1_11target_archE4294967295ELNS1_3gpuE0ELNS1_3repE0EEENS1_30default_config_static_selectorELNS0_4arch9wavefront6targetE0EEEvSR_,comdat
.Lfunc_end618:
	.size	_ZN7rocprim17ROCPRIM_400000_NS6detail17trampoline_kernelINS0_14default_configENS1_29binary_search_config_selectorIsN6thrust23THRUST_200600_302600_NS6detail10any_assignEEEZNS1_14transform_implILb0ES3_S9_NS7_15normal_iteratorINS6_10device_ptrIsEEEENS6_16discard_iteratorINS6_11use_defaultEEEZNS1_13binary_searchIS3_S9_SE_SE_SH_NS1_16binary_search_opENS7_16wrapped_functionINS0_4lessIvEEbEEEE10hipError_tPvRmT1_T2_T3_mmT4_T5_P12ihipStream_tbEUlRKsE_EESO_SS_ST_mSU_SX_bEUlT_E_NS1_11comp_targetILNS1_3genE0ELNS1_11target_archE4294967295ELNS1_3gpuE0ELNS1_3repE0EEENS1_30default_config_static_selectorELNS0_4arch9wavefront6targetE0EEEvSR_, .Lfunc_end618-_ZN7rocprim17ROCPRIM_400000_NS6detail17trampoline_kernelINS0_14default_configENS1_29binary_search_config_selectorIsN6thrust23THRUST_200600_302600_NS6detail10any_assignEEEZNS1_14transform_implILb0ES3_S9_NS7_15normal_iteratorINS6_10device_ptrIsEEEENS6_16discard_iteratorINS6_11use_defaultEEEZNS1_13binary_searchIS3_S9_SE_SE_SH_NS1_16binary_search_opENS7_16wrapped_functionINS0_4lessIvEEbEEEE10hipError_tPvRmT1_T2_T3_mmT4_T5_P12ihipStream_tbEUlRKsE_EESO_SS_ST_mSU_SX_bEUlT_E_NS1_11comp_targetILNS1_3genE0ELNS1_11target_archE4294967295ELNS1_3gpuE0ELNS1_3repE0EEENS1_30default_config_static_selectorELNS0_4arch9wavefront6targetE0EEEvSR_
                                        ; -- End function
	.section	.AMDGPU.csdata,"",@progbits
; Kernel info:
; codeLenInByte = 0
; NumSgprs: 0
; NumVgprs: 0
; ScratchSize: 0
; MemoryBound: 0
; FloatMode: 240
; IeeeMode: 1
; LDSByteSize: 0 bytes/workgroup (compile time only)
; SGPRBlocks: 0
; VGPRBlocks: 0
; NumSGPRsForWavesPerEU: 1
; NumVGPRsForWavesPerEU: 1
; Occupancy: 16
; WaveLimiterHint : 0
; COMPUTE_PGM_RSRC2:SCRATCH_EN: 0
; COMPUTE_PGM_RSRC2:USER_SGPR: 15
; COMPUTE_PGM_RSRC2:TRAP_HANDLER: 0
; COMPUTE_PGM_RSRC2:TGID_X_EN: 1
; COMPUTE_PGM_RSRC2:TGID_Y_EN: 0
; COMPUTE_PGM_RSRC2:TGID_Z_EN: 0
; COMPUTE_PGM_RSRC2:TIDIG_COMP_CNT: 0
	.section	.text._ZN7rocprim17ROCPRIM_400000_NS6detail17trampoline_kernelINS0_14default_configENS1_29binary_search_config_selectorIsN6thrust23THRUST_200600_302600_NS6detail10any_assignEEEZNS1_14transform_implILb0ES3_S9_NS7_15normal_iteratorINS6_10device_ptrIsEEEENS6_16discard_iteratorINS6_11use_defaultEEEZNS1_13binary_searchIS3_S9_SE_SE_SH_NS1_16binary_search_opENS7_16wrapped_functionINS0_4lessIvEEbEEEE10hipError_tPvRmT1_T2_T3_mmT4_T5_P12ihipStream_tbEUlRKsE_EESO_SS_ST_mSU_SX_bEUlT_E_NS1_11comp_targetILNS1_3genE5ELNS1_11target_archE942ELNS1_3gpuE9ELNS1_3repE0EEENS1_30default_config_static_selectorELNS0_4arch9wavefront6targetE0EEEvSR_,"axG",@progbits,_ZN7rocprim17ROCPRIM_400000_NS6detail17trampoline_kernelINS0_14default_configENS1_29binary_search_config_selectorIsN6thrust23THRUST_200600_302600_NS6detail10any_assignEEEZNS1_14transform_implILb0ES3_S9_NS7_15normal_iteratorINS6_10device_ptrIsEEEENS6_16discard_iteratorINS6_11use_defaultEEEZNS1_13binary_searchIS3_S9_SE_SE_SH_NS1_16binary_search_opENS7_16wrapped_functionINS0_4lessIvEEbEEEE10hipError_tPvRmT1_T2_T3_mmT4_T5_P12ihipStream_tbEUlRKsE_EESO_SS_ST_mSU_SX_bEUlT_E_NS1_11comp_targetILNS1_3genE5ELNS1_11target_archE942ELNS1_3gpuE9ELNS1_3repE0EEENS1_30default_config_static_selectorELNS0_4arch9wavefront6targetE0EEEvSR_,comdat
	.protected	_ZN7rocprim17ROCPRIM_400000_NS6detail17trampoline_kernelINS0_14default_configENS1_29binary_search_config_selectorIsN6thrust23THRUST_200600_302600_NS6detail10any_assignEEEZNS1_14transform_implILb0ES3_S9_NS7_15normal_iteratorINS6_10device_ptrIsEEEENS6_16discard_iteratorINS6_11use_defaultEEEZNS1_13binary_searchIS3_S9_SE_SE_SH_NS1_16binary_search_opENS7_16wrapped_functionINS0_4lessIvEEbEEEE10hipError_tPvRmT1_T2_T3_mmT4_T5_P12ihipStream_tbEUlRKsE_EESO_SS_ST_mSU_SX_bEUlT_E_NS1_11comp_targetILNS1_3genE5ELNS1_11target_archE942ELNS1_3gpuE9ELNS1_3repE0EEENS1_30default_config_static_selectorELNS0_4arch9wavefront6targetE0EEEvSR_ ; -- Begin function _ZN7rocprim17ROCPRIM_400000_NS6detail17trampoline_kernelINS0_14default_configENS1_29binary_search_config_selectorIsN6thrust23THRUST_200600_302600_NS6detail10any_assignEEEZNS1_14transform_implILb0ES3_S9_NS7_15normal_iteratorINS6_10device_ptrIsEEEENS6_16discard_iteratorINS6_11use_defaultEEEZNS1_13binary_searchIS3_S9_SE_SE_SH_NS1_16binary_search_opENS7_16wrapped_functionINS0_4lessIvEEbEEEE10hipError_tPvRmT1_T2_T3_mmT4_T5_P12ihipStream_tbEUlRKsE_EESO_SS_ST_mSU_SX_bEUlT_E_NS1_11comp_targetILNS1_3genE5ELNS1_11target_archE942ELNS1_3gpuE9ELNS1_3repE0EEENS1_30default_config_static_selectorELNS0_4arch9wavefront6targetE0EEEvSR_
	.globl	_ZN7rocprim17ROCPRIM_400000_NS6detail17trampoline_kernelINS0_14default_configENS1_29binary_search_config_selectorIsN6thrust23THRUST_200600_302600_NS6detail10any_assignEEEZNS1_14transform_implILb0ES3_S9_NS7_15normal_iteratorINS6_10device_ptrIsEEEENS6_16discard_iteratorINS6_11use_defaultEEEZNS1_13binary_searchIS3_S9_SE_SE_SH_NS1_16binary_search_opENS7_16wrapped_functionINS0_4lessIvEEbEEEE10hipError_tPvRmT1_T2_T3_mmT4_T5_P12ihipStream_tbEUlRKsE_EESO_SS_ST_mSU_SX_bEUlT_E_NS1_11comp_targetILNS1_3genE5ELNS1_11target_archE942ELNS1_3gpuE9ELNS1_3repE0EEENS1_30default_config_static_selectorELNS0_4arch9wavefront6targetE0EEEvSR_
	.p2align	8
	.type	_ZN7rocprim17ROCPRIM_400000_NS6detail17trampoline_kernelINS0_14default_configENS1_29binary_search_config_selectorIsN6thrust23THRUST_200600_302600_NS6detail10any_assignEEEZNS1_14transform_implILb0ES3_S9_NS7_15normal_iteratorINS6_10device_ptrIsEEEENS6_16discard_iteratorINS6_11use_defaultEEEZNS1_13binary_searchIS3_S9_SE_SE_SH_NS1_16binary_search_opENS7_16wrapped_functionINS0_4lessIvEEbEEEE10hipError_tPvRmT1_T2_T3_mmT4_T5_P12ihipStream_tbEUlRKsE_EESO_SS_ST_mSU_SX_bEUlT_E_NS1_11comp_targetILNS1_3genE5ELNS1_11target_archE942ELNS1_3gpuE9ELNS1_3repE0EEENS1_30default_config_static_selectorELNS0_4arch9wavefront6targetE0EEEvSR_,@function
_ZN7rocprim17ROCPRIM_400000_NS6detail17trampoline_kernelINS0_14default_configENS1_29binary_search_config_selectorIsN6thrust23THRUST_200600_302600_NS6detail10any_assignEEEZNS1_14transform_implILb0ES3_S9_NS7_15normal_iteratorINS6_10device_ptrIsEEEENS6_16discard_iteratorINS6_11use_defaultEEEZNS1_13binary_searchIS3_S9_SE_SE_SH_NS1_16binary_search_opENS7_16wrapped_functionINS0_4lessIvEEbEEEE10hipError_tPvRmT1_T2_T3_mmT4_T5_P12ihipStream_tbEUlRKsE_EESO_SS_ST_mSU_SX_bEUlT_E_NS1_11comp_targetILNS1_3genE5ELNS1_11target_archE942ELNS1_3gpuE9ELNS1_3repE0EEENS1_30default_config_static_selectorELNS0_4arch9wavefront6targetE0EEEvSR_: ; @_ZN7rocprim17ROCPRIM_400000_NS6detail17trampoline_kernelINS0_14default_configENS1_29binary_search_config_selectorIsN6thrust23THRUST_200600_302600_NS6detail10any_assignEEEZNS1_14transform_implILb0ES3_S9_NS7_15normal_iteratorINS6_10device_ptrIsEEEENS6_16discard_iteratorINS6_11use_defaultEEEZNS1_13binary_searchIS3_S9_SE_SE_SH_NS1_16binary_search_opENS7_16wrapped_functionINS0_4lessIvEEbEEEE10hipError_tPvRmT1_T2_T3_mmT4_T5_P12ihipStream_tbEUlRKsE_EESO_SS_ST_mSU_SX_bEUlT_E_NS1_11comp_targetILNS1_3genE5ELNS1_11target_archE942ELNS1_3gpuE9ELNS1_3repE0EEENS1_30default_config_static_selectorELNS0_4arch9wavefront6targetE0EEEvSR_
; %bb.0:
	.section	.rodata,"a",@progbits
	.p2align	6, 0x0
	.amdhsa_kernel _ZN7rocprim17ROCPRIM_400000_NS6detail17trampoline_kernelINS0_14default_configENS1_29binary_search_config_selectorIsN6thrust23THRUST_200600_302600_NS6detail10any_assignEEEZNS1_14transform_implILb0ES3_S9_NS7_15normal_iteratorINS6_10device_ptrIsEEEENS6_16discard_iteratorINS6_11use_defaultEEEZNS1_13binary_searchIS3_S9_SE_SE_SH_NS1_16binary_search_opENS7_16wrapped_functionINS0_4lessIvEEbEEEE10hipError_tPvRmT1_T2_T3_mmT4_T5_P12ihipStream_tbEUlRKsE_EESO_SS_ST_mSU_SX_bEUlT_E_NS1_11comp_targetILNS1_3genE5ELNS1_11target_archE942ELNS1_3gpuE9ELNS1_3repE0EEENS1_30default_config_static_selectorELNS0_4arch9wavefront6targetE0EEEvSR_
		.amdhsa_group_segment_fixed_size 0
		.amdhsa_private_segment_fixed_size 0
		.amdhsa_kernarg_size 64
		.amdhsa_user_sgpr_count 15
		.amdhsa_user_sgpr_dispatch_ptr 0
		.amdhsa_user_sgpr_queue_ptr 0
		.amdhsa_user_sgpr_kernarg_segment_ptr 1
		.amdhsa_user_sgpr_dispatch_id 0
		.amdhsa_user_sgpr_private_segment_size 0
		.amdhsa_wavefront_size32 1
		.amdhsa_uses_dynamic_stack 0
		.amdhsa_enable_private_segment 0
		.amdhsa_system_sgpr_workgroup_id_x 1
		.amdhsa_system_sgpr_workgroup_id_y 0
		.amdhsa_system_sgpr_workgroup_id_z 0
		.amdhsa_system_sgpr_workgroup_info 0
		.amdhsa_system_vgpr_workitem_id 0
		.amdhsa_next_free_vgpr 1
		.amdhsa_next_free_sgpr 1
		.amdhsa_reserve_vcc 0
		.amdhsa_float_round_mode_32 0
		.amdhsa_float_round_mode_16_64 0
		.amdhsa_float_denorm_mode_32 3
		.amdhsa_float_denorm_mode_16_64 3
		.amdhsa_dx10_clamp 1
		.amdhsa_ieee_mode 1
		.amdhsa_fp16_overflow 0
		.amdhsa_workgroup_processor_mode 1
		.amdhsa_memory_ordered 1
		.amdhsa_forward_progress 0
		.amdhsa_shared_vgpr_count 0
		.amdhsa_exception_fp_ieee_invalid_op 0
		.amdhsa_exception_fp_denorm_src 0
		.amdhsa_exception_fp_ieee_div_zero 0
		.amdhsa_exception_fp_ieee_overflow 0
		.amdhsa_exception_fp_ieee_underflow 0
		.amdhsa_exception_fp_ieee_inexact 0
		.amdhsa_exception_int_div_zero 0
	.end_amdhsa_kernel
	.section	.text._ZN7rocprim17ROCPRIM_400000_NS6detail17trampoline_kernelINS0_14default_configENS1_29binary_search_config_selectorIsN6thrust23THRUST_200600_302600_NS6detail10any_assignEEEZNS1_14transform_implILb0ES3_S9_NS7_15normal_iteratorINS6_10device_ptrIsEEEENS6_16discard_iteratorINS6_11use_defaultEEEZNS1_13binary_searchIS3_S9_SE_SE_SH_NS1_16binary_search_opENS7_16wrapped_functionINS0_4lessIvEEbEEEE10hipError_tPvRmT1_T2_T3_mmT4_T5_P12ihipStream_tbEUlRKsE_EESO_SS_ST_mSU_SX_bEUlT_E_NS1_11comp_targetILNS1_3genE5ELNS1_11target_archE942ELNS1_3gpuE9ELNS1_3repE0EEENS1_30default_config_static_selectorELNS0_4arch9wavefront6targetE0EEEvSR_,"axG",@progbits,_ZN7rocprim17ROCPRIM_400000_NS6detail17trampoline_kernelINS0_14default_configENS1_29binary_search_config_selectorIsN6thrust23THRUST_200600_302600_NS6detail10any_assignEEEZNS1_14transform_implILb0ES3_S9_NS7_15normal_iteratorINS6_10device_ptrIsEEEENS6_16discard_iteratorINS6_11use_defaultEEEZNS1_13binary_searchIS3_S9_SE_SE_SH_NS1_16binary_search_opENS7_16wrapped_functionINS0_4lessIvEEbEEEE10hipError_tPvRmT1_T2_T3_mmT4_T5_P12ihipStream_tbEUlRKsE_EESO_SS_ST_mSU_SX_bEUlT_E_NS1_11comp_targetILNS1_3genE5ELNS1_11target_archE942ELNS1_3gpuE9ELNS1_3repE0EEENS1_30default_config_static_selectorELNS0_4arch9wavefront6targetE0EEEvSR_,comdat
.Lfunc_end619:
	.size	_ZN7rocprim17ROCPRIM_400000_NS6detail17trampoline_kernelINS0_14default_configENS1_29binary_search_config_selectorIsN6thrust23THRUST_200600_302600_NS6detail10any_assignEEEZNS1_14transform_implILb0ES3_S9_NS7_15normal_iteratorINS6_10device_ptrIsEEEENS6_16discard_iteratorINS6_11use_defaultEEEZNS1_13binary_searchIS3_S9_SE_SE_SH_NS1_16binary_search_opENS7_16wrapped_functionINS0_4lessIvEEbEEEE10hipError_tPvRmT1_T2_T3_mmT4_T5_P12ihipStream_tbEUlRKsE_EESO_SS_ST_mSU_SX_bEUlT_E_NS1_11comp_targetILNS1_3genE5ELNS1_11target_archE942ELNS1_3gpuE9ELNS1_3repE0EEENS1_30default_config_static_selectorELNS0_4arch9wavefront6targetE0EEEvSR_, .Lfunc_end619-_ZN7rocprim17ROCPRIM_400000_NS6detail17trampoline_kernelINS0_14default_configENS1_29binary_search_config_selectorIsN6thrust23THRUST_200600_302600_NS6detail10any_assignEEEZNS1_14transform_implILb0ES3_S9_NS7_15normal_iteratorINS6_10device_ptrIsEEEENS6_16discard_iteratorINS6_11use_defaultEEEZNS1_13binary_searchIS3_S9_SE_SE_SH_NS1_16binary_search_opENS7_16wrapped_functionINS0_4lessIvEEbEEEE10hipError_tPvRmT1_T2_T3_mmT4_T5_P12ihipStream_tbEUlRKsE_EESO_SS_ST_mSU_SX_bEUlT_E_NS1_11comp_targetILNS1_3genE5ELNS1_11target_archE942ELNS1_3gpuE9ELNS1_3repE0EEENS1_30default_config_static_selectorELNS0_4arch9wavefront6targetE0EEEvSR_
                                        ; -- End function
	.section	.AMDGPU.csdata,"",@progbits
; Kernel info:
; codeLenInByte = 0
; NumSgprs: 0
; NumVgprs: 0
; ScratchSize: 0
; MemoryBound: 0
; FloatMode: 240
; IeeeMode: 1
; LDSByteSize: 0 bytes/workgroup (compile time only)
; SGPRBlocks: 0
; VGPRBlocks: 0
; NumSGPRsForWavesPerEU: 1
; NumVGPRsForWavesPerEU: 1
; Occupancy: 16
; WaveLimiterHint : 0
; COMPUTE_PGM_RSRC2:SCRATCH_EN: 0
; COMPUTE_PGM_RSRC2:USER_SGPR: 15
; COMPUTE_PGM_RSRC2:TRAP_HANDLER: 0
; COMPUTE_PGM_RSRC2:TGID_X_EN: 1
; COMPUTE_PGM_RSRC2:TGID_Y_EN: 0
; COMPUTE_PGM_RSRC2:TGID_Z_EN: 0
; COMPUTE_PGM_RSRC2:TIDIG_COMP_CNT: 0
	.section	.text._ZN7rocprim17ROCPRIM_400000_NS6detail17trampoline_kernelINS0_14default_configENS1_29binary_search_config_selectorIsN6thrust23THRUST_200600_302600_NS6detail10any_assignEEEZNS1_14transform_implILb0ES3_S9_NS7_15normal_iteratorINS6_10device_ptrIsEEEENS6_16discard_iteratorINS6_11use_defaultEEEZNS1_13binary_searchIS3_S9_SE_SE_SH_NS1_16binary_search_opENS7_16wrapped_functionINS0_4lessIvEEbEEEE10hipError_tPvRmT1_T2_T3_mmT4_T5_P12ihipStream_tbEUlRKsE_EESO_SS_ST_mSU_SX_bEUlT_E_NS1_11comp_targetILNS1_3genE4ELNS1_11target_archE910ELNS1_3gpuE8ELNS1_3repE0EEENS1_30default_config_static_selectorELNS0_4arch9wavefront6targetE0EEEvSR_,"axG",@progbits,_ZN7rocprim17ROCPRIM_400000_NS6detail17trampoline_kernelINS0_14default_configENS1_29binary_search_config_selectorIsN6thrust23THRUST_200600_302600_NS6detail10any_assignEEEZNS1_14transform_implILb0ES3_S9_NS7_15normal_iteratorINS6_10device_ptrIsEEEENS6_16discard_iteratorINS6_11use_defaultEEEZNS1_13binary_searchIS3_S9_SE_SE_SH_NS1_16binary_search_opENS7_16wrapped_functionINS0_4lessIvEEbEEEE10hipError_tPvRmT1_T2_T3_mmT4_T5_P12ihipStream_tbEUlRKsE_EESO_SS_ST_mSU_SX_bEUlT_E_NS1_11comp_targetILNS1_3genE4ELNS1_11target_archE910ELNS1_3gpuE8ELNS1_3repE0EEENS1_30default_config_static_selectorELNS0_4arch9wavefront6targetE0EEEvSR_,comdat
	.protected	_ZN7rocprim17ROCPRIM_400000_NS6detail17trampoline_kernelINS0_14default_configENS1_29binary_search_config_selectorIsN6thrust23THRUST_200600_302600_NS6detail10any_assignEEEZNS1_14transform_implILb0ES3_S9_NS7_15normal_iteratorINS6_10device_ptrIsEEEENS6_16discard_iteratorINS6_11use_defaultEEEZNS1_13binary_searchIS3_S9_SE_SE_SH_NS1_16binary_search_opENS7_16wrapped_functionINS0_4lessIvEEbEEEE10hipError_tPvRmT1_T2_T3_mmT4_T5_P12ihipStream_tbEUlRKsE_EESO_SS_ST_mSU_SX_bEUlT_E_NS1_11comp_targetILNS1_3genE4ELNS1_11target_archE910ELNS1_3gpuE8ELNS1_3repE0EEENS1_30default_config_static_selectorELNS0_4arch9wavefront6targetE0EEEvSR_ ; -- Begin function _ZN7rocprim17ROCPRIM_400000_NS6detail17trampoline_kernelINS0_14default_configENS1_29binary_search_config_selectorIsN6thrust23THRUST_200600_302600_NS6detail10any_assignEEEZNS1_14transform_implILb0ES3_S9_NS7_15normal_iteratorINS6_10device_ptrIsEEEENS6_16discard_iteratorINS6_11use_defaultEEEZNS1_13binary_searchIS3_S9_SE_SE_SH_NS1_16binary_search_opENS7_16wrapped_functionINS0_4lessIvEEbEEEE10hipError_tPvRmT1_T2_T3_mmT4_T5_P12ihipStream_tbEUlRKsE_EESO_SS_ST_mSU_SX_bEUlT_E_NS1_11comp_targetILNS1_3genE4ELNS1_11target_archE910ELNS1_3gpuE8ELNS1_3repE0EEENS1_30default_config_static_selectorELNS0_4arch9wavefront6targetE0EEEvSR_
	.globl	_ZN7rocprim17ROCPRIM_400000_NS6detail17trampoline_kernelINS0_14default_configENS1_29binary_search_config_selectorIsN6thrust23THRUST_200600_302600_NS6detail10any_assignEEEZNS1_14transform_implILb0ES3_S9_NS7_15normal_iteratorINS6_10device_ptrIsEEEENS6_16discard_iteratorINS6_11use_defaultEEEZNS1_13binary_searchIS3_S9_SE_SE_SH_NS1_16binary_search_opENS7_16wrapped_functionINS0_4lessIvEEbEEEE10hipError_tPvRmT1_T2_T3_mmT4_T5_P12ihipStream_tbEUlRKsE_EESO_SS_ST_mSU_SX_bEUlT_E_NS1_11comp_targetILNS1_3genE4ELNS1_11target_archE910ELNS1_3gpuE8ELNS1_3repE0EEENS1_30default_config_static_selectorELNS0_4arch9wavefront6targetE0EEEvSR_
	.p2align	8
	.type	_ZN7rocprim17ROCPRIM_400000_NS6detail17trampoline_kernelINS0_14default_configENS1_29binary_search_config_selectorIsN6thrust23THRUST_200600_302600_NS6detail10any_assignEEEZNS1_14transform_implILb0ES3_S9_NS7_15normal_iteratorINS6_10device_ptrIsEEEENS6_16discard_iteratorINS6_11use_defaultEEEZNS1_13binary_searchIS3_S9_SE_SE_SH_NS1_16binary_search_opENS7_16wrapped_functionINS0_4lessIvEEbEEEE10hipError_tPvRmT1_T2_T3_mmT4_T5_P12ihipStream_tbEUlRKsE_EESO_SS_ST_mSU_SX_bEUlT_E_NS1_11comp_targetILNS1_3genE4ELNS1_11target_archE910ELNS1_3gpuE8ELNS1_3repE0EEENS1_30default_config_static_selectorELNS0_4arch9wavefront6targetE0EEEvSR_,@function
_ZN7rocprim17ROCPRIM_400000_NS6detail17trampoline_kernelINS0_14default_configENS1_29binary_search_config_selectorIsN6thrust23THRUST_200600_302600_NS6detail10any_assignEEEZNS1_14transform_implILb0ES3_S9_NS7_15normal_iteratorINS6_10device_ptrIsEEEENS6_16discard_iteratorINS6_11use_defaultEEEZNS1_13binary_searchIS3_S9_SE_SE_SH_NS1_16binary_search_opENS7_16wrapped_functionINS0_4lessIvEEbEEEE10hipError_tPvRmT1_T2_T3_mmT4_T5_P12ihipStream_tbEUlRKsE_EESO_SS_ST_mSU_SX_bEUlT_E_NS1_11comp_targetILNS1_3genE4ELNS1_11target_archE910ELNS1_3gpuE8ELNS1_3repE0EEENS1_30default_config_static_selectorELNS0_4arch9wavefront6targetE0EEEvSR_: ; @_ZN7rocprim17ROCPRIM_400000_NS6detail17trampoline_kernelINS0_14default_configENS1_29binary_search_config_selectorIsN6thrust23THRUST_200600_302600_NS6detail10any_assignEEEZNS1_14transform_implILb0ES3_S9_NS7_15normal_iteratorINS6_10device_ptrIsEEEENS6_16discard_iteratorINS6_11use_defaultEEEZNS1_13binary_searchIS3_S9_SE_SE_SH_NS1_16binary_search_opENS7_16wrapped_functionINS0_4lessIvEEbEEEE10hipError_tPvRmT1_T2_T3_mmT4_T5_P12ihipStream_tbEUlRKsE_EESO_SS_ST_mSU_SX_bEUlT_E_NS1_11comp_targetILNS1_3genE4ELNS1_11target_archE910ELNS1_3gpuE8ELNS1_3repE0EEENS1_30default_config_static_selectorELNS0_4arch9wavefront6targetE0EEEvSR_
; %bb.0:
	.section	.rodata,"a",@progbits
	.p2align	6, 0x0
	.amdhsa_kernel _ZN7rocprim17ROCPRIM_400000_NS6detail17trampoline_kernelINS0_14default_configENS1_29binary_search_config_selectorIsN6thrust23THRUST_200600_302600_NS6detail10any_assignEEEZNS1_14transform_implILb0ES3_S9_NS7_15normal_iteratorINS6_10device_ptrIsEEEENS6_16discard_iteratorINS6_11use_defaultEEEZNS1_13binary_searchIS3_S9_SE_SE_SH_NS1_16binary_search_opENS7_16wrapped_functionINS0_4lessIvEEbEEEE10hipError_tPvRmT1_T2_T3_mmT4_T5_P12ihipStream_tbEUlRKsE_EESO_SS_ST_mSU_SX_bEUlT_E_NS1_11comp_targetILNS1_3genE4ELNS1_11target_archE910ELNS1_3gpuE8ELNS1_3repE0EEENS1_30default_config_static_selectorELNS0_4arch9wavefront6targetE0EEEvSR_
		.amdhsa_group_segment_fixed_size 0
		.amdhsa_private_segment_fixed_size 0
		.amdhsa_kernarg_size 64
		.amdhsa_user_sgpr_count 15
		.amdhsa_user_sgpr_dispatch_ptr 0
		.amdhsa_user_sgpr_queue_ptr 0
		.amdhsa_user_sgpr_kernarg_segment_ptr 1
		.amdhsa_user_sgpr_dispatch_id 0
		.amdhsa_user_sgpr_private_segment_size 0
		.amdhsa_wavefront_size32 1
		.amdhsa_uses_dynamic_stack 0
		.amdhsa_enable_private_segment 0
		.amdhsa_system_sgpr_workgroup_id_x 1
		.amdhsa_system_sgpr_workgroup_id_y 0
		.amdhsa_system_sgpr_workgroup_id_z 0
		.amdhsa_system_sgpr_workgroup_info 0
		.amdhsa_system_vgpr_workitem_id 0
		.amdhsa_next_free_vgpr 1
		.amdhsa_next_free_sgpr 1
		.amdhsa_reserve_vcc 0
		.amdhsa_float_round_mode_32 0
		.amdhsa_float_round_mode_16_64 0
		.amdhsa_float_denorm_mode_32 3
		.amdhsa_float_denorm_mode_16_64 3
		.amdhsa_dx10_clamp 1
		.amdhsa_ieee_mode 1
		.amdhsa_fp16_overflow 0
		.amdhsa_workgroup_processor_mode 1
		.amdhsa_memory_ordered 1
		.amdhsa_forward_progress 0
		.amdhsa_shared_vgpr_count 0
		.amdhsa_exception_fp_ieee_invalid_op 0
		.amdhsa_exception_fp_denorm_src 0
		.amdhsa_exception_fp_ieee_div_zero 0
		.amdhsa_exception_fp_ieee_overflow 0
		.amdhsa_exception_fp_ieee_underflow 0
		.amdhsa_exception_fp_ieee_inexact 0
		.amdhsa_exception_int_div_zero 0
	.end_amdhsa_kernel
	.section	.text._ZN7rocprim17ROCPRIM_400000_NS6detail17trampoline_kernelINS0_14default_configENS1_29binary_search_config_selectorIsN6thrust23THRUST_200600_302600_NS6detail10any_assignEEEZNS1_14transform_implILb0ES3_S9_NS7_15normal_iteratorINS6_10device_ptrIsEEEENS6_16discard_iteratorINS6_11use_defaultEEEZNS1_13binary_searchIS3_S9_SE_SE_SH_NS1_16binary_search_opENS7_16wrapped_functionINS0_4lessIvEEbEEEE10hipError_tPvRmT1_T2_T3_mmT4_T5_P12ihipStream_tbEUlRKsE_EESO_SS_ST_mSU_SX_bEUlT_E_NS1_11comp_targetILNS1_3genE4ELNS1_11target_archE910ELNS1_3gpuE8ELNS1_3repE0EEENS1_30default_config_static_selectorELNS0_4arch9wavefront6targetE0EEEvSR_,"axG",@progbits,_ZN7rocprim17ROCPRIM_400000_NS6detail17trampoline_kernelINS0_14default_configENS1_29binary_search_config_selectorIsN6thrust23THRUST_200600_302600_NS6detail10any_assignEEEZNS1_14transform_implILb0ES3_S9_NS7_15normal_iteratorINS6_10device_ptrIsEEEENS6_16discard_iteratorINS6_11use_defaultEEEZNS1_13binary_searchIS3_S9_SE_SE_SH_NS1_16binary_search_opENS7_16wrapped_functionINS0_4lessIvEEbEEEE10hipError_tPvRmT1_T2_T3_mmT4_T5_P12ihipStream_tbEUlRKsE_EESO_SS_ST_mSU_SX_bEUlT_E_NS1_11comp_targetILNS1_3genE4ELNS1_11target_archE910ELNS1_3gpuE8ELNS1_3repE0EEENS1_30default_config_static_selectorELNS0_4arch9wavefront6targetE0EEEvSR_,comdat
.Lfunc_end620:
	.size	_ZN7rocprim17ROCPRIM_400000_NS6detail17trampoline_kernelINS0_14default_configENS1_29binary_search_config_selectorIsN6thrust23THRUST_200600_302600_NS6detail10any_assignEEEZNS1_14transform_implILb0ES3_S9_NS7_15normal_iteratorINS6_10device_ptrIsEEEENS6_16discard_iteratorINS6_11use_defaultEEEZNS1_13binary_searchIS3_S9_SE_SE_SH_NS1_16binary_search_opENS7_16wrapped_functionINS0_4lessIvEEbEEEE10hipError_tPvRmT1_T2_T3_mmT4_T5_P12ihipStream_tbEUlRKsE_EESO_SS_ST_mSU_SX_bEUlT_E_NS1_11comp_targetILNS1_3genE4ELNS1_11target_archE910ELNS1_3gpuE8ELNS1_3repE0EEENS1_30default_config_static_selectorELNS0_4arch9wavefront6targetE0EEEvSR_, .Lfunc_end620-_ZN7rocprim17ROCPRIM_400000_NS6detail17trampoline_kernelINS0_14default_configENS1_29binary_search_config_selectorIsN6thrust23THRUST_200600_302600_NS6detail10any_assignEEEZNS1_14transform_implILb0ES3_S9_NS7_15normal_iteratorINS6_10device_ptrIsEEEENS6_16discard_iteratorINS6_11use_defaultEEEZNS1_13binary_searchIS3_S9_SE_SE_SH_NS1_16binary_search_opENS7_16wrapped_functionINS0_4lessIvEEbEEEE10hipError_tPvRmT1_T2_T3_mmT4_T5_P12ihipStream_tbEUlRKsE_EESO_SS_ST_mSU_SX_bEUlT_E_NS1_11comp_targetILNS1_3genE4ELNS1_11target_archE910ELNS1_3gpuE8ELNS1_3repE0EEENS1_30default_config_static_selectorELNS0_4arch9wavefront6targetE0EEEvSR_
                                        ; -- End function
	.section	.AMDGPU.csdata,"",@progbits
; Kernel info:
; codeLenInByte = 0
; NumSgprs: 0
; NumVgprs: 0
; ScratchSize: 0
; MemoryBound: 0
; FloatMode: 240
; IeeeMode: 1
; LDSByteSize: 0 bytes/workgroup (compile time only)
; SGPRBlocks: 0
; VGPRBlocks: 0
; NumSGPRsForWavesPerEU: 1
; NumVGPRsForWavesPerEU: 1
; Occupancy: 16
; WaveLimiterHint : 0
; COMPUTE_PGM_RSRC2:SCRATCH_EN: 0
; COMPUTE_PGM_RSRC2:USER_SGPR: 15
; COMPUTE_PGM_RSRC2:TRAP_HANDLER: 0
; COMPUTE_PGM_RSRC2:TGID_X_EN: 1
; COMPUTE_PGM_RSRC2:TGID_Y_EN: 0
; COMPUTE_PGM_RSRC2:TGID_Z_EN: 0
; COMPUTE_PGM_RSRC2:TIDIG_COMP_CNT: 0
	.section	.text._ZN7rocprim17ROCPRIM_400000_NS6detail17trampoline_kernelINS0_14default_configENS1_29binary_search_config_selectorIsN6thrust23THRUST_200600_302600_NS6detail10any_assignEEEZNS1_14transform_implILb0ES3_S9_NS7_15normal_iteratorINS6_10device_ptrIsEEEENS6_16discard_iteratorINS6_11use_defaultEEEZNS1_13binary_searchIS3_S9_SE_SE_SH_NS1_16binary_search_opENS7_16wrapped_functionINS0_4lessIvEEbEEEE10hipError_tPvRmT1_T2_T3_mmT4_T5_P12ihipStream_tbEUlRKsE_EESO_SS_ST_mSU_SX_bEUlT_E_NS1_11comp_targetILNS1_3genE3ELNS1_11target_archE908ELNS1_3gpuE7ELNS1_3repE0EEENS1_30default_config_static_selectorELNS0_4arch9wavefront6targetE0EEEvSR_,"axG",@progbits,_ZN7rocprim17ROCPRIM_400000_NS6detail17trampoline_kernelINS0_14default_configENS1_29binary_search_config_selectorIsN6thrust23THRUST_200600_302600_NS6detail10any_assignEEEZNS1_14transform_implILb0ES3_S9_NS7_15normal_iteratorINS6_10device_ptrIsEEEENS6_16discard_iteratorINS6_11use_defaultEEEZNS1_13binary_searchIS3_S9_SE_SE_SH_NS1_16binary_search_opENS7_16wrapped_functionINS0_4lessIvEEbEEEE10hipError_tPvRmT1_T2_T3_mmT4_T5_P12ihipStream_tbEUlRKsE_EESO_SS_ST_mSU_SX_bEUlT_E_NS1_11comp_targetILNS1_3genE3ELNS1_11target_archE908ELNS1_3gpuE7ELNS1_3repE0EEENS1_30default_config_static_selectorELNS0_4arch9wavefront6targetE0EEEvSR_,comdat
	.protected	_ZN7rocprim17ROCPRIM_400000_NS6detail17trampoline_kernelINS0_14default_configENS1_29binary_search_config_selectorIsN6thrust23THRUST_200600_302600_NS6detail10any_assignEEEZNS1_14transform_implILb0ES3_S9_NS7_15normal_iteratorINS6_10device_ptrIsEEEENS6_16discard_iteratorINS6_11use_defaultEEEZNS1_13binary_searchIS3_S9_SE_SE_SH_NS1_16binary_search_opENS7_16wrapped_functionINS0_4lessIvEEbEEEE10hipError_tPvRmT1_T2_T3_mmT4_T5_P12ihipStream_tbEUlRKsE_EESO_SS_ST_mSU_SX_bEUlT_E_NS1_11comp_targetILNS1_3genE3ELNS1_11target_archE908ELNS1_3gpuE7ELNS1_3repE0EEENS1_30default_config_static_selectorELNS0_4arch9wavefront6targetE0EEEvSR_ ; -- Begin function _ZN7rocprim17ROCPRIM_400000_NS6detail17trampoline_kernelINS0_14default_configENS1_29binary_search_config_selectorIsN6thrust23THRUST_200600_302600_NS6detail10any_assignEEEZNS1_14transform_implILb0ES3_S9_NS7_15normal_iteratorINS6_10device_ptrIsEEEENS6_16discard_iteratorINS6_11use_defaultEEEZNS1_13binary_searchIS3_S9_SE_SE_SH_NS1_16binary_search_opENS7_16wrapped_functionINS0_4lessIvEEbEEEE10hipError_tPvRmT1_T2_T3_mmT4_T5_P12ihipStream_tbEUlRKsE_EESO_SS_ST_mSU_SX_bEUlT_E_NS1_11comp_targetILNS1_3genE3ELNS1_11target_archE908ELNS1_3gpuE7ELNS1_3repE0EEENS1_30default_config_static_selectorELNS0_4arch9wavefront6targetE0EEEvSR_
	.globl	_ZN7rocprim17ROCPRIM_400000_NS6detail17trampoline_kernelINS0_14default_configENS1_29binary_search_config_selectorIsN6thrust23THRUST_200600_302600_NS6detail10any_assignEEEZNS1_14transform_implILb0ES3_S9_NS7_15normal_iteratorINS6_10device_ptrIsEEEENS6_16discard_iteratorINS6_11use_defaultEEEZNS1_13binary_searchIS3_S9_SE_SE_SH_NS1_16binary_search_opENS7_16wrapped_functionINS0_4lessIvEEbEEEE10hipError_tPvRmT1_T2_T3_mmT4_T5_P12ihipStream_tbEUlRKsE_EESO_SS_ST_mSU_SX_bEUlT_E_NS1_11comp_targetILNS1_3genE3ELNS1_11target_archE908ELNS1_3gpuE7ELNS1_3repE0EEENS1_30default_config_static_selectorELNS0_4arch9wavefront6targetE0EEEvSR_
	.p2align	8
	.type	_ZN7rocprim17ROCPRIM_400000_NS6detail17trampoline_kernelINS0_14default_configENS1_29binary_search_config_selectorIsN6thrust23THRUST_200600_302600_NS6detail10any_assignEEEZNS1_14transform_implILb0ES3_S9_NS7_15normal_iteratorINS6_10device_ptrIsEEEENS6_16discard_iteratorINS6_11use_defaultEEEZNS1_13binary_searchIS3_S9_SE_SE_SH_NS1_16binary_search_opENS7_16wrapped_functionINS0_4lessIvEEbEEEE10hipError_tPvRmT1_T2_T3_mmT4_T5_P12ihipStream_tbEUlRKsE_EESO_SS_ST_mSU_SX_bEUlT_E_NS1_11comp_targetILNS1_3genE3ELNS1_11target_archE908ELNS1_3gpuE7ELNS1_3repE0EEENS1_30default_config_static_selectorELNS0_4arch9wavefront6targetE0EEEvSR_,@function
_ZN7rocprim17ROCPRIM_400000_NS6detail17trampoline_kernelINS0_14default_configENS1_29binary_search_config_selectorIsN6thrust23THRUST_200600_302600_NS6detail10any_assignEEEZNS1_14transform_implILb0ES3_S9_NS7_15normal_iteratorINS6_10device_ptrIsEEEENS6_16discard_iteratorINS6_11use_defaultEEEZNS1_13binary_searchIS3_S9_SE_SE_SH_NS1_16binary_search_opENS7_16wrapped_functionINS0_4lessIvEEbEEEE10hipError_tPvRmT1_T2_T3_mmT4_T5_P12ihipStream_tbEUlRKsE_EESO_SS_ST_mSU_SX_bEUlT_E_NS1_11comp_targetILNS1_3genE3ELNS1_11target_archE908ELNS1_3gpuE7ELNS1_3repE0EEENS1_30default_config_static_selectorELNS0_4arch9wavefront6targetE0EEEvSR_: ; @_ZN7rocprim17ROCPRIM_400000_NS6detail17trampoline_kernelINS0_14default_configENS1_29binary_search_config_selectorIsN6thrust23THRUST_200600_302600_NS6detail10any_assignEEEZNS1_14transform_implILb0ES3_S9_NS7_15normal_iteratorINS6_10device_ptrIsEEEENS6_16discard_iteratorINS6_11use_defaultEEEZNS1_13binary_searchIS3_S9_SE_SE_SH_NS1_16binary_search_opENS7_16wrapped_functionINS0_4lessIvEEbEEEE10hipError_tPvRmT1_T2_T3_mmT4_T5_P12ihipStream_tbEUlRKsE_EESO_SS_ST_mSU_SX_bEUlT_E_NS1_11comp_targetILNS1_3genE3ELNS1_11target_archE908ELNS1_3gpuE7ELNS1_3repE0EEENS1_30default_config_static_selectorELNS0_4arch9wavefront6targetE0EEEvSR_
; %bb.0:
	.section	.rodata,"a",@progbits
	.p2align	6, 0x0
	.amdhsa_kernel _ZN7rocprim17ROCPRIM_400000_NS6detail17trampoline_kernelINS0_14default_configENS1_29binary_search_config_selectorIsN6thrust23THRUST_200600_302600_NS6detail10any_assignEEEZNS1_14transform_implILb0ES3_S9_NS7_15normal_iteratorINS6_10device_ptrIsEEEENS6_16discard_iteratorINS6_11use_defaultEEEZNS1_13binary_searchIS3_S9_SE_SE_SH_NS1_16binary_search_opENS7_16wrapped_functionINS0_4lessIvEEbEEEE10hipError_tPvRmT1_T2_T3_mmT4_T5_P12ihipStream_tbEUlRKsE_EESO_SS_ST_mSU_SX_bEUlT_E_NS1_11comp_targetILNS1_3genE3ELNS1_11target_archE908ELNS1_3gpuE7ELNS1_3repE0EEENS1_30default_config_static_selectorELNS0_4arch9wavefront6targetE0EEEvSR_
		.amdhsa_group_segment_fixed_size 0
		.amdhsa_private_segment_fixed_size 0
		.amdhsa_kernarg_size 64
		.amdhsa_user_sgpr_count 15
		.amdhsa_user_sgpr_dispatch_ptr 0
		.amdhsa_user_sgpr_queue_ptr 0
		.amdhsa_user_sgpr_kernarg_segment_ptr 1
		.amdhsa_user_sgpr_dispatch_id 0
		.amdhsa_user_sgpr_private_segment_size 0
		.amdhsa_wavefront_size32 1
		.amdhsa_uses_dynamic_stack 0
		.amdhsa_enable_private_segment 0
		.amdhsa_system_sgpr_workgroup_id_x 1
		.amdhsa_system_sgpr_workgroup_id_y 0
		.amdhsa_system_sgpr_workgroup_id_z 0
		.amdhsa_system_sgpr_workgroup_info 0
		.amdhsa_system_vgpr_workitem_id 0
		.amdhsa_next_free_vgpr 1
		.amdhsa_next_free_sgpr 1
		.amdhsa_reserve_vcc 0
		.amdhsa_float_round_mode_32 0
		.amdhsa_float_round_mode_16_64 0
		.amdhsa_float_denorm_mode_32 3
		.amdhsa_float_denorm_mode_16_64 3
		.amdhsa_dx10_clamp 1
		.amdhsa_ieee_mode 1
		.amdhsa_fp16_overflow 0
		.amdhsa_workgroup_processor_mode 1
		.amdhsa_memory_ordered 1
		.amdhsa_forward_progress 0
		.amdhsa_shared_vgpr_count 0
		.amdhsa_exception_fp_ieee_invalid_op 0
		.amdhsa_exception_fp_denorm_src 0
		.amdhsa_exception_fp_ieee_div_zero 0
		.amdhsa_exception_fp_ieee_overflow 0
		.amdhsa_exception_fp_ieee_underflow 0
		.amdhsa_exception_fp_ieee_inexact 0
		.amdhsa_exception_int_div_zero 0
	.end_amdhsa_kernel
	.section	.text._ZN7rocprim17ROCPRIM_400000_NS6detail17trampoline_kernelINS0_14default_configENS1_29binary_search_config_selectorIsN6thrust23THRUST_200600_302600_NS6detail10any_assignEEEZNS1_14transform_implILb0ES3_S9_NS7_15normal_iteratorINS6_10device_ptrIsEEEENS6_16discard_iteratorINS6_11use_defaultEEEZNS1_13binary_searchIS3_S9_SE_SE_SH_NS1_16binary_search_opENS7_16wrapped_functionINS0_4lessIvEEbEEEE10hipError_tPvRmT1_T2_T3_mmT4_T5_P12ihipStream_tbEUlRKsE_EESO_SS_ST_mSU_SX_bEUlT_E_NS1_11comp_targetILNS1_3genE3ELNS1_11target_archE908ELNS1_3gpuE7ELNS1_3repE0EEENS1_30default_config_static_selectorELNS0_4arch9wavefront6targetE0EEEvSR_,"axG",@progbits,_ZN7rocprim17ROCPRIM_400000_NS6detail17trampoline_kernelINS0_14default_configENS1_29binary_search_config_selectorIsN6thrust23THRUST_200600_302600_NS6detail10any_assignEEEZNS1_14transform_implILb0ES3_S9_NS7_15normal_iteratorINS6_10device_ptrIsEEEENS6_16discard_iteratorINS6_11use_defaultEEEZNS1_13binary_searchIS3_S9_SE_SE_SH_NS1_16binary_search_opENS7_16wrapped_functionINS0_4lessIvEEbEEEE10hipError_tPvRmT1_T2_T3_mmT4_T5_P12ihipStream_tbEUlRKsE_EESO_SS_ST_mSU_SX_bEUlT_E_NS1_11comp_targetILNS1_3genE3ELNS1_11target_archE908ELNS1_3gpuE7ELNS1_3repE0EEENS1_30default_config_static_selectorELNS0_4arch9wavefront6targetE0EEEvSR_,comdat
.Lfunc_end621:
	.size	_ZN7rocprim17ROCPRIM_400000_NS6detail17trampoline_kernelINS0_14default_configENS1_29binary_search_config_selectorIsN6thrust23THRUST_200600_302600_NS6detail10any_assignEEEZNS1_14transform_implILb0ES3_S9_NS7_15normal_iteratorINS6_10device_ptrIsEEEENS6_16discard_iteratorINS6_11use_defaultEEEZNS1_13binary_searchIS3_S9_SE_SE_SH_NS1_16binary_search_opENS7_16wrapped_functionINS0_4lessIvEEbEEEE10hipError_tPvRmT1_T2_T3_mmT4_T5_P12ihipStream_tbEUlRKsE_EESO_SS_ST_mSU_SX_bEUlT_E_NS1_11comp_targetILNS1_3genE3ELNS1_11target_archE908ELNS1_3gpuE7ELNS1_3repE0EEENS1_30default_config_static_selectorELNS0_4arch9wavefront6targetE0EEEvSR_, .Lfunc_end621-_ZN7rocprim17ROCPRIM_400000_NS6detail17trampoline_kernelINS0_14default_configENS1_29binary_search_config_selectorIsN6thrust23THRUST_200600_302600_NS6detail10any_assignEEEZNS1_14transform_implILb0ES3_S9_NS7_15normal_iteratorINS6_10device_ptrIsEEEENS6_16discard_iteratorINS6_11use_defaultEEEZNS1_13binary_searchIS3_S9_SE_SE_SH_NS1_16binary_search_opENS7_16wrapped_functionINS0_4lessIvEEbEEEE10hipError_tPvRmT1_T2_T3_mmT4_T5_P12ihipStream_tbEUlRKsE_EESO_SS_ST_mSU_SX_bEUlT_E_NS1_11comp_targetILNS1_3genE3ELNS1_11target_archE908ELNS1_3gpuE7ELNS1_3repE0EEENS1_30default_config_static_selectorELNS0_4arch9wavefront6targetE0EEEvSR_
                                        ; -- End function
	.section	.AMDGPU.csdata,"",@progbits
; Kernel info:
; codeLenInByte = 0
; NumSgprs: 0
; NumVgprs: 0
; ScratchSize: 0
; MemoryBound: 0
; FloatMode: 240
; IeeeMode: 1
; LDSByteSize: 0 bytes/workgroup (compile time only)
; SGPRBlocks: 0
; VGPRBlocks: 0
; NumSGPRsForWavesPerEU: 1
; NumVGPRsForWavesPerEU: 1
; Occupancy: 16
; WaveLimiterHint : 0
; COMPUTE_PGM_RSRC2:SCRATCH_EN: 0
; COMPUTE_PGM_RSRC2:USER_SGPR: 15
; COMPUTE_PGM_RSRC2:TRAP_HANDLER: 0
; COMPUTE_PGM_RSRC2:TGID_X_EN: 1
; COMPUTE_PGM_RSRC2:TGID_Y_EN: 0
; COMPUTE_PGM_RSRC2:TGID_Z_EN: 0
; COMPUTE_PGM_RSRC2:TIDIG_COMP_CNT: 0
	.section	.text._ZN7rocprim17ROCPRIM_400000_NS6detail17trampoline_kernelINS0_14default_configENS1_29binary_search_config_selectorIsN6thrust23THRUST_200600_302600_NS6detail10any_assignEEEZNS1_14transform_implILb0ES3_S9_NS7_15normal_iteratorINS6_10device_ptrIsEEEENS6_16discard_iteratorINS6_11use_defaultEEEZNS1_13binary_searchIS3_S9_SE_SE_SH_NS1_16binary_search_opENS7_16wrapped_functionINS0_4lessIvEEbEEEE10hipError_tPvRmT1_T2_T3_mmT4_T5_P12ihipStream_tbEUlRKsE_EESO_SS_ST_mSU_SX_bEUlT_E_NS1_11comp_targetILNS1_3genE2ELNS1_11target_archE906ELNS1_3gpuE6ELNS1_3repE0EEENS1_30default_config_static_selectorELNS0_4arch9wavefront6targetE0EEEvSR_,"axG",@progbits,_ZN7rocprim17ROCPRIM_400000_NS6detail17trampoline_kernelINS0_14default_configENS1_29binary_search_config_selectorIsN6thrust23THRUST_200600_302600_NS6detail10any_assignEEEZNS1_14transform_implILb0ES3_S9_NS7_15normal_iteratorINS6_10device_ptrIsEEEENS6_16discard_iteratorINS6_11use_defaultEEEZNS1_13binary_searchIS3_S9_SE_SE_SH_NS1_16binary_search_opENS7_16wrapped_functionINS0_4lessIvEEbEEEE10hipError_tPvRmT1_T2_T3_mmT4_T5_P12ihipStream_tbEUlRKsE_EESO_SS_ST_mSU_SX_bEUlT_E_NS1_11comp_targetILNS1_3genE2ELNS1_11target_archE906ELNS1_3gpuE6ELNS1_3repE0EEENS1_30default_config_static_selectorELNS0_4arch9wavefront6targetE0EEEvSR_,comdat
	.protected	_ZN7rocprim17ROCPRIM_400000_NS6detail17trampoline_kernelINS0_14default_configENS1_29binary_search_config_selectorIsN6thrust23THRUST_200600_302600_NS6detail10any_assignEEEZNS1_14transform_implILb0ES3_S9_NS7_15normal_iteratorINS6_10device_ptrIsEEEENS6_16discard_iteratorINS6_11use_defaultEEEZNS1_13binary_searchIS3_S9_SE_SE_SH_NS1_16binary_search_opENS7_16wrapped_functionINS0_4lessIvEEbEEEE10hipError_tPvRmT1_T2_T3_mmT4_T5_P12ihipStream_tbEUlRKsE_EESO_SS_ST_mSU_SX_bEUlT_E_NS1_11comp_targetILNS1_3genE2ELNS1_11target_archE906ELNS1_3gpuE6ELNS1_3repE0EEENS1_30default_config_static_selectorELNS0_4arch9wavefront6targetE0EEEvSR_ ; -- Begin function _ZN7rocprim17ROCPRIM_400000_NS6detail17trampoline_kernelINS0_14default_configENS1_29binary_search_config_selectorIsN6thrust23THRUST_200600_302600_NS6detail10any_assignEEEZNS1_14transform_implILb0ES3_S9_NS7_15normal_iteratorINS6_10device_ptrIsEEEENS6_16discard_iteratorINS6_11use_defaultEEEZNS1_13binary_searchIS3_S9_SE_SE_SH_NS1_16binary_search_opENS7_16wrapped_functionINS0_4lessIvEEbEEEE10hipError_tPvRmT1_T2_T3_mmT4_T5_P12ihipStream_tbEUlRKsE_EESO_SS_ST_mSU_SX_bEUlT_E_NS1_11comp_targetILNS1_3genE2ELNS1_11target_archE906ELNS1_3gpuE6ELNS1_3repE0EEENS1_30default_config_static_selectorELNS0_4arch9wavefront6targetE0EEEvSR_
	.globl	_ZN7rocprim17ROCPRIM_400000_NS6detail17trampoline_kernelINS0_14default_configENS1_29binary_search_config_selectorIsN6thrust23THRUST_200600_302600_NS6detail10any_assignEEEZNS1_14transform_implILb0ES3_S9_NS7_15normal_iteratorINS6_10device_ptrIsEEEENS6_16discard_iteratorINS6_11use_defaultEEEZNS1_13binary_searchIS3_S9_SE_SE_SH_NS1_16binary_search_opENS7_16wrapped_functionINS0_4lessIvEEbEEEE10hipError_tPvRmT1_T2_T3_mmT4_T5_P12ihipStream_tbEUlRKsE_EESO_SS_ST_mSU_SX_bEUlT_E_NS1_11comp_targetILNS1_3genE2ELNS1_11target_archE906ELNS1_3gpuE6ELNS1_3repE0EEENS1_30default_config_static_selectorELNS0_4arch9wavefront6targetE0EEEvSR_
	.p2align	8
	.type	_ZN7rocprim17ROCPRIM_400000_NS6detail17trampoline_kernelINS0_14default_configENS1_29binary_search_config_selectorIsN6thrust23THRUST_200600_302600_NS6detail10any_assignEEEZNS1_14transform_implILb0ES3_S9_NS7_15normal_iteratorINS6_10device_ptrIsEEEENS6_16discard_iteratorINS6_11use_defaultEEEZNS1_13binary_searchIS3_S9_SE_SE_SH_NS1_16binary_search_opENS7_16wrapped_functionINS0_4lessIvEEbEEEE10hipError_tPvRmT1_T2_T3_mmT4_T5_P12ihipStream_tbEUlRKsE_EESO_SS_ST_mSU_SX_bEUlT_E_NS1_11comp_targetILNS1_3genE2ELNS1_11target_archE906ELNS1_3gpuE6ELNS1_3repE0EEENS1_30default_config_static_selectorELNS0_4arch9wavefront6targetE0EEEvSR_,@function
_ZN7rocprim17ROCPRIM_400000_NS6detail17trampoline_kernelINS0_14default_configENS1_29binary_search_config_selectorIsN6thrust23THRUST_200600_302600_NS6detail10any_assignEEEZNS1_14transform_implILb0ES3_S9_NS7_15normal_iteratorINS6_10device_ptrIsEEEENS6_16discard_iteratorINS6_11use_defaultEEEZNS1_13binary_searchIS3_S9_SE_SE_SH_NS1_16binary_search_opENS7_16wrapped_functionINS0_4lessIvEEbEEEE10hipError_tPvRmT1_T2_T3_mmT4_T5_P12ihipStream_tbEUlRKsE_EESO_SS_ST_mSU_SX_bEUlT_E_NS1_11comp_targetILNS1_3genE2ELNS1_11target_archE906ELNS1_3gpuE6ELNS1_3repE0EEENS1_30default_config_static_selectorELNS0_4arch9wavefront6targetE0EEEvSR_: ; @_ZN7rocprim17ROCPRIM_400000_NS6detail17trampoline_kernelINS0_14default_configENS1_29binary_search_config_selectorIsN6thrust23THRUST_200600_302600_NS6detail10any_assignEEEZNS1_14transform_implILb0ES3_S9_NS7_15normal_iteratorINS6_10device_ptrIsEEEENS6_16discard_iteratorINS6_11use_defaultEEEZNS1_13binary_searchIS3_S9_SE_SE_SH_NS1_16binary_search_opENS7_16wrapped_functionINS0_4lessIvEEbEEEE10hipError_tPvRmT1_T2_T3_mmT4_T5_P12ihipStream_tbEUlRKsE_EESO_SS_ST_mSU_SX_bEUlT_E_NS1_11comp_targetILNS1_3genE2ELNS1_11target_archE906ELNS1_3gpuE6ELNS1_3repE0EEENS1_30default_config_static_selectorELNS0_4arch9wavefront6targetE0EEEvSR_
; %bb.0:
	.section	.rodata,"a",@progbits
	.p2align	6, 0x0
	.amdhsa_kernel _ZN7rocprim17ROCPRIM_400000_NS6detail17trampoline_kernelINS0_14default_configENS1_29binary_search_config_selectorIsN6thrust23THRUST_200600_302600_NS6detail10any_assignEEEZNS1_14transform_implILb0ES3_S9_NS7_15normal_iteratorINS6_10device_ptrIsEEEENS6_16discard_iteratorINS6_11use_defaultEEEZNS1_13binary_searchIS3_S9_SE_SE_SH_NS1_16binary_search_opENS7_16wrapped_functionINS0_4lessIvEEbEEEE10hipError_tPvRmT1_T2_T3_mmT4_T5_P12ihipStream_tbEUlRKsE_EESO_SS_ST_mSU_SX_bEUlT_E_NS1_11comp_targetILNS1_3genE2ELNS1_11target_archE906ELNS1_3gpuE6ELNS1_3repE0EEENS1_30default_config_static_selectorELNS0_4arch9wavefront6targetE0EEEvSR_
		.amdhsa_group_segment_fixed_size 0
		.amdhsa_private_segment_fixed_size 0
		.amdhsa_kernarg_size 64
		.amdhsa_user_sgpr_count 15
		.amdhsa_user_sgpr_dispatch_ptr 0
		.amdhsa_user_sgpr_queue_ptr 0
		.amdhsa_user_sgpr_kernarg_segment_ptr 1
		.amdhsa_user_sgpr_dispatch_id 0
		.amdhsa_user_sgpr_private_segment_size 0
		.amdhsa_wavefront_size32 1
		.amdhsa_uses_dynamic_stack 0
		.amdhsa_enable_private_segment 0
		.amdhsa_system_sgpr_workgroup_id_x 1
		.amdhsa_system_sgpr_workgroup_id_y 0
		.amdhsa_system_sgpr_workgroup_id_z 0
		.amdhsa_system_sgpr_workgroup_info 0
		.amdhsa_system_vgpr_workitem_id 0
		.amdhsa_next_free_vgpr 1
		.amdhsa_next_free_sgpr 1
		.amdhsa_reserve_vcc 0
		.amdhsa_float_round_mode_32 0
		.amdhsa_float_round_mode_16_64 0
		.amdhsa_float_denorm_mode_32 3
		.amdhsa_float_denorm_mode_16_64 3
		.amdhsa_dx10_clamp 1
		.amdhsa_ieee_mode 1
		.amdhsa_fp16_overflow 0
		.amdhsa_workgroup_processor_mode 1
		.amdhsa_memory_ordered 1
		.amdhsa_forward_progress 0
		.amdhsa_shared_vgpr_count 0
		.amdhsa_exception_fp_ieee_invalid_op 0
		.amdhsa_exception_fp_denorm_src 0
		.amdhsa_exception_fp_ieee_div_zero 0
		.amdhsa_exception_fp_ieee_overflow 0
		.amdhsa_exception_fp_ieee_underflow 0
		.amdhsa_exception_fp_ieee_inexact 0
		.amdhsa_exception_int_div_zero 0
	.end_amdhsa_kernel
	.section	.text._ZN7rocprim17ROCPRIM_400000_NS6detail17trampoline_kernelINS0_14default_configENS1_29binary_search_config_selectorIsN6thrust23THRUST_200600_302600_NS6detail10any_assignEEEZNS1_14transform_implILb0ES3_S9_NS7_15normal_iteratorINS6_10device_ptrIsEEEENS6_16discard_iteratorINS6_11use_defaultEEEZNS1_13binary_searchIS3_S9_SE_SE_SH_NS1_16binary_search_opENS7_16wrapped_functionINS0_4lessIvEEbEEEE10hipError_tPvRmT1_T2_T3_mmT4_T5_P12ihipStream_tbEUlRKsE_EESO_SS_ST_mSU_SX_bEUlT_E_NS1_11comp_targetILNS1_3genE2ELNS1_11target_archE906ELNS1_3gpuE6ELNS1_3repE0EEENS1_30default_config_static_selectorELNS0_4arch9wavefront6targetE0EEEvSR_,"axG",@progbits,_ZN7rocprim17ROCPRIM_400000_NS6detail17trampoline_kernelINS0_14default_configENS1_29binary_search_config_selectorIsN6thrust23THRUST_200600_302600_NS6detail10any_assignEEEZNS1_14transform_implILb0ES3_S9_NS7_15normal_iteratorINS6_10device_ptrIsEEEENS6_16discard_iteratorINS6_11use_defaultEEEZNS1_13binary_searchIS3_S9_SE_SE_SH_NS1_16binary_search_opENS7_16wrapped_functionINS0_4lessIvEEbEEEE10hipError_tPvRmT1_T2_T3_mmT4_T5_P12ihipStream_tbEUlRKsE_EESO_SS_ST_mSU_SX_bEUlT_E_NS1_11comp_targetILNS1_3genE2ELNS1_11target_archE906ELNS1_3gpuE6ELNS1_3repE0EEENS1_30default_config_static_selectorELNS0_4arch9wavefront6targetE0EEEvSR_,comdat
.Lfunc_end622:
	.size	_ZN7rocprim17ROCPRIM_400000_NS6detail17trampoline_kernelINS0_14default_configENS1_29binary_search_config_selectorIsN6thrust23THRUST_200600_302600_NS6detail10any_assignEEEZNS1_14transform_implILb0ES3_S9_NS7_15normal_iteratorINS6_10device_ptrIsEEEENS6_16discard_iteratorINS6_11use_defaultEEEZNS1_13binary_searchIS3_S9_SE_SE_SH_NS1_16binary_search_opENS7_16wrapped_functionINS0_4lessIvEEbEEEE10hipError_tPvRmT1_T2_T3_mmT4_T5_P12ihipStream_tbEUlRKsE_EESO_SS_ST_mSU_SX_bEUlT_E_NS1_11comp_targetILNS1_3genE2ELNS1_11target_archE906ELNS1_3gpuE6ELNS1_3repE0EEENS1_30default_config_static_selectorELNS0_4arch9wavefront6targetE0EEEvSR_, .Lfunc_end622-_ZN7rocprim17ROCPRIM_400000_NS6detail17trampoline_kernelINS0_14default_configENS1_29binary_search_config_selectorIsN6thrust23THRUST_200600_302600_NS6detail10any_assignEEEZNS1_14transform_implILb0ES3_S9_NS7_15normal_iteratorINS6_10device_ptrIsEEEENS6_16discard_iteratorINS6_11use_defaultEEEZNS1_13binary_searchIS3_S9_SE_SE_SH_NS1_16binary_search_opENS7_16wrapped_functionINS0_4lessIvEEbEEEE10hipError_tPvRmT1_T2_T3_mmT4_T5_P12ihipStream_tbEUlRKsE_EESO_SS_ST_mSU_SX_bEUlT_E_NS1_11comp_targetILNS1_3genE2ELNS1_11target_archE906ELNS1_3gpuE6ELNS1_3repE0EEENS1_30default_config_static_selectorELNS0_4arch9wavefront6targetE0EEEvSR_
                                        ; -- End function
	.section	.AMDGPU.csdata,"",@progbits
; Kernel info:
; codeLenInByte = 0
; NumSgprs: 0
; NumVgprs: 0
; ScratchSize: 0
; MemoryBound: 0
; FloatMode: 240
; IeeeMode: 1
; LDSByteSize: 0 bytes/workgroup (compile time only)
; SGPRBlocks: 0
; VGPRBlocks: 0
; NumSGPRsForWavesPerEU: 1
; NumVGPRsForWavesPerEU: 1
; Occupancy: 16
; WaveLimiterHint : 0
; COMPUTE_PGM_RSRC2:SCRATCH_EN: 0
; COMPUTE_PGM_RSRC2:USER_SGPR: 15
; COMPUTE_PGM_RSRC2:TRAP_HANDLER: 0
; COMPUTE_PGM_RSRC2:TGID_X_EN: 1
; COMPUTE_PGM_RSRC2:TGID_Y_EN: 0
; COMPUTE_PGM_RSRC2:TGID_Z_EN: 0
; COMPUTE_PGM_RSRC2:TIDIG_COMP_CNT: 0
	.section	.text._ZN7rocprim17ROCPRIM_400000_NS6detail17trampoline_kernelINS0_14default_configENS1_29binary_search_config_selectorIsN6thrust23THRUST_200600_302600_NS6detail10any_assignEEEZNS1_14transform_implILb0ES3_S9_NS7_15normal_iteratorINS6_10device_ptrIsEEEENS6_16discard_iteratorINS6_11use_defaultEEEZNS1_13binary_searchIS3_S9_SE_SE_SH_NS1_16binary_search_opENS7_16wrapped_functionINS0_4lessIvEEbEEEE10hipError_tPvRmT1_T2_T3_mmT4_T5_P12ihipStream_tbEUlRKsE_EESO_SS_ST_mSU_SX_bEUlT_E_NS1_11comp_targetILNS1_3genE10ELNS1_11target_archE1201ELNS1_3gpuE5ELNS1_3repE0EEENS1_30default_config_static_selectorELNS0_4arch9wavefront6targetE0EEEvSR_,"axG",@progbits,_ZN7rocprim17ROCPRIM_400000_NS6detail17trampoline_kernelINS0_14default_configENS1_29binary_search_config_selectorIsN6thrust23THRUST_200600_302600_NS6detail10any_assignEEEZNS1_14transform_implILb0ES3_S9_NS7_15normal_iteratorINS6_10device_ptrIsEEEENS6_16discard_iteratorINS6_11use_defaultEEEZNS1_13binary_searchIS3_S9_SE_SE_SH_NS1_16binary_search_opENS7_16wrapped_functionINS0_4lessIvEEbEEEE10hipError_tPvRmT1_T2_T3_mmT4_T5_P12ihipStream_tbEUlRKsE_EESO_SS_ST_mSU_SX_bEUlT_E_NS1_11comp_targetILNS1_3genE10ELNS1_11target_archE1201ELNS1_3gpuE5ELNS1_3repE0EEENS1_30default_config_static_selectorELNS0_4arch9wavefront6targetE0EEEvSR_,comdat
	.protected	_ZN7rocprim17ROCPRIM_400000_NS6detail17trampoline_kernelINS0_14default_configENS1_29binary_search_config_selectorIsN6thrust23THRUST_200600_302600_NS6detail10any_assignEEEZNS1_14transform_implILb0ES3_S9_NS7_15normal_iteratorINS6_10device_ptrIsEEEENS6_16discard_iteratorINS6_11use_defaultEEEZNS1_13binary_searchIS3_S9_SE_SE_SH_NS1_16binary_search_opENS7_16wrapped_functionINS0_4lessIvEEbEEEE10hipError_tPvRmT1_T2_T3_mmT4_T5_P12ihipStream_tbEUlRKsE_EESO_SS_ST_mSU_SX_bEUlT_E_NS1_11comp_targetILNS1_3genE10ELNS1_11target_archE1201ELNS1_3gpuE5ELNS1_3repE0EEENS1_30default_config_static_selectorELNS0_4arch9wavefront6targetE0EEEvSR_ ; -- Begin function _ZN7rocprim17ROCPRIM_400000_NS6detail17trampoline_kernelINS0_14default_configENS1_29binary_search_config_selectorIsN6thrust23THRUST_200600_302600_NS6detail10any_assignEEEZNS1_14transform_implILb0ES3_S9_NS7_15normal_iteratorINS6_10device_ptrIsEEEENS6_16discard_iteratorINS6_11use_defaultEEEZNS1_13binary_searchIS3_S9_SE_SE_SH_NS1_16binary_search_opENS7_16wrapped_functionINS0_4lessIvEEbEEEE10hipError_tPvRmT1_T2_T3_mmT4_T5_P12ihipStream_tbEUlRKsE_EESO_SS_ST_mSU_SX_bEUlT_E_NS1_11comp_targetILNS1_3genE10ELNS1_11target_archE1201ELNS1_3gpuE5ELNS1_3repE0EEENS1_30default_config_static_selectorELNS0_4arch9wavefront6targetE0EEEvSR_
	.globl	_ZN7rocprim17ROCPRIM_400000_NS6detail17trampoline_kernelINS0_14default_configENS1_29binary_search_config_selectorIsN6thrust23THRUST_200600_302600_NS6detail10any_assignEEEZNS1_14transform_implILb0ES3_S9_NS7_15normal_iteratorINS6_10device_ptrIsEEEENS6_16discard_iteratorINS6_11use_defaultEEEZNS1_13binary_searchIS3_S9_SE_SE_SH_NS1_16binary_search_opENS7_16wrapped_functionINS0_4lessIvEEbEEEE10hipError_tPvRmT1_T2_T3_mmT4_T5_P12ihipStream_tbEUlRKsE_EESO_SS_ST_mSU_SX_bEUlT_E_NS1_11comp_targetILNS1_3genE10ELNS1_11target_archE1201ELNS1_3gpuE5ELNS1_3repE0EEENS1_30default_config_static_selectorELNS0_4arch9wavefront6targetE0EEEvSR_
	.p2align	8
	.type	_ZN7rocprim17ROCPRIM_400000_NS6detail17trampoline_kernelINS0_14default_configENS1_29binary_search_config_selectorIsN6thrust23THRUST_200600_302600_NS6detail10any_assignEEEZNS1_14transform_implILb0ES3_S9_NS7_15normal_iteratorINS6_10device_ptrIsEEEENS6_16discard_iteratorINS6_11use_defaultEEEZNS1_13binary_searchIS3_S9_SE_SE_SH_NS1_16binary_search_opENS7_16wrapped_functionINS0_4lessIvEEbEEEE10hipError_tPvRmT1_T2_T3_mmT4_T5_P12ihipStream_tbEUlRKsE_EESO_SS_ST_mSU_SX_bEUlT_E_NS1_11comp_targetILNS1_3genE10ELNS1_11target_archE1201ELNS1_3gpuE5ELNS1_3repE0EEENS1_30default_config_static_selectorELNS0_4arch9wavefront6targetE0EEEvSR_,@function
_ZN7rocprim17ROCPRIM_400000_NS6detail17trampoline_kernelINS0_14default_configENS1_29binary_search_config_selectorIsN6thrust23THRUST_200600_302600_NS6detail10any_assignEEEZNS1_14transform_implILb0ES3_S9_NS7_15normal_iteratorINS6_10device_ptrIsEEEENS6_16discard_iteratorINS6_11use_defaultEEEZNS1_13binary_searchIS3_S9_SE_SE_SH_NS1_16binary_search_opENS7_16wrapped_functionINS0_4lessIvEEbEEEE10hipError_tPvRmT1_T2_T3_mmT4_T5_P12ihipStream_tbEUlRKsE_EESO_SS_ST_mSU_SX_bEUlT_E_NS1_11comp_targetILNS1_3genE10ELNS1_11target_archE1201ELNS1_3gpuE5ELNS1_3repE0EEENS1_30default_config_static_selectorELNS0_4arch9wavefront6targetE0EEEvSR_: ; @_ZN7rocprim17ROCPRIM_400000_NS6detail17trampoline_kernelINS0_14default_configENS1_29binary_search_config_selectorIsN6thrust23THRUST_200600_302600_NS6detail10any_assignEEEZNS1_14transform_implILb0ES3_S9_NS7_15normal_iteratorINS6_10device_ptrIsEEEENS6_16discard_iteratorINS6_11use_defaultEEEZNS1_13binary_searchIS3_S9_SE_SE_SH_NS1_16binary_search_opENS7_16wrapped_functionINS0_4lessIvEEbEEEE10hipError_tPvRmT1_T2_T3_mmT4_T5_P12ihipStream_tbEUlRKsE_EESO_SS_ST_mSU_SX_bEUlT_E_NS1_11comp_targetILNS1_3genE10ELNS1_11target_archE1201ELNS1_3gpuE5ELNS1_3repE0EEENS1_30default_config_static_selectorELNS0_4arch9wavefront6targetE0EEEvSR_
; %bb.0:
	.section	.rodata,"a",@progbits
	.p2align	6, 0x0
	.amdhsa_kernel _ZN7rocprim17ROCPRIM_400000_NS6detail17trampoline_kernelINS0_14default_configENS1_29binary_search_config_selectorIsN6thrust23THRUST_200600_302600_NS6detail10any_assignEEEZNS1_14transform_implILb0ES3_S9_NS7_15normal_iteratorINS6_10device_ptrIsEEEENS6_16discard_iteratorINS6_11use_defaultEEEZNS1_13binary_searchIS3_S9_SE_SE_SH_NS1_16binary_search_opENS7_16wrapped_functionINS0_4lessIvEEbEEEE10hipError_tPvRmT1_T2_T3_mmT4_T5_P12ihipStream_tbEUlRKsE_EESO_SS_ST_mSU_SX_bEUlT_E_NS1_11comp_targetILNS1_3genE10ELNS1_11target_archE1201ELNS1_3gpuE5ELNS1_3repE0EEENS1_30default_config_static_selectorELNS0_4arch9wavefront6targetE0EEEvSR_
		.amdhsa_group_segment_fixed_size 0
		.amdhsa_private_segment_fixed_size 0
		.amdhsa_kernarg_size 64
		.amdhsa_user_sgpr_count 15
		.amdhsa_user_sgpr_dispatch_ptr 0
		.amdhsa_user_sgpr_queue_ptr 0
		.amdhsa_user_sgpr_kernarg_segment_ptr 1
		.amdhsa_user_sgpr_dispatch_id 0
		.amdhsa_user_sgpr_private_segment_size 0
		.amdhsa_wavefront_size32 1
		.amdhsa_uses_dynamic_stack 0
		.amdhsa_enable_private_segment 0
		.amdhsa_system_sgpr_workgroup_id_x 1
		.amdhsa_system_sgpr_workgroup_id_y 0
		.amdhsa_system_sgpr_workgroup_id_z 0
		.amdhsa_system_sgpr_workgroup_info 0
		.amdhsa_system_vgpr_workitem_id 0
		.amdhsa_next_free_vgpr 1
		.amdhsa_next_free_sgpr 1
		.amdhsa_reserve_vcc 0
		.amdhsa_float_round_mode_32 0
		.amdhsa_float_round_mode_16_64 0
		.amdhsa_float_denorm_mode_32 3
		.amdhsa_float_denorm_mode_16_64 3
		.amdhsa_dx10_clamp 1
		.amdhsa_ieee_mode 1
		.amdhsa_fp16_overflow 0
		.amdhsa_workgroup_processor_mode 1
		.amdhsa_memory_ordered 1
		.amdhsa_forward_progress 0
		.amdhsa_shared_vgpr_count 0
		.amdhsa_exception_fp_ieee_invalid_op 0
		.amdhsa_exception_fp_denorm_src 0
		.amdhsa_exception_fp_ieee_div_zero 0
		.amdhsa_exception_fp_ieee_overflow 0
		.amdhsa_exception_fp_ieee_underflow 0
		.amdhsa_exception_fp_ieee_inexact 0
		.amdhsa_exception_int_div_zero 0
	.end_amdhsa_kernel
	.section	.text._ZN7rocprim17ROCPRIM_400000_NS6detail17trampoline_kernelINS0_14default_configENS1_29binary_search_config_selectorIsN6thrust23THRUST_200600_302600_NS6detail10any_assignEEEZNS1_14transform_implILb0ES3_S9_NS7_15normal_iteratorINS6_10device_ptrIsEEEENS6_16discard_iteratorINS6_11use_defaultEEEZNS1_13binary_searchIS3_S9_SE_SE_SH_NS1_16binary_search_opENS7_16wrapped_functionINS0_4lessIvEEbEEEE10hipError_tPvRmT1_T2_T3_mmT4_T5_P12ihipStream_tbEUlRKsE_EESO_SS_ST_mSU_SX_bEUlT_E_NS1_11comp_targetILNS1_3genE10ELNS1_11target_archE1201ELNS1_3gpuE5ELNS1_3repE0EEENS1_30default_config_static_selectorELNS0_4arch9wavefront6targetE0EEEvSR_,"axG",@progbits,_ZN7rocprim17ROCPRIM_400000_NS6detail17trampoline_kernelINS0_14default_configENS1_29binary_search_config_selectorIsN6thrust23THRUST_200600_302600_NS6detail10any_assignEEEZNS1_14transform_implILb0ES3_S9_NS7_15normal_iteratorINS6_10device_ptrIsEEEENS6_16discard_iteratorINS6_11use_defaultEEEZNS1_13binary_searchIS3_S9_SE_SE_SH_NS1_16binary_search_opENS7_16wrapped_functionINS0_4lessIvEEbEEEE10hipError_tPvRmT1_T2_T3_mmT4_T5_P12ihipStream_tbEUlRKsE_EESO_SS_ST_mSU_SX_bEUlT_E_NS1_11comp_targetILNS1_3genE10ELNS1_11target_archE1201ELNS1_3gpuE5ELNS1_3repE0EEENS1_30default_config_static_selectorELNS0_4arch9wavefront6targetE0EEEvSR_,comdat
.Lfunc_end623:
	.size	_ZN7rocprim17ROCPRIM_400000_NS6detail17trampoline_kernelINS0_14default_configENS1_29binary_search_config_selectorIsN6thrust23THRUST_200600_302600_NS6detail10any_assignEEEZNS1_14transform_implILb0ES3_S9_NS7_15normal_iteratorINS6_10device_ptrIsEEEENS6_16discard_iteratorINS6_11use_defaultEEEZNS1_13binary_searchIS3_S9_SE_SE_SH_NS1_16binary_search_opENS7_16wrapped_functionINS0_4lessIvEEbEEEE10hipError_tPvRmT1_T2_T3_mmT4_T5_P12ihipStream_tbEUlRKsE_EESO_SS_ST_mSU_SX_bEUlT_E_NS1_11comp_targetILNS1_3genE10ELNS1_11target_archE1201ELNS1_3gpuE5ELNS1_3repE0EEENS1_30default_config_static_selectorELNS0_4arch9wavefront6targetE0EEEvSR_, .Lfunc_end623-_ZN7rocprim17ROCPRIM_400000_NS6detail17trampoline_kernelINS0_14default_configENS1_29binary_search_config_selectorIsN6thrust23THRUST_200600_302600_NS6detail10any_assignEEEZNS1_14transform_implILb0ES3_S9_NS7_15normal_iteratorINS6_10device_ptrIsEEEENS6_16discard_iteratorINS6_11use_defaultEEEZNS1_13binary_searchIS3_S9_SE_SE_SH_NS1_16binary_search_opENS7_16wrapped_functionINS0_4lessIvEEbEEEE10hipError_tPvRmT1_T2_T3_mmT4_T5_P12ihipStream_tbEUlRKsE_EESO_SS_ST_mSU_SX_bEUlT_E_NS1_11comp_targetILNS1_3genE10ELNS1_11target_archE1201ELNS1_3gpuE5ELNS1_3repE0EEENS1_30default_config_static_selectorELNS0_4arch9wavefront6targetE0EEEvSR_
                                        ; -- End function
	.section	.AMDGPU.csdata,"",@progbits
; Kernel info:
; codeLenInByte = 0
; NumSgprs: 0
; NumVgprs: 0
; ScratchSize: 0
; MemoryBound: 0
; FloatMode: 240
; IeeeMode: 1
; LDSByteSize: 0 bytes/workgroup (compile time only)
; SGPRBlocks: 0
; VGPRBlocks: 0
; NumSGPRsForWavesPerEU: 1
; NumVGPRsForWavesPerEU: 1
; Occupancy: 16
; WaveLimiterHint : 0
; COMPUTE_PGM_RSRC2:SCRATCH_EN: 0
; COMPUTE_PGM_RSRC2:USER_SGPR: 15
; COMPUTE_PGM_RSRC2:TRAP_HANDLER: 0
; COMPUTE_PGM_RSRC2:TGID_X_EN: 1
; COMPUTE_PGM_RSRC2:TGID_Y_EN: 0
; COMPUTE_PGM_RSRC2:TGID_Z_EN: 0
; COMPUTE_PGM_RSRC2:TIDIG_COMP_CNT: 0
	.section	.text._ZN7rocprim17ROCPRIM_400000_NS6detail17trampoline_kernelINS0_14default_configENS1_29binary_search_config_selectorIsN6thrust23THRUST_200600_302600_NS6detail10any_assignEEEZNS1_14transform_implILb0ES3_S9_NS7_15normal_iteratorINS6_10device_ptrIsEEEENS6_16discard_iteratorINS6_11use_defaultEEEZNS1_13binary_searchIS3_S9_SE_SE_SH_NS1_16binary_search_opENS7_16wrapped_functionINS0_4lessIvEEbEEEE10hipError_tPvRmT1_T2_T3_mmT4_T5_P12ihipStream_tbEUlRKsE_EESO_SS_ST_mSU_SX_bEUlT_E_NS1_11comp_targetILNS1_3genE10ELNS1_11target_archE1200ELNS1_3gpuE4ELNS1_3repE0EEENS1_30default_config_static_selectorELNS0_4arch9wavefront6targetE0EEEvSR_,"axG",@progbits,_ZN7rocprim17ROCPRIM_400000_NS6detail17trampoline_kernelINS0_14default_configENS1_29binary_search_config_selectorIsN6thrust23THRUST_200600_302600_NS6detail10any_assignEEEZNS1_14transform_implILb0ES3_S9_NS7_15normal_iteratorINS6_10device_ptrIsEEEENS6_16discard_iteratorINS6_11use_defaultEEEZNS1_13binary_searchIS3_S9_SE_SE_SH_NS1_16binary_search_opENS7_16wrapped_functionINS0_4lessIvEEbEEEE10hipError_tPvRmT1_T2_T3_mmT4_T5_P12ihipStream_tbEUlRKsE_EESO_SS_ST_mSU_SX_bEUlT_E_NS1_11comp_targetILNS1_3genE10ELNS1_11target_archE1200ELNS1_3gpuE4ELNS1_3repE0EEENS1_30default_config_static_selectorELNS0_4arch9wavefront6targetE0EEEvSR_,comdat
	.protected	_ZN7rocprim17ROCPRIM_400000_NS6detail17trampoline_kernelINS0_14default_configENS1_29binary_search_config_selectorIsN6thrust23THRUST_200600_302600_NS6detail10any_assignEEEZNS1_14transform_implILb0ES3_S9_NS7_15normal_iteratorINS6_10device_ptrIsEEEENS6_16discard_iteratorINS6_11use_defaultEEEZNS1_13binary_searchIS3_S9_SE_SE_SH_NS1_16binary_search_opENS7_16wrapped_functionINS0_4lessIvEEbEEEE10hipError_tPvRmT1_T2_T3_mmT4_T5_P12ihipStream_tbEUlRKsE_EESO_SS_ST_mSU_SX_bEUlT_E_NS1_11comp_targetILNS1_3genE10ELNS1_11target_archE1200ELNS1_3gpuE4ELNS1_3repE0EEENS1_30default_config_static_selectorELNS0_4arch9wavefront6targetE0EEEvSR_ ; -- Begin function _ZN7rocprim17ROCPRIM_400000_NS6detail17trampoline_kernelINS0_14default_configENS1_29binary_search_config_selectorIsN6thrust23THRUST_200600_302600_NS6detail10any_assignEEEZNS1_14transform_implILb0ES3_S9_NS7_15normal_iteratorINS6_10device_ptrIsEEEENS6_16discard_iteratorINS6_11use_defaultEEEZNS1_13binary_searchIS3_S9_SE_SE_SH_NS1_16binary_search_opENS7_16wrapped_functionINS0_4lessIvEEbEEEE10hipError_tPvRmT1_T2_T3_mmT4_T5_P12ihipStream_tbEUlRKsE_EESO_SS_ST_mSU_SX_bEUlT_E_NS1_11comp_targetILNS1_3genE10ELNS1_11target_archE1200ELNS1_3gpuE4ELNS1_3repE0EEENS1_30default_config_static_selectorELNS0_4arch9wavefront6targetE0EEEvSR_
	.globl	_ZN7rocprim17ROCPRIM_400000_NS6detail17trampoline_kernelINS0_14default_configENS1_29binary_search_config_selectorIsN6thrust23THRUST_200600_302600_NS6detail10any_assignEEEZNS1_14transform_implILb0ES3_S9_NS7_15normal_iteratorINS6_10device_ptrIsEEEENS6_16discard_iteratorINS6_11use_defaultEEEZNS1_13binary_searchIS3_S9_SE_SE_SH_NS1_16binary_search_opENS7_16wrapped_functionINS0_4lessIvEEbEEEE10hipError_tPvRmT1_T2_T3_mmT4_T5_P12ihipStream_tbEUlRKsE_EESO_SS_ST_mSU_SX_bEUlT_E_NS1_11comp_targetILNS1_3genE10ELNS1_11target_archE1200ELNS1_3gpuE4ELNS1_3repE0EEENS1_30default_config_static_selectorELNS0_4arch9wavefront6targetE0EEEvSR_
	.p2align	8
	.type	_ZN7rocprim17ROCPRIM_400000_NS6detail17trampoline_kernelINS0_14default_configENS1_29binary_search_config_selectorIsN6thrust23THRUST_200600_302600_NS6detail10any_assignEEEZNS1_14transform_implILb0ES3_S9_NS7_15normal_iteratorINS6_10device_ptrIsEEEENS6_16discard_iteratorINS6_11use_defaultEEEZNS1_13binary_searchIS3_S9_SE_SE_SH_NS1_16binary_search_opENS7_16wrapped_functionINS0_4lessIvEEbEEEE10hipError_tPvRmT1_T2_T3_mmT4_T5_P12ihipStream_tbEUlRKsE_EESO_SS_ST_mSU_SX_bEUlT_E_NS1_11comp_targetILNS1_3genE10ELNS1_11target_archE1200ELNS1_3gpuE4ELNS1_3repE0EEENS1_30default_config_static_selectorELNS0_4arch9wavefront6targetE0EEEvSR_,@function
_ZN7rocprim17ROCPRIM_400000_NS6detail17trampoline_kernelINS0_14default_configENS1_29binary_search_config_selectorIsN6thrust23THRUST_200600_302600_NS6detail10any_assignEEEZNS1_14transform_implILb0ES3_S9_NS7_15normal_iteratorINS6_10device_ptrIsEEEENS6_16discard_iteratorINS6_11use_defaultEEEZNS1_13binary_searchIS3_S9_SE_SE_SH_NS1_16binary_search_opENS7_16wrapped_functionINS0_4lessIvEEbEEEE10hipError_tPvRmT1_T2_T3_mmT4_T5_P12ihipStream_tbEUlRKsE_EESO_SS_ST_mSU_SX_bEUlT_E_NS1_11comp_targetILNS1_3genE10ELNS1_11target_archE1200ELNS1_3gpuE4ELNS1_3repE0EEENS1_30default_config_static_selectorELNS0_4arch9wavefront6targetE0EEEvSR_: ; @_ZN7rocprim17ROCPRIM_400000_NS6detail17trampoline_kernelINS0_14default_configENS1_29binary_search_config_selectorIsN6thrust23THRUST_200600_302600_NS6detail10any_assignEEEZNS1_14transform_implILb0ES3_S9_NS7_15normal_iteratorINS6_10device_ptrIsEEEENS6_16discard_iteratorINS6_11use_defaultEEEZNS1_13binary_searchIS3_S9_SE_SE_SH_NS1_16binary_search_opENS7_16wrapped_functionINS0_4lessIvEEbEEEE10hipError_tPvRmT1_T2_T3_mmT4_T5_P12ihipStream_tbEUlRKsE_EESO_SS_ST_mSU_SX_bEUlT_E_NS1_11comp_targetILNS1_3genE10ELNS1_11target_archE1200ELNS1_3gpuE4ELNS1_3repE0EEENS1_30default_config_static_selectorELNS0_4arch9wavefront6targetE0EEEvSR_
; %bb.0:
	.section	.rodata,"a",@progbits
	.p2align	6, 0x0
	.amdhsa_kernel _ZN7rocprim17ROCPRIM_400000_NS6detail17trampoline_kernelINS0_14default_configENS1_29binary_search_config_selectorIsN6thrust23THRUST_200600_302600_NS6detail10any_assignEEEZNS1_14transform_implILb0ES3_S9_NS7_15normal_iteratorINS6_10device_ptrIsEEEENS6_16discard_iteratorINS6_11use_defaultEEEZNS1_13binary_searchIS3_S9_SE_SE_SH_NS1_16binary_search_opENS7_16wrapped_functionINS0_4lessIvEEbEEEE10hipError_tPvRmT1_T2_T3_mmT4_T5_P12ihipStream_tbEUlRKsE_EESO_SS_ST_mSU_SX_bEUlT_E_NS1_11comp_targetILNS1_3genE10ELNS1_11target_archE1200ELNS1_3gpuE4ELNS1_3repE0EEENS1_30default_config_static_selectorELNS0_4arch9wavefront6targetE0EEEvSR_
		.amdhsa_group_segment_fixed_size 0
		.amdhsa_private_segment_fixed_size 0
		.amdhsa_kernarg_size 64
		.amdhsa_user_sgpr_count 15
		.amdhsa_user_sgpr_dispatch_ptr 0
		.amdhsa_user_sgpr_queue_ptr 0
		.amdhsa_user_sgpr_kernarg_segment_ptr 1
		.amdhsa_user_sgpr_dispatch_id 0
		.amdhsa_user_sgpr_private_segment_size 0
		.amdhsa_wavefront_size32 1
		.amdhsa_uses_dynamic_stack 0
		.amdhsa_enable_private_segment 0
		.amdhsa_system_sgpr_workgroup_id_x 1
		.amdhsa_system_sgpr_workgroup_id_y 0
		.amdhsa_system_sgpr_workgroup_id_z 0
		.amdhsa_system_sgpr_workgroup_info 0
		.amdhsa_system_vgpr_workitem_id 0
		.amdhsa_next_free_vgpr 1
		.amdhsa_next_free_sgpr 1
		.amdhsa_reserve_vcc 0
		.amdhsa_float_round_mode_32 0
		.amdhsa_float_round_mode_16_64 0
		.amdhsa_float_denorm_mode_32 3
		.amdhsa_float_denorm_mode_16_64 3
		.amdhsa_dx10_clamp 1
		.amdhsa_ieee_mode 1
		.amdhsa_fp16_overflow 0
		.amdhsa_workgroup_processor_mode 1
		.amdhsa_memory_ordered 1
		.amdhsa_forward_progress 0
		.amdhsa_shared_vgpr_count 0
		.amdhsa_exception_fp_ieee_invalid_op 0
		.amdhsa_exception_fp_denorm_src 0
		.amdhsa_exception_fp_ieee_div_zero 0
		.amdhsa_exception_fp_ieee_overflow 0
		.amdhsa_exception_fp_ieee_underflow 0
		.amdhsa_exception_fp_ieee_inexact 0
		.amdhsa_exception_int_div_zero 0
	.end_amdhsa_kernel
	.section	.text._ZN7rocprim17ROCPRIM_400000_NS6detail17trampoline_kernelINS0_14default_configENS1_29binary_search_config_selectorIsN6thrust23THRUST_200600_302600_NS6detail10any_assignEEEZNS1_14transform_implILb0ES3_S9_NS7_15normal_iteratorINS6_10device_ptrIsEEEENS6_16discard_iteratorINS6_11use_defaultEEEZNS1_13binary_searchIS3_S9_SE_SE_SH_NS1_16binary_search_opENS7_16wrapped_functionINS0_4lessIvEEbEEEE10hipError_tPvRmT1_T2_T3_mmT4_T5_P12ihipStream_tbEUlRKsE_EESO_SS_ST_mSU_SX_bEUlT_E_NS1_11comp_targetILNS1_3genE10ELNS1_11target_archE1200ELNS1_3gpuE4ELNS1_3repE0EEENS1_30default_config_static_selectorELNS0_4arch9wavefront6targetE0EEEvSR_,"axG",@progbits,_ZN7rocprim17ROCPRIM_400000_NS6detail17trampoline_kernelINS0_14default_configENS1_29binary_search_config_selectorIsN6thrust23THRUST_200600_302600_NS6detail10any_assignEEEZNS1_14transform_implILb0ES3_S9_NS7_15normal_iteratorINS6_10device_ptrIsEEEENS6_16discard_iteratorINS6_11use_defaultEEEZNS1_13binary_searchIS3_S9_SE_SE_SH_NS1_16binary_search_opENS7_16wrapped_functionINS0_4lessIvEEbEEEE10hipError_tPvRmT1_T2_T3_mmT4_T5_P12ihipStream_tbEUlRKsE_EESO_SS_ST_mSU_SX_bEUlT_E_NS1_11comp_targetILNS1_3genE10ELNS1_11target_archE1200ELNS1_3gpuE4ELNS1_3repE0EEENS1_30default_config_static_selectorELNS0_4arch9wavefront6targetE0EEEvSR_,comdat
.Lfunc_end624:
	.size	_ZN7rocprim17ROCPRIM_400000_NS6detail17trampoline_kernelINS0_14default_configENS1_29binary_search_config_selectorIsN6thrust23THRUST_200600_302600_NS6detail10any_assignEEEZNS1_14transform_implILb0ES3_S9_NS7_15normal_iteratorINS6_10device_ptrIsEEEENS6_16discard_iteratorINS6_11use_defaultEEEZNS1_13binary_searchIS3_S9_SE_SE_SH_NS1_16binary_search_opENS7_16wrapped_functionINS0_4lessIvEEbEEEE10hipError_tPvRmT1_T2_T3_mmT4_T5_P12ihipStream_tbEUlRKsE_EESO_SS_ST_mSU_SX_bEUlT_E_NS1_11comp_targetILNS1_3genE10ELNS1_11target_archE1200ELNS1_3gpuE4ELNS1_3repE0EEENS1_30default_config_static_selectorELNS0_4arch9wavefront6targetE0EEEvSR_, .Lfunc_end624-_ZN7rocprim17ROCPRIM_400000_NS6detail17trampoline_kernelINS0_14default_configENS1_29binary_search_config_selectorIsN6thrust23THRUST_200600_302600_NS6detail10any_assignEEEZNS1_14transform_implILb0ES3_S9_NS7_15normal_iteratorINS6_10device_ptrIsEEEENS6_16discard_iteratorINS6_11use_defaultEEEZNS1_13binary_searchIS3_S9_SE_SE_SH_NS1_16binary_search_opENS7_16wrapped_functionINS0_4lessIvEEbEEEE10hipError_tPvRmT1_T2_T3_mmT4_T5_P12ihipStream_tbEUlRKsE_EESO_SS_ST_mSU_SX_bEUlT_E_NS1_11comp_targetILNS1_3genE10ELNS1_11target_archE1200ELNS1_3gpuE4ELNS1_3repE0EEENS1_30default_config_static_selectorELNS0_4arch9wavefront6targetE0EEEvSR_
                                        ; -- End function
	.section	.AMDGPU.csdata,"",@progbits
; Kernel info:
; codeLenInByte = 0
; NumSgprs: 0
; NumVgprs: 0
; ScratchSize: 0
; MemoryBound: 0
; FloatMode: 240
; IeeeMode: 1
; LDSByteSize: 0 bytes/workgroup (compile time only)
; SGPRBlocks: 0
; VGPRBlocks: 0
; NumSGPRsForWavesPerEU: 1
; NumVGPRsForWavesPerEU: 1
; Occupancy: 16
; WaveLimiterHint : 0
; COMPUTE_PGM_RSRC2:SCRATCH_EN: 0
; COMPUTE_PGM_RSRC2:USER_SGPR: 15
; COMPUTE_PGM_RSRC2:TRAP_HANDLER: 0
; COMPUTE_PGM_RSRC2:TGID_X_EN: 1
; COMPUTE_PGM_RSRC2:TGID_Y_EN: 0
; COMPUTE_PGM_RSRC2:TGID_Z_EN: 0
; COMPUTE_PGM_RSRC2:TIDIG_COMP_CNT: 0
	.section	.text._ZN7rocprim17ROCPRIM_400000_NS6detail17trampoline_kernelINS0_14default_configENS1_29binary_search_config_selectorIsN6thrust23THRUST_200600_302600_NS6detail10any_assignEEEZNS1_14transform_implILb0ES3_S9_NS7_15normal_iteratorINS6_10device_ptrIsEEEENS6_16discard_iteratorINS6_11use_defaultEEEZNS1_13binary_searchIS3_S9_SE_SE_SH_NS1_16binary_search_opENS7_16wrapped_functionINS0_4lessIvEEbEEEE10hipError_tPvRmT1_T2_T3_mmT4_T5_P12ihipStream_tbEUlRKsE_EESO_SS_ST_mSU_SX_bEUlT_E_NS1_11comp_targetILNS1_3genE9ELNS1_11target_archE1100ELNS1_3gpuE3ELNS1_3repE0EEENS1_30default_config_static_selectorELNS0_4arch9wavefront6targetE0EEEvSR_,"axG",@progbits,_ZN7rocprim17ROCPRIM_400000_NS6detail17trampoline_kernelINS0_14default_configENS1_29binary_search_config_selectorIsN6thrust23THRUST_200600_302600_NS6detail10any_assignEEEZNS1_14transform_implILb0ES3_S9_NS7_15normal_iteratorINS6_10device_ptrIsEEEENS6_16discard_iteratorINS6_11use_defaultEEEZNS1_13binary_searchIS3_S9_SE_SE_SH_NS1_16binary_search_opENS7_16wrapped_functionINS0_4lessIvEEbEEEE10hipError_tPvRmT1_T2_T3_mmT4_T5_P12ihipStream_tbEUlRKsE_EESO_SS_ST_mSU_SX_bEUlT_E_NS1_11comp_targetILNS1_3genE9ELNS1_11target_archE1100ELNS1_3gpuE3ELNS1_3repE0EEENS1_30default_config_static_selectorELNS0_4arch9wavefront6targetE0EEEvSR_,comdat
	.protected	_ZN7rocprim17ROCPRIM_400000_NS6detail17trampoline_kernelINS0_14default_configENS1_29binary_search_config_selectorIsN6thrust23THRUST_200600_302600_NS6detail10any_assignEEEZNS1_14transform_implILb0ES3_S9_NS7_15normal_iteratorINS6_10device_ptrIsEEEENS6_16discard_iteratorINS6_11use_defaultEEEZNS1_13binary_searchIS3_S9_SE_SE_SH_NS1_16binary_search_opENS7_16wrapped_functionINS0_4lessIvEEbEEEE10hipError_tPvRmT1_T2_T3_mmT4_T5_P12ihipStream_tbEUlRKsE_EESO_SS_ST_mSU_SX_bEUlT_E_NS1_11comp_targetILNS1_3genE9ELNS1_11target_archE1100ELNS1_3gpuE3ELNS1_3repE0EEENS1_30default_config_static_selectorELNS0_4arch9wavefront6targetE0EEEvSR_ ; -- Begin function _ZN7rocprim17ROCPRIM_400000_NS6detail17trampoline_kernelINS0_14default_configENS1_29binary_search_config_selectorIsN6thrust23THRUST_200600_302600_NS6detail10any_assignEEEZNS1_14transform_implILb0ES3_S9_NS7_15normal_iteratorINS6_10device_ptrIsEEEENS6_16discard_iteratorINS6_11use_defaultEEEZNS1_13binary_searchIS3_S9_SE_SE_SH_NS1_16binary_search_opENS7_16wrapped_functionINS0_4lessIvEEbEEEE10hipError_tPvRmT1_T2_T3_mmT4_T5_P12ihipStream_tbEUlRKsE_EESO_SS_ST_mSU_SX_bEUlT_E_NS1_11comp_targetILNS1_3genE9ELNS1_11target_archE1100ELNS1_3gpuE3ELNS1_3repE0EEENS1_30default_config_static_selectorELNS0_4arch9wavefront6targetE0EEEvSR_
	.globl	_ZN7rocprim17ROCPRIM_400000_NS6detail17trampoline_kernelINS0_14default_configENS1_29binary_search_config_selectorIsN6thrust23THRUST_200600_302600_NS6detail10any_assignEEEZNS1_14transform_implILb0ES3_S9_NS7_15normal_iteratorINS6_10device_ptrIsEEEENS6_16discard_iteratorINS6_11use_defaultEEEZNS1_13binary_searchIS3_S9_SE_SE_SH_NS1_16binary_search_opENS7_16wrapped_functionINS0_4lessIvEEbEEEE10hipError_tPvRmT1_T2_T3_mmT4_T5_P12ihipStream_tbEUlRKsE_EESO_SS_ST_mSU_SX_bEUlT_E_NS1_11comp_targetILNS1_3genE9ELNS1_11target_archE1100ELNS1_3gpuE3ELNS1_3repE0EEENS1_30default_config_static_selectorELNS0_4arch9wavefront6targetE0EEEvSR_
	.p2align	8
	.type	_ZN7rocprim17ROCPRIM_400000_NS6detail17trampoline_kernelINS0_14default_configENS1_29binary_search_config_selectorIsN6thrust23THRUST_200600_302600_NS6detail10any_assignEEEZNS1_14transform_implILb0ES3_S9_NS7_15normal_iteratorINS6_10device_ptrIsEEEENS6_16discard_iteratorINS6_11use_defaultEEEZNS1_13binary_searchIS3_S9_SE_SE_SH_NS1_16binary_search_opENS7_16wrapped_functionINS0_4lessIvEEbEEEE10hipError_tPvRmT1_T2_T3_mmT4_T5_P12ihipStream_tbEUlRKsE_EESO_SS_ST_mSU_SX_bEUlT_E_NS1_11comp_targetILNS1_3genE9ELNS1_11target_archE1100ELNS1_3gpuE3ELNS1_3repE0EEENS1_30default_config_static_selectorELNS0_4arch9wavefront6targetE0EEEvSR_,@function
_ZN7rocprim17ROCPRIM_400000_NS6detail17trampoline_kernelINS0_14default_configENS1_29binary_search_config_selectorIsN6thrust23THRUST_200600_302600_NS6detail10any_assignEEEZNS1_14transform_implILb0ES3_S9_NS7_15normal_iteratorINS6_10device_ptrIsEEEENS6_16discard_iteratorINS6_11use_defaultEEEZNS1_13binary_searchIS3_S9_SE_SE_SH_NS1_16binary_search_opENS7_16wrapped_functionINS0_4lessIvEEbEEEE10hipError_tPvRmT1_T2_T3_mmT4_T5_P12ihipStream_tbEUlRKsE_EESO_SS_ST_mSU_SX_bEUlT_E_NS1_11comp_targetILNS1_3genE9ELNS1_11target_archE1100ELNS1_3gpuE3ELNS1_3repE0EEENS1_30default_config_static_selectorELNS0_4arch9wavefront6targetE0EEEvSR_: ; @_ZN7rocprim17ROCPRIM_400000_NS6detail17trampoline_kernelINS0_14default_configENS1_29binary_search_config_selectorIsN6thrust23THRUST_200600_302600_NS6detail10any_assignEEEZNS1_14transform_implILb0ES3_S9_NS7_15normal_iteratorINS6_10device_ptrIsEEEENS6_16discard_iteratorINS6_11use_defaultEEEZNS1_13binary_searchIS3_S9_SE_SE_SH_NS1_16binary_search_opENS7_16wrapped_functionINS0_4lessIvEEbEEEE10hipError_tPvRmT1_T2_T3_mmT4_T5_P12ihipStream_tbEUlRKsE_EESO_SS_ST_mSU_SX_bEUlT_E_NS1_11comp_targetILNS1_3genE9ELNS1_11target_archE1100ELNS1_3gpuE3ELNS1_3repE0EEENS1_30default_config_static_selectorELNS0_4arch9wavefront6targetE0EEEvSR_
; %bb.0:
	s_endpgm
	.section	.rodata,"a",@progbits
	.p2align	6, 0x0
	.amdhsa_kernel _ZN7rocprim17ROCPRIM_400000_NS6detail17trampoline_kernelINS0_14default_configENS1_29binary_search_config_selectorIsN6thrust23THRUST_200600_302600_NS6detail10any_assignEEEZNS1_14transform_implILb0ES3_S9_NS7_15normal_iteratorINS6_10device_ptrIsEEEENS6_16discard_iteratorINS6_11use_defaultEEEZNS1_13binary_searchIS3_S9_SE_SE_SH_NS1_16binary_search_opENS7_16wrapped_functionINS0_4lessIvEEbEEEE10hipError_tPvRmT1_T2_T3_mmT4_T5_P12ihipStream_tbEUlRKsE_EESO_SS_ST_mSU_SX_bEUlT_E_NS1_11comp_targetILNS1_3genE9ELNS1_11target_archE1100ELNS1_3gpuE3ELNS1_3repE0EEENS1_30default_config_static_selectorELNS0_4arch9wavefront6targetE0EEEvSR_
		.amdhsa_group_segment_fixed_size 0
		.amdhsa_private_segment_fixed_size 0
		.amdhsa_kernarg_size 64
		.amdhsa_user_sgpr_count 15
		.amdhsa_user_sgpr_dispatch_ptr 0
		.amdhsa_user_sgpr_queue_ptr 0
		.amdhsa_user_sgpr_kernarg_segment_ptr 1
		.amdhsa_user_sgpr_dispatch_id 0
		.amdhsa_user_sgpr_private_segment_size 0
		.amdhsa_wavefront_size32 1
		.amdhsa_uses_dynamic_stack 0
		.amdhsa_enable_private_segment 0
		.amdhsa_system_sgpr_workgroup_id_x 1
		.amdhsa_system_sgpr_workgroup_id_y 0
		.amdhsa_system_sgpr_workgroup_id_z 0
		.amdhsa_system_sgpr_workgroup_info 0
		.amdhsa_system_vgpr_workitem_id 0
		.amdhsa_next_free_vgpr 1
		.amdhsa_next_free_sgpr 1
		.amdhsa_reserve_vcc 0
		.amdhsa_float_round_mode_32 0
		.amdhsa_float_round_mode_16_64 0
		.amdhsa_float_denorm_mode_32 3
		.amdhsa_float_denorm_mode_16_64 3
		.amdhsa_dx10_clamp 1
		.amdhsa_ieee_mode 1
		.amdhsa_fp16_overflow 0
		.amdhsa_workgroup_processor_mode 1
		.amdhsa_memory_ordered 1
		.amdhsa_forward_progress 0
		.amdhsa_shared_vgpr_count 0
		.amdhsa_exception_fp_ieee_invalid_op 0
		.amdhsa_exception_fp_denorm_src 0
		.amdhsa_exception_fp_ieee_div_zero 0
		.amdhsa_exception_fp_ieee_overflow 0
		.amdhsa_exception_fp_ieee_underflow 0
		.amdhsa_exception_fp_ieee_inexact 0
		.amdhsa_exception_int_div_zero 0
	.end_amdhsa_kernel
	.section	.text._ZN7rocprim17ROCPRIM_400000_NS6detail17trampoline_kernelINS0_14default_configENS1_29binary_search_config_selectorIsN6thrust23THRUST_200600_302600_NS6detail10any_assignEEEZNS1_14transform_implILb0ES3_S9_NS7_15normal_iteratorINS6_10device_ptrIsEEEENS6_16discard_iteratorINS6_11use_defaultEEEZNS1_13binary_searchIS3_S9_SE_SE_SH_NS1_16binary_search_opENS7_16wrapped_functionINS0_4lessIvEEbEEEE10hipError_tPvRmT1_T2_T3_mmT4_T5_P12ihipStream_tbEUlRKsE_EESO_SS_ST_mSU_SX_bEUlT_E_NS1_11comp_targetILNS1_3genE9ELNS1_11target_archE1100ELNS1_3gpuE3ELNS1_3repE0EEENS1_30default_config_static_selectorELNS0_4arch9wavefront6targetE0EEEvSR_,"axG",@progbits,_ZN7rocprim17ROCPRIM_400000_NS6detail17trampoline_kernelINS0_14default_configENS1_29binary_search_config_selectorIsN6thrust23THRUST_200600_302600_NS6detail10any_assignEEEZNS1_14transform_implILb0ES3_S9_NS7_15normal_iteratorINS6_10device_ptrIsEEEENS6_16discard_iteratorINS6_11use_defaultEEEZNS1_13binary_searchIS3_S9_SE_SE_SH_NS1_16binary_search_opENS7_16wrapped_functionINS0_4lessIvEEbEEEE10hipError_tPvRmT1_T2_T3_mmT4_T5_P12ihipStream_tbEUlRKsE_EESO_SS_ST_mSU_SX_bEUlT_E_NS1_11comp_targetILNS1_3genE9ELNS1_11target_archE1100ELNS1_3gpuE3ELNS1_3repE0EEENS1_30default_config_static_selectorELNS0_4arch9wavefront6targetE0EEEvSR_,comdat
.Lfunc_end625:
	.size	_ZN7rocprim17ROCPRIM_400000_NS6detail17trampoline_kernelINS0_14default_configENS1_29binary_search_config_selectorIsN6thrust23THRUST_200600_302600_NS6detail10any_assignEEEZNS1_14transform_implILb0ES3_S9_NS7_15normal_iteratorINS6_10device_ptrIsEEEENS6_16discard_iteratorINS6_11use_defaultEEEZNS1_13binary_searchIS3_S9_SE_SE_SH_NS1_16binary_search_opENS7_16wrapped_functionINS0_4lessIvEEbEEEE10hipError_tPvRmT1_T2_T3_mmT4_T5_P12ihipStream_tbEUlRKsE_EESO_SS_ST_mSU_SX_bEUlT_E_NS1_11comp_targetILNS1_3genE9ELNS1_11target_archE1100ELNS1_3gpuE3ELNS1_3repE0EEENS1_30default_config_static_selectorELNS0_4arch9wavefront6targetE0EEEvSR_, .Lfunc_end625-_ZN7rocprim17ROCPRIM_400000_NS6detail17trampoline_kernelINS0_14default_configENS1_29binary_search_config_selectorIsN6thrust23THRUST_200600_302600_NS6detail10any_assignEEEZNS1_14transform_implILb0ES3_S9_NS7_15normal_iteratorINS6_10device_ptrIsEEEENS6_16discard_iteratorINS6_11use_defaultEEEZNS1_13binary_searchIS3_S9_SE_SE_SH_NS1_16binary_search_opENS7_16wrapped_functionINS0_4lessIvEEbEEEE10hipError_tPvRmT1_T2_T3_mmT4_T5_P12ihipStream_tbEUlRKsE_EESO_SS_ST_mSU_SX_bEUlT_E_NS1_11comp_targetILNS1_3genE9ELNS1_11target_archE1100ELNS1_3gpuE3ELNS1_3repE0EEENS1_30default_config_static_selectorELNS0_4arch9wavefront6targetE0EEEvSR_
                                        ; -- End function
	.section	.AMDGPU.csdata,"",@progbits
; Kernel info:
; codeLenInByte = 4
; NumSgprs: 0
; NumVgprs: 0
; ScratchSize: 0
; MemoryBound: 0
; FloatMode: 240
; IeeeMode: 1
; LDSByteSize: 0 bytes/workgroup (compile time only)
; SGPRBlocks: 0
; VGPRBlocks: 0
; NumSGPRsForWavesPerEU: 1
; NumVGPRsForWavesPerEU: 1
; Occupancy: 16
; WaveLimiterHint : 0
; COMPUTE_PGM_RSRC2:SCRATCH_EN: 0
; COMPUTE_PGM_RSRC2:USER_SGPR: 15
; COMPUTE_PGM_RSRC2:TRAP_HANDLER: 0
; COMPUTE_PGM_RSRC2:TGID_X_EN: 1
; COMPUTE_PGM_RSRC2:TGID_Y_EN: 0
; COMPUTE_PGM_RSRC2:TGID_Z_EN: 0
; COMPUTE_PGM_RSRC2:TIDIG_COMP_CNT: 0
	.section	.text._ZN7rocprim17ROCPRIM_400000_NS6detail17trampoline_kernelINS0_14default_configENS1_29binary_search_config_selectorIsN6thrust23THRUST_200600_302600_NS6detail10any_assignEEEZNS1_14transform_implILb0ES3_S9_NS7_15normal_iteratorINS6_10device_ptrIsEEEENS6_16discard_iteratorINS6_11use_defaultEEEZNS1_13binary_searchIS3_S9_SE_SE_SH_NS1_16binary_search_opENS7_16wrapped_functionINS0_4lessIvEEbEEEE10hipError_tPvRmT1_T2_T3_mmT4_T5_P12ihipStream_tbEUlRKsE_EESO_SS_ST_mSU_SX_bEUlT_E_NS1_11comp_targetILNS1_3genE8ELNS1_11target_archE1030ELNS1_3gpuE2ELNS1_3repE0EEENS1_30default_config_static_selectorELNS0_4arch9wavefront6targetE0EEEvSR_,"axG",@progbits,_ZN7rocprim17ROCPRIM_400000_NS6detail17trampoline_kernelINS0_14default_configENS1_29binary_search_config_selectorIsN6thrust23THRUST_200600_302600_NS6detail10any_assignEEEZNS1_14transform_implILb0ES3_S9_NS7_15normal_iteratorINS6_10device_ptrIsEEEENS6_16discard_iteratorINS6_11use_defaultEEEZNS1_13binary_searchIS3_S9_SE_SE_SH_NS1_16binary_search_opENS7_16wrapped_functionINS0_4lessIvEEbEEEE10hipError_tPvRmT1_T2_T3_mmT4_T5_P12ihipStream_tbEUlRKsE_EESO_SS_ST_mSU_SX_bEUlT_E_NS1_11comp_targetILNS1_3genE8ELNS1_11target_archE1030ELNS1_3gpuE2ELNS1_3repE0EEENS1_30default_config_static_selectorELNS0_4arch9wavefront6targetE0EEEvSR_,comdat
	.protected	_ZN7rocprim17ROCPRIM_400000_NS6detail17trampoline_kernelINS0_14default_configENS1_29binary_search_config_selectorIsN6thrust23THRUST_200600_302600_NS6detail10any_assignEEEZNS1_14transform_implILb0ES3_S9_NS7_15normal_iteratorINS6_10device_ptrIsEEEENS6_16discard_iteratorINS6_11use_defaultEEEZNS1_13binary_searchIS3_S9_SE_SE_SH_NS1_16binary_search_opENS7_16wrapped_functionINS0_4lessIvEEbEEEE10hipError_tPvRmT1_T2_T3_mmT4_T5_P12ihipStream_tbEUlRKsE_EESO_SS_ST_mSU_SX_bEUlT_E_NS1_11comp_targetILNS1_3genE8ELNS1_11target_archE1030ELNS1_3gpuE2ELNS1_3repE0EEENS1_30default_config_static_selectorELNS0_4arch9wavefront6targetE0EEEvSR_ ; -- Begin function _ZN7rocprim17ROCPRIM_400000_NS6detail17trampoline_kernelINS0_14default_configENS1_29binary_search_config_selectorIsN6thrust23THRUST_200600_302600_NS6detail10any_assignEEEZNS1_14transform_implILb0ES3_S9_NS7_15normal_iteratorINS6_10device_ptrIsEEEENS6_16discard_iteratorINS6_11use_defaultEEEZNS1_13binary_searchIS3_S9_SE_SE_SH_NS1_16binary_search_opENS7_16wrapped_functionINS0_4lessIvEEbEEEE10hipError_tPvRmT1_T2_T3_mmT4_T5_P12ihipStream_tbEUlRKsE_EESO_SS_ST_mSU_SX_bEUlT_E_NS1_11comp_targetILNS1_3genE8ELNS1_11target_archE1030ELNS1_3gpuE2ELNS1_3repE0EEENS1_30default_config_static_selectorELNS0_4arch9wavefront6targetE0EEEvSR_
	.globl	_ZN7rocprim17ROCPRIM_400000_NS6detail17trampoline_kernelINS0_14default_configENS1_29binary_search_config_selectorIsN6thrust23THRUST_200600_302600_NS6detail10any_assignEEEZNS1_14transform_implILb0ES3_S9_NS7_15normal_iteratorINS6_10device_ptrIsEEEENS6_16discard_iteratorINS6_11use_defaultEEEZNS1_13binary_searchIS3_S9_SE_SE_SH_NS1_16binary_search_opENS7_16wrapped_functionINS0_4lessIvEEbEEEE10hipError_tPvRmT1_T2_T3_mmT4_T5_P12ihipStream_tbEUlRKsE_EESO_SS_ST_mSU_SX_bEUlT_E_NS1_11comp_targetILNS1_3genE8ELNS1_11target_archE1030ELNS1_3gpuE2ELNS1_3repE0EEENS1_30default_config_static_selectorELNS0_4arch9wavefront6targetE0EEEvSR_
	.p2align	8
	.type	_ZN7rocprim17ROCPRIM_400000_NS6detail17trampoline_kernelINS0_14default_configENS1_29binary_search_config_selectorIsN6thrust23THRUST_200600_302600_NS6detail10any_assignEEEZNS1_14transform_implILb0ES3_S9_NS7_15normal_iteratorINS6_10device_ptrIsEEEENS6_16discard_iteratorINS6_11use_defaultEEEZNS1_13binary_searchIS3_S9_SE_SE_SH_NS1_16binary_search_opENS7_16wrapped_functionINS0_4lessIvEEbEEEE10hipError_tPvRmT1_T2_T3_mmT4_T5_P12ihipStream_tbEUlRKsE_EESO_SS_ST_mSU_SX_bEUlT_E_NS1_11comp_targetILNS1_3genE8ELNS1_11target_archE1030ELNS1_3gpuE2ELNS1_3repE0EEENS1_30default_config_static_selectorELNS0_4arch9wavefront6targetE0EEEvSR_,@function
_ZN7rocprim17ROCPRIM_400000_NS6detail17trampoline_kernelINS0_14default_configENS1_29binary_search_config_selectorIsN6thrust23THRUST_200600_302600_NS6detail10any_assignEEEZNS1_14transform_implILb0ES3_S9_NS7_15normal_iteratorINS6_10device_ptrIsEEEENS6_16discard_iteratorINS6_11use_defaultEEEZNS1_13binary_searchIS3_S9_SE_SE_SH_NS1_16binary_search_opENS7_16wrapped_functionINS0_4lessIvEEbEEEE10hipError_tPvRmT1_T2_T3_mmT4_T5_P12ihipStream_tbEUlRKsE_EESO_SS_ST_mSU_SX_bEUlT_E_NS1_11comp_targetILNS1_3genE8ELNS1_11target_archE1030ELNS1_3gpuE2ELNS1_3repE0EEENS1_30default_config_static_selectorELNS0_4arch9wavefront6targetE0EEEvSR_: ; @_ZN7rocprim17ROCPRIM_400000_NS6detail17trampoline_kernelINS0_14default_configENS1_29binary_search_config_selectorIsN6thrust23THRUST_200600_302600_NS6detail10any_assignEEEZNS1_14transform_implILb0ES3_S9_NS7_15normal_iteratorINS6_10device_ptrIsEEEENS6_16discard_iteratorINS6_11use_defaultEEEZNS1_13binary_searchIS3_S9_SE_SE_SH_NS1_16binary_search_opENS7_16wrapped_functionINS0_4lessIvEEbEEEE10hipError_tPvRmT1_T2_T3_mmT4_T5_P12ihipStream_tbEUlRKsE_EESO_SS_ST_mSU_SX_bEUlT_E_NS1_11comp_targetILNS1_3genE8ELNS1_11target_archE1030ELNS1_3gpuE2ELNS1_3repE0EEENS1_30default_config_static_selectorELNS0_4arch9wavefront6targetE0EEEvSR_
; %bb.0:
	.section	.rodata,"a",@progbits
	.p2align	6, 0x0
	.amdhsa_kernel _ZN7rocprim17ROCPRIM_400000_NS6detail17trampoline_kernelINS0_14default_configENS1_29binary_search_config_selectorIsN6thrust23THRUST_200600_302600_NS6detail10any_assignEEEZNS1_14transform_implILb0ES3_S9_NS7_15normal_iteratorINS6_10device_ptrIsEEEENS6_16discard_iteratorINS6_11use_defaultEEEZNS1_13binary_searchIS3_S9_SE_SE_SH_NS1_16binary_search_opENS7_16wrapped_functionINS0_4lessIvEEbEEEE10hipError_tPvRmT1_T2_T3_mmT4_T5_P12ihipStream_tbEUlRKsE_EESO_SS_ST_mSU_SX_bEUlT_E_NS1_11comp_targetILNS1_3genE8ELNS1_11target_archE1030ELNS1_3gpuE2ELNS1_3repE0EEENS1_30default_config_static_selectorELNS0_4arch9wavefront6targetE0EEEvSR_
		.amdhsa_group_segment_fixed_size 0
		.amdhsa_private_segment_fixed_size 0
		.amdhsa_kernarg_size 64
		.amdhsa_user_sgpr_count 15
		.amdhsa_user_sgpr_dispatch_ptr 0
		.amdhsa_user_sgpr_queue_ptr 0
		.amdhsa_user_sgpr_kernarg_segment_ptr 1
		.amdhsa_user_sgpr_dispatch_id 0
		.amdhsa_user_sgpr_private_segment_size 0
		.amdhsa_wavefront_size32 1
		.amdhsa_uses_dynamic_stack 0
		.amdhsa_enable_private_segment 0
		.amdhsa_system_sgpr_workgroup_id_x 1
		.amdhsa_system_sgpr_workgroup_id_y 0
		.amdhsa_system_sgpr_workgroup_id_z 0
		.amdhsa_system_sgpr_workgroup_info 0
		.amdhsa_system_vgpr_workitem_id 0
		.amdhsa_next_free_vgpr 1
		.amdhsa_next_free_sgpr 1
		.amdhsa_reserve_vcc 0
		.amdhsa_float_round_mode_32 0
		.amdhsa_float_round_mode_16_64 0
		.amdhsa_float_denorm_mode_32 3
		.amdhsa_float_denorm_mode_16_64 3
		.amdhsa_dx10_clamp 1
		.amdhsa_ieee_mode 1
		.amdhsa_fp16_overflow 0
		.amdhsa_workgroup_processor_mode 1
		.amdhsa_memory_ordered 1
		.amdhsa_forward_progress 0
		.amdhsa_shared_vgpr_count 0
		.amdhsa_exception_fp_ieee_invalid_op 0
		.amdhsa_exception_fp_denorm_src 0
		.amdhsa_exception_fp_ieee_div_zero 0
		.amdhsa_exception_fp_ieee_overflow 0
		.amdhsa_exception_fp_ieee_underflow 0
		.amdhsa_exception_fp_ieee_inexact 0
		.amdhsa_exception_int_div_zero 0
	.end_amdhsa_kernel
	.section	.text._ZN7rocprim17ROCPRIM_400000_NS6detail17trampoline_kernelINS0_14default_configENS1_29binary_search_config_selectorIsN6thrust23THRUST_200600_302600_NS6detail10any_assignEEEZNS1_14transform_implILb0ES3_S9_NS7_15normal_iteratorINS6_10device_ptrIsEEEENS6_16discard_iteratorINS6_11use_defaultEEEZNS1_13binary_searchIS3_S9_SE_SE_SH_NS1_16binary_search_opENS7_16wrapped_functionINS0_4lessIvEEbEEEE10hipError_tPvRmT1_T2_T3_mmT4_T5_P12ihipStream_tbEUlRKsE_EESO_SS_ST_mSU_SX_bEUlT_E_NS1_11comp_targetILNS1_3genE8ELNS1_11target_archE1030ELNS1_3gpuE2ELNS1_3repE0EEENS1_30default_config_static_selectorELNS0_4arch9wavefront6targetE0EEEvSR_,"axG",@progbits,_ZN7rocprim17ROCPRIM_400000_NS6detail17trampoline_kernelINS0_14default_configENS1_29binary_search_config_selectorIsN6thrust23THRUST_200600_302600_NS6detail10any_assignEEEZNS1_14transform_implILb0ES3_S9_NS7_15normal_iteratorINS6_10device_ptrIsEEEENS6_16discard_iteratorINS6_11use_defaultEEEZNS1_13binary_searchIS3_S9_SE_SE_SH_NS1_16binary_search_opENS7_16wrapped_functionINS0_4lessIvEEbEEEE10hipError_tPvRmT1_T2_T3_mmT4_T5_P12ihipStream_tbEUlRKsE_EESO_SS_ST_mSU_SX_bEUlT_E_NS1_11comp_targetILNS1_3genE8ELNS1_11target_archE1030ELNS1_3gpuE2ELNS1_3repE0EEENS1_30default_config_static_selectorELNS0_4arch9wavefront6targetE0EEEvSR_,comdat
.Lfunc_end626:
	.size	_ZN7rocprim17ROCPRIM_400000_NS6detail17trampoline_kernelINS0_14default_configENS1_29binary_search_config_selectorIsN6thrust23THRUST_200600_302600_NS6detail10any_assignEEEZNS1_14transform_implILb0ES3_S9_NS7_15normal_iteratorINS6_10device_ptrIsEEEENS6_16discard_iteratorINS6_11use_defaultEEEZNS1_13binary_searchIS3_S9_SE_SE_SH_NS1_16binary_search_opENS7_16wrapped_functionINS0_4lessIvEEbEEEE10hipError_tPvRmT1_T2_T3_mmT4_T5_P12ihipStream_tbEUlRKsE_EESO_SS_ST_mSU_SX_bEUlT_E_NS1_11comp_targetILNS1_3genE8ELNS1_11target_archE1030ELNS1_3gpuE2ELNS1_3repE0EEENS1_30default_config_static_selectorELNS0_4arch9wavefront6targetE0EEEvSR_, .Lfunc_end626-_ZN7rocprim17ROCPRIM_400000_NS6detail17trampoline_kernelINS0_14default_configENS1_29binary_search_config_selectorIsN6thrust23THRUST_200600_302600_NS6detail10any_assignEEEZNS1_14transform_implILb0ES3_S9_NS7_15normal_iteratorINS6_10device_ptrIsEEEENS6_16discard_iteratorINS6_11use_defaultEEEZNS1_13binary_searchIS3_S9_SE_SE_SH_NS1_16binary_search_opENS7_16wrapped_functionINS0_4lessIvEEbEEEE10hipError_tPvRmT1_T2_T3_mmT4_T5_P12ihipStream_tbEUlRKsE_EESO_SS_ST_mSU_SX_bEUlT_E_NS1_11comp_targetILNS1_3genE8ELNS1_11target_archE1030ELNS1_3gpuE2ELNS1_3repE0EEENS1_30default_config_static_selectorELNS0_4arch9wavefront6targetE0EEEvSR_
                                        ; -- End function
	.section	.AMDGPU.csdata,"",@progbits
; Kernel info:
; codeLenInByte = 0
; NumSgprs: 0
; NumVgprs: 0
; ScratchSize: 0
; MemoryBound: 0
; FloatMode: 240
; IeeeMode: 1
; LDSByteSize: 0 bytes/workgroup (compile time only)
; SGPRBlocks: 0
; VGPRBlocks: 0
; NumSGPRsForWavesPerEU: 1
; NumVGPRsForWavesPerEU: 1
; Occupancy: 16
; WaveLimiterHint : 0
; COMPUTE_PGM_RSRC2:SCRATCH_EN: 0
; COMPUTE_PGM_RSRC2:USER_SGPR: 15
; COMPUTE_PGM_RSRC2:TRAP_HANDLER: 0
; COMPUTE_PGM_RSRC2:TGID_X_EN: 1
; COMPUTE_PGM_RSRC2:TGID_Y_EN: 0
; COMPUTE_PGM_RSRC2:TGID_Z_EN: 0
; COMPUTE_PGM_RSRC2:TIDIG_COMP_CNT: 0
	.text
	.p2alignl 7, 3214868480
	.fill 96, 4, 3214868480
	.type	__hip_cuid_bd2d6d3399a7bcd7,@object ; @__hip_cuid_bd2d6d3399a7bcd7
	.section	.bss,"aw",@nobits
	.globl	__hip_cuid_bd2d6d3399a7bcd7
__hip_cuid_bd2d6d3399a7bcd7:
	.byte	0                               ; 0x0
	.size	__hip_cuid_bd2d6d3399a7bcd7, 1

	.ident	"AMD clang version 19.0.0git (https://github.com/RadeonOpenCompute/llvm-project roc-6.4.0 25133 c7fe45cf4b819c5991fe208aaa96edf142730f1d)"
	.section	".note.GNU-stack","",@progbits
	.addrsig
	.addrsig_sym __hip_cuid_bd2d6d3399a7bcd7
	.amdgpu_metadata
---
amdhsa.kernels:
  - .args:
      - .offset:         0
        .size:           16
        .value_kind:     by_value
      - .offset:         16
        .size:           8
        .value_kind:     by_value
      - .offset:         24
        .size:           8
        .value_kind:     by_value
    .group_segment_fixed_size: 0
    .kernarg_segment_align: 8
    .kernarg_segment_size: 32
    .language:       OpenCL C
    .language_version:
      - 2
      - 0
    .max_flat_workgroup_size: 256
    .name:           _ZN6thrust23THRUST_200600_302600_NS11hip_rocprim14__parallel_for6kernelILj256ENS1_20__uninitialized_fill7functorINS0_10device_ptrIdEEdEEmLj1EEEvT0_T1_SA_
    .private_segment_fixed_size: 0
    .sgpr_count:     18
    .sgpr_spill_count: 0
    .symbol:         _ZN6thrust23THRUST_200600_302600_NS11hip_rocprim14__parallel_for6kernelILj256ENS1_20__uninitialized_fill7functorINS0_10device_ptrIdEEdEEmLj1EEEvT0_T1_SA_.kd
    .uniform_work_group_size: 1
    .uses_dynamic_stack: false
    .vgpr_count:     4
    .vgpr_spill_count: 0
    .wavefront_size: 32
    .workgroup_processor_mode: 1
  - .args:
      - .offset:         0
        .size:           16
        .value_kind:     by_value
      - .offset:         16
        .size:           8
        .value_kind:     by_value
      - .offset:         24
        .size:           8
        .value_kind:     by_value
    .group_segment_fixed_size: 0
    .kernarg_segment_align: 8
    .kernarg_segment_size: 32
    .language:       OpenCL C
    .language_version:
      - 2
      - 0
    .max_flat_workgroup_size: 256
    .name:           _ZN6thrust23THRUST_200600_302600_NS11hip_rocprim14__parallel_for6kernelILj256ENS1_20__uninitialized_fill7functorINS0_10device_ptrIlEElEEmLj1EEEvT0_T1_SA_
    .private_segment_fixed_size: 0
    .sgpr_count:     18
    .sgpr_spill_count: 0
    .symbol:         _ZN6thrust23THRUST_200600_302600_NS11hip_rocprim14__parallel_for6kernelILj256ENS1_20__uninitialized_fill7functorINS0_10device_ptrIlEElEEmLj1EEEvT0_T1_SA_.kd
    .uniform_work_group_size: 1
    .uses_dynamic_stack: false
    .vgpr_count:     4
    .vgpr_spill_count: 0
    .wavefront_size: 32
    .workgroup_processor_mode: 1
  - .args:
      - .offset:         0
        .size:           8
        .value_kind:     by_value
      - .address_space:  global
        .offset:         8
        .size:           8
        .value_kind:     global_buffer
      - .address_space:  global
        .offset:         16
        .size:           8
        .value_kind:     global_buffer
    .group_segment_fixed_size: 0
    .kernarg_segment_align: 8
    .kernarg_segment_size: 24
    .language:       OpenCL C
    .language_version:
      - 2
      - 0
    .max_flat_workgroup_size: 256
    .name:           _Z18lower_bound_kernelIdEvmPT_Pl
    .private_segment_fixed_size: 0
    .sgpr_count:     18
    .sgpr_spill_count: 0
    .symbol:         _Z18lower_bound_kernelIdEvmPT_Pl.kd
    .uniform_work_group_size: 1
    .uses_dynamic_stack: false
    .vgpr_count:     7
    .vgpr_spill_count: 0
    .wavefront_size: 32
    .workgroup_processor_mode: 1
  - .args:
      - .offset:         0
        .size:           56
        .value_kind:     by_value
    .group_segment_fixed_size: 0
    .kernarg_segment_align: 8
    .kernarg_segment_size: 56
    .language:       OpenCL C
    .language_version:
      - 2
      - 0
    .max_flat_workgroup_size: 64
    .name:           _ZN7rocprim17ROCPRIM_400000_NS6detail17trampoline_kernelINS0_14default_configENS1_27lower_bound_config_selectorIdlEEZNS1_14transform_implILb0ES3_S5_N6thrust23THRUST_200600_302600_NS17counting_iteratorIdNS8_11use_defaultESA_SA_EEPlZNS1_13binary_searchIS3_S5_PdSB_SC_NS1_21lower_bound_search_opENS8_6detail16wrapped_functionI11custom_lessbEEEE10hipError_tPvRmT1_T2_T3_mmT4_T5_P12ihipStream_tbEUlRKdE_EESK_SO_SP_mSQ_ST_bEUlT_E_NS1_11comp_targetILNS1_3genE0ELNS1_11target_archE4294967295ELNS1_3gpuE0ELNS1_3repE0EEENS1_30default_config_static_selectorELNS0_4arch9wavefront6targetE0EEEvSN_
    .private_segment_fixed_size: 0
    .sgpr_count:     0
    .sgpr_spill_count: 0
    .symbol:         _ZN7rocprim17ROCPRIM_400000_NS6detail17trampoline_kernelINS0_14default_configENS1_27lower_bound_config_selectorIdlEEZNS1_14transform_implILb0ES3_S5_N6thrust23THRUST_200600_302600_NS17counting_iteratorIdNS8_11use_defaultESA_SA_EEPlZNS1_13binary_searchIS3_S5_PdSB_SC_NS1_21lower_bound_search_opENS8_6detail16wrapped_functionI11custom_lessbEEEE10hipError_tPvRmT1_T2_T3_mmT4_T5_P12ihipStream_tbEUlRKdE_EESK_SO_SP_mSQ_ST_bEUlT_E_NS1_11comp_targetILNS1_3genE0ELNS1_11target_archE4294967295ELNS1_3gpuE0ELNS1_3repE0EEENS1_30default_config_static_selectorELNS0_4arch9wavefront6targetE0EEEvSN_.kd
    .uniform_work_group_size: 1
    .uses_dynamic_stack: false
    .vgpr_count:     0
    .vgpr_spill_count: 0
    .wavefront_size: 32
    .workgroup_processor_mode: 1
  - .args:
      - .offset:         0
        .size:           56
        .value_kind:     by_value
    .group_segment_fixed_size: 0
    .kernarg_segment_align: 8
    .kernarg_segment_size: 56
    .language:       OpenCL C
    .language_version:
      - 2
      - 0
    .max_flat_workgroup_size: 64
    .name:           _ZN7rocprim17ROCPRIM_400000_NS6detail17trampoline_kernelINS0_14default_configENS1_27lower_bound_config_selectorIdlEEZNS1_14transform_implILb0ES3_S5_N6thrust23THRUST_200600_302600_NS17counting_iteratorIdNS8_11use_defaultESA_SA_EEPlZNS1_13binary_searchIS3_S5_PdSB_SC_NS1_21lower_bound_search_opENS8_6detail16wrapped_functionI11custom_lessbEEEE10hipError_tPvRmT1_T2_T3_mmT4_T5_P12ihipStream_tbEUlRKdE_EESK_SO_SP_mSQ_ST_bEUlT_E_NS1_11comp_targetILNS1_3genE5ELNS1_11target_archE942ELNS1_3gpuE9ELNS1_3repE0EEENS1_30default_config_static_selectorELNS0_4arch9wavefront6targetE0EEEvSN_
    .private_segment_fixed_size: 0
    .sgpr_count:     0
    .sgpr_spill_count: 0
    .symbol:         _ZN7rocprim17ROCPRIM_400000_NS6detail17trampoline_kernelINS0_14default_configENS1_27lower_bound_config_selectorIdlEEZNS1_14transform_implILb0ES3_S5_N6thrust23THRUST_200600_302600_NS17counting_iteratorIdNS8_11use_defaultESA_SA_EEPlZNS1_13binary_searchIS3_S5_PdSB_SC_NS1_21lower_bound_search_opENS8_6detail16wrapped_functionI11custom_lessbEEEE10hipError_tPvRmT1_T2_T3_mmT4_T5_P12ihipStream_tbEUlRKdE_EESK_SO_SP_mSQ_ST_bEUlT_E_NS1_11comp_targetILNS1_3genE5ELNS1_11target_archE942ELNS1_3gpuE9ELNS1_3repE0EEENS1_30default_config_static_selectorELNS0_4arch9wavefront6targetE0EEEvSN_.kd
    .uniform_work_group_size: 1
    .uses_dynamic_stack: false
    .vgpr_count:     0
    .vgpr_spill_count: 0
    .wavefront_size: 32
    .workgroup_processor_mode: 1
  - .args:
      - .offset:         0
        .size:           56
        .value_kind:     by_value
    .group_segment_fixed_size: 0
    .kernarg_segment_align: 8
    .kernarg_segment_size: 56
    .language:       OpenCL C
    .language_version:
      - 2
      - 0
    .max_flat_workgroup_size: 64
    .name:           _ZN7rocprim17ROCPRIM_400000_NS6detail17trampoline_kernelINS0_14default_configENS1_27lower_bound_config_selectorIdlEEZNS1_14transform_implILb0ES3_S5_N6thrust23THRUST_200600_302600_NS17counting_iteratorIdNS8_11use_defaultESA_SA_EEPlZNS1_13binary_searchIS3_S5_PdSB_SC_NS1_21lower_bound_search_opENS8_6detail16wrapped_functionI11custom_lessbEEEE10hipError_tPvRmT1_T2_T3_mmT4_T5_P12ihipStream_tbEUlRKdE_EESK_SO_SP_mSQ_ST_bEUlT_E_NS1_11comp_targetILNS1_3genE4ELNS1_11target_archE910ELNS1_3gpuE8ELNS1_3repE0EEENS1_30default_config_static_selectorELNS0_4arch9wavefront6targetE0EEEvSN_
    .private_segment_fixed_size: 0
    .sgpr_count:     0
    .sgpr_spill_count: 0
    .symbol:         _ZN7rocprim17ROCPRIM_400000_NS6detail17trampoline_kernelINS0_14default_configENS1_27lower_bound_config_selectorIdlEEZNS1_14transform_implILb0ES3_S5_N6thrust23THRUST_200600_302600_NS17counting_iteratorIdNS8_11use_defaultESA_SA_EEPlZNS1_13binary_searchIS3_S5_PdSB_SC_NS1_21lower_bound_search_opENS8_6detail16wrapped_functionI11custom_lessbEEEE10hipError_tPvRmT1_T2_T3_mmT4_T5_P12ihipStream_tbEUlRKdE_EESK_SO_SP_mSQ_ST_bEUlT_E_NS1_11comp_targetILNS1_3genE4ELNS1_11target_archE910ELNS1_3gpuE8ELNS1_3repE0EEENS1_30default_config_static_selectorELNS0_4arch9wavefront6targetE0EEEvSN_.kd
    .uniform_work_group_size: 1
    .uses_dynamic_stack: false
    .vgpr_count:     0
    .vgpr_spill_count: 0
    .wavefront_size: 32
    .workgroup_processor_mode: 1
  - .args:
      - .offset:         0
        .size:           56
        .value_kind:     by_value
    .group_segment_fixed_size: 0
    .kernarg_segment_align: 8
    .kernarg_segment_size: 56
    .language:       OpenCL C
    .language_version:
      - 2
      - 0
    .max_flat_workgroup_size: 64
    .name:           _ZN7rocprim17ROCPRIM_400000_NS6detail17trampoline_kernelINS0_14default_configENS1_27lower_bound_config_selectorIdlEEZNS1_14transform_implILb0ES3_S5_N6thrust23THRUST_200600_302600_NS17counting_iteratorIdNS8_11use_defaultESA_SA_EEPlZNS1_13binary_searchIS3_S5_PdSB_SC_NS1_21lower_bound_search_opENS8_6detail16wrapped_functionI11custom_lessbEEEE10hipError_tPvRmT1_T2_T3_mmT4_T5_P12ihipStream_tbEUlRKdE_EESK_SO_SP_mSQ_ST_bEUlT_E_NS1_11comp_targetILNS1_3genE3ELNS1_11target_archE908ELNS1_3gpuE7ELNS1_3repE0EEENS1_30default_config_static_selectorELNS0_4arch9wavefront6targetE0EEEvSN_
    .private_segment_fixed_size: 0
    .sgpr_count:     0
    .sgpr_spill_count: 0
    .symbol:         _ZN7rocprim17ROCPRIM_400000_NS6detail17trampoline_kernelINS0_14default_configENS1_27lower_bound_config_selectorIdlEEZNS1_14transform_implILb0ES3_S5_N6thrust23THRUST_200600_302600_NS17counting_iteratorIdNS8_11use_defaultESA_SA_EEPlZNS1_13binary_searchIS3_S5_PdSB_SC_NS1_21lower_bound_search_opENS8_6detail16wrapped_functionI11custom_lessbEEEE10hipError_tPvRmT1_T2_T3_mmT4_T5_P12ihipStream_tbEUlRKdE_EESK_SO_SP_mSQ_ST_bEUlT_E_NS1_11comp_targetILNS1_3genE3ELNS1_11target_archE908ELNS1_3gpuE7ELNS1_3repE0EEENS1_30default_config_static_selectorELNS0_4arch9wavefront6targetE0EEEvSN_.kd
    .uniform_work_group_size: 1
    .uses_dynamic_stack: false
    .vgpr_count:     0
    .vgpr_spill_count: 0
    .wavefront_size: 32
    .workgroup_processor_mode: 1
  - .args:
      - .offset:         0
        .size:           56
        .value_kind:     by_value
    .group_segment_fixed_size: 0
    .kernarg_segment_align: 8
    .kernarg_segment_size: 56
    .language:       OpenCL C
    .language_version:
      - 2
      - 0
    .max_flat_workgroup_size: 256
    .name:           _ZN7rocprim17ROCPRIM_400000_NS6detail17trampoline_kernelINS0_14default_configENS1_27lower_bound_config_selectorIdlEEZNS1_14transform_implILb0ES3_S5_N6thrust23THRUST_200600_302600_NS17counting_iteratorIdNS8_11use_defaultESA_SA_EEPlZNS1_13binary_searchIS3_S5_PdSB_SC_NS1_21lower_bound_search_opENS8_6detail16wrapped_functionI11custom_lessbEEEE10hipError_tPvRmT1_T2_T3_mmT4_T5_P12ihipStream_tbEUlRKdE_EESK_SO_SP_mSQ_ST_bEUlT_E_NS1_11comp_targetILNS1_3genE2ELNS1_11target_archE906ELNS1_3gpuE6ELNS1_3repE0EEENS1_30default_config_static_selectorELNS0_4arch9wavefront6targetE0EEEvSN_
    .private_segment_fixed_size: 0
    .sgpr_count:     0
    .sgpr_spill_count: 0
    .symbol:         _ZN7rocprim17ROCPRIM_400000_NS6detail17trampoline_kernelINS0_14default_configENS1_27lower_bound_config_selectorIdlEEZNS1_14transform_implILb0ES3_S5_N6thrust23THRUST_200600_302600_NS17counting_iteratorIdNS8_11use_defaultESA_SA_EEPlZNS1_13binary_searchIS3_S5_PdSB_SC_NS1_21lower_bound_search_opENS8_6detail16wrapped_functionI11custom_lessbEEEE10hipError_tPvRmT1_T2_T3_mmT4_T5_P12ihipStream_tbEUlRKdE_EESK_SO_SP_mSQ_ST_bEUlT_E_NS1_11comp_targetILNS1_3genE2ELNS1_11target_archE906ELNS1_3gpuE6ELNS1_3repE0EEENS1_30default_config_static_selectorELNS0_4arch9wavefront6targetE0EEEvSN_.kd
    .uniform_work_group_size: 1
    .uses_dynamic_stack: false
    .vgpr_count:     0
    .vgpr_spill_count: 0
    .wavefront_size: 32
    .workgroup_processor_mode: 1
  - .args:
      - .offset:         0
        .size:           56
        .value_kind:     by_value
    .group_segment_fixed_size: 0
    .kernarg_segment_align: 8
    .kernarg_segment_size: 56
    .language:       OpenCL C
    .language_version:
      - 2
      - 0
    .max_flat_workgroup_size: 128
    .name:           _ZN7rocprim17ROCPRIM_400000_NS6detail17trampoline_kernelINS0_14default_configENS1_27lower_bound_config_selectorIdlEEZNS1_14transform_implILb0ES3_S5_N6thrust23THRUST_200600_302600_NS17counting_iteratorIdNS8_11use_defaultESA_SA_EEPlZNS1_13binary_searchIS3_S5_PdSB_SC_NS1_21lower_bound_search_opENS8_6detail16wrapped_functionI11custom_lessbEEEE10hipError_tPvRmT1_T2_T3_mmT4_T5_P12ihipStream_tbEUlRKdE_EESK_SO_SP_mSQ_ST_bEUlT_E_NS1_11comp_targetILNS1_3genE10ELNS1_11target_archE1201ELNS1_3gpuE5ELNS1_3repE0EEENS1_30default_config_static_selectorELNS0_4arch9wavefront6targetE0EEEvSN_
    .private_segment_fixed_size: 0
    .sgpr_count:     0
    .sgpr_spill_count: 0
    .symbol:         _ZN7rocprim17ROCPRIM_400000_NS6detail17trampoline_kernelINS0_14default_configENS1_27lower_bound_config_selectorIdlEEZNS1_14transform_implILb0ES3_S5_N6thrust23THRUST_200600_302600_NS17counting_iteratorIdNS8_11use_defaultESA_SA_EEPlZNS1_13binary_searchIS3_S5_PdSB_SC_NS1_21lower_bound_search_opENS8_6detail16wrapped_functionI11custom_lessbEEEE10hipError_tPvRmT1_T2_T3_mmT4_T5_P12ihipStream_tbEUlRKdE_EESK_SO_SP_mSQ_ST_bEUlT_E_NS1_11comp_targetILNS1_3genE10ELNS1_11target_archE1201ELNS1_3gpuE5ELNS1_3repE0EEENS1_30default_config_static_selectorELNS0_4arch9wavefront6targetE0EEEvSN_.kd
    .uniform_work_group_size: 1
    .uses_dynamic_stack: false
    .vgpr_count:     0
    .vgpr_spill_count: 0
    .wavefront_size: 32
    .workgroup_processor_mode: 1
  - .args:
      - .offset:         0
        .size:           56
        .value_kind:     by_value
    .group_segment_fixed_size: 0
    .kernarg_segment_align: 8
    .kernarg_segment_size: 56
    .language:       OpenCL C
    .language_version:
      - 2
      - 0
    .max_flat_workgroup_size: 128
    .name:           _ZN7rocprim17ROCPRIM_400000_NS6detail17trampoline_kernelINS0_14default_configENS1_27lower_bound_config_selectorIdlEEZNS1_14transform_implILb0ES3_S5_N6thrust23THRUST_200600_302600_NS17counting_iteratorIdNS8_11use_defaultESA_SA_EEPlZNS1_13binary_searchIS3_S5_PdSB_SC_NS1_21lower_bound_search_opENS8_6detail16wrapped_functionI11custom_lessbEEEE10hipError_tPvRmT1_T2_T3_mmT4_T5_P12ihipStream_tbEUlRKdE_EESK_SO_SP_mSQ_ST_bEUlT_E_NS1_11comp_targetILNS1_3genE10ELNS1_11target_archE1200ELNS1_3gpuE4ELNS1_3repE0EEENS1_30default_config_static_selectorELNS0_4arch9wavefront6targetE0EEEvSN_
    .private_segment_fixed_size: 0
    .sgpr_count:     0
    .sgpr_spill_count: 0
    .symbol:         _ZN7rocprim17ROCPRIM_400000_NS6detail17trampoline_kernelINS0_14default_configENS1_27lower_bound_config_selectorIdlEEZNS1_14transform_implILb0ES3_S5_N6thrust23THRUST_200600_302600_NS17counting_iteratorIdNS8_11use_defaultESA_SA_EEPlZNS1_13binary_searchIS3_S5_PdSB_SC_NS1_21lower_bound_search_opENS8_6detail16wrapped_functionI11custom_lessbEEEE10hipError_tPvRmT1_T2_T3_mmT4_T5_P12ihipStream_tbEUlRKdE_EESK_SO_SP_mSQ_ST_bEUlT_E_NS1_11comp_targetILNS1_3genE10ELNS1_11target_archE1200ELNS1_3gpuE4ELNS1_3repE0EEENS1_30default_config_static_selectorELNS0_4arch9wavefront6targetE0EEEvSN_.kd
    .uniform_work_group_size: 1
    .uses_dynamic_stack: false
    .vgpr_count:     0
    .vgpr_spill_count: 0
    .wavefront_size: 32
    .workgroup_processor_mode: 1
  - .args:
      - .offset:         0
        .size:           56
        .value_kind:     by_value
      - .offset:         56
        .size:           4
        .value_kind:     hidden_block_count_x
      - .offset:         60
        .size:           4
        .value_kind:     hidden_block_count_y
      - .offset:         64
        .size:           4
        .value_kind:     hidden_block_count_z
      - .offset:         68
        .size:           2
        .value_kind:     hidden_group_size_x
      - .offset:         70
        .size:           2
        .value_kind:     hidden_group_size_y
      - .offset:         72
        .size:           2
        .value_kind:     hidden_group_size_z
      - .offset:         74
        .size:           2
        .value_kind:     hidden_remainder_x
      - .offset:         76
        .size:           2
        .value_kind:     hidden_remainder_y
      - .offset:         78
        .size:           2
        .value_kind:     hidden_remainder_z
      - .offset:         96
        .size:           8
        .value_kind:     hidden_global_offset_x
      - .offset:         104
        .size:           8
        .value_kind:     hidden_global_offset_y
      - .offset:         112
        .size:           8
        .value_kind:     hidden_global_offset_z
      - .offset:         120
        .size:           2
        .value_kind:     hidden_grid_dims
    .group_segment_fixed_size: 0
    .kernarg_segment_align: 8
    .kernarg_segment_size: 312
    .language:       OpenCL C
    .language_version:
      - 2
      - 0
    .max_flat_workgroup_size: 256
    .name:           _ZN7rocprim17ROCPRIM_400000_NS6detail17trampoline_kernelINS0_14default_configENS1_27lower_bound_config_selectorIdlEEZNS1_14transform_implILb0ES3_S5_N6thrust23THRUST_200600_302600_NS17counting_iteratorIdNS8_11use_defaultESA_SA_EEPlZNS1_13binary_searchIS3_S5_PdSB_SC_NS1_21lower_bound_search_opENS8_6detail16wrapped_functionI11custom_lessbEEEE10hipError_tPvRmT1_T2_T3_mmT4_T5_P12ihipStream_tbEUlRKdE_EESK_SO_SP_mSQ_ST_bEUlT_E_NS1_11comp_targetILNS1_3genE9ELNS1_11target_archE1100ELNS1_3gpuE3ELNS1_3repE0EEENS1_30default_config_static_selectorELNS0_4arch9wavefront6targetE0EEEvSN_
    .private_segment_fixed_size: 0
    .sgpr_count:     18
    .sgpr_spill_count: 0
    .symbol:         _ZN7rocprim17ROCPRIM_400000_NS6detail17trampoline_kernelINS0_14default_configENS1_27lower_bound_config_selectorIdlEEZNS1_14transform_implILb0ES3_S5_N6thrust23THRUST_200600_302600_NS17counting_iteratorIdNS8_11use_defaultESA_SA_EEPlZNS1_13binary_searchIS3_S5_PdSB_SC_NS1_21lower_bound_search_opENS8_6detail16wrapped_functionI11custom_lessbEEEE10hipError_tPvRmT1_T2_T3_mmT4_T5_P12ihipStream_tbEUlRKdE_EESK_SO_SP_mSQ_ST_bEUlT_E_NS1_11comp_targetILNS1_3genE9ELNS1_11target_archE1100ELNS1_3gpuE3ELNS1_3repE0EEENS1_30default_config_static_selectorELNS0_4arch9wavefront6targetE0EEEvSN_.kd
    .uniform_work_group_size: 1
    .uses_dynamic_stack: false
    .vgpr_count:     13
    .vgpr_spill_count: 0
    .wavefront_size: 32
    .workgroup_processor_mode: 1
  - .args:
      - .offset:         0
        .size:           56
        .value_kind:     by_value
    .group_segment_fixed_size: 0
    .kernarg_segment_align: 8
    .kernarg_segment_size: 56
    .language:       OpenCL C
    .language_version:
      - 2
      - 0
    .max_flat_workgroup_size: 256
    .name:           _ZN7rocprim17ROCPRIM_400000_NS6detail17trampoline_kernelINS0_14default_configENS1_27lower_bound_config_selectorIdlEEZNS1_14transform_implILb0ES3_S5_N6thrust23THRUST_200600_302600_NS17counting_iteratorIdNS8_11use_defaultESA_SA_EEPlZNS1_13binary_searchIS3_S5_PdSB_SC_NS1_21lower_bound_search_opENS8_6detail16wrapped_functionI11custom_lessbEEEE10hipError_tPvRmT1_T2_T3_mmT4_T5_P12ihipStream_tbEUlRKdE_EESK_SO_SP_mSQ_ST_bEUlT_E_NS1_11comp_targetILNS1_3genE8ELNS1_11target_archE1030ELNS1_3gpuE2ELNS1_3repE0EEENS1_30default_config_static_selectorELNS0_4arch9wavefront6targetE0EEEvSN_
    .private_segment_fixed_size: 0
    .sgpr_count:     0
    .sgpr_spill_count: 0
    .symbol:         _ZN7rocprim17ROCPRIM_400000_NS6detail17trampoline_kernelINS0_14default_configENS1_27lower_bound_config_selectorIdlEEZNS1_14transform_implILb0ES3_S5_N6thrust23THRUST_200600_302600_NS17counting_iteratorIdNS8_11use_defaultESA_SA_EEPlZNS1_13binary_searchIS3_S5_PdSB_SC_NS1_21lower_bound_search_opENS8_6detail16wrapped_functionI11custom_lessbEEEE10hipError_tPvRmT1_T2_T3_mmT4_T5_P12ihipStream_tbEUlRKdE_EESK_SO_SP_mSQ_ST_bEUlT_E_NS1_11comp_targetILNS1_3genE8ELNS1_11target_archE1030ELNS1_3gpuE2ELNS1_3repE0EEENS1_30default_config_static_selectorELNS0_4arch9wavefront6targetE0EEEvSN_.kd
    .uniform_work_group_size: 1
    .uses_dynamic_stack: false
    .vgpr_count:     0
    .vgpr_spill_count: 0
    .wavefront_size: 32
    .workgroup_processor_mode: 1
  - .args:
      - .offset:         0
        .size:           16
        .value_kind:     by_value
      - .offset:         16
        .size:           8
        .value_kind:     by_value
      - .offset:         24
        .size:           8
        .value_kind:     by_value
    .group_segment_fixed_size: 0
    .kernarg_segment_align: 8
    .kernarg_segment_size: 32
    .language:       OpenCL C
    .language_version:
      - 2
      - 0
    .max_flat_workgroup_size: 256
    .name:           _ZN6thrust23THRUST_200600_302600_NS11hip_rocprim14__parallel_for6kernelILj256ENS1_20__uninitialized_fill7functorINS0_10device_ptrIfEEfEEmLj1EEEvT0_T1_SA_
    .private_segment_fixed_size: 0
    .sgpr_count:     18
    .sgpr_spill_count: 0
    .symbol:         _ZN6thrust23THRUST_200600_302600_NS11hip_rocprim14__parallel_for6kernelILj256ENS1_20__uninitialized_fill7functorINS0_10device_ptrIfEEfEEmLj1EEEvT0_T1_SA_.kd
    .uniform_work_group_size: 1
    .uses_dynamic_stack: false
    .vgpr_count:     3
    .vgpr_spill_count: 0
    .wavefront_size: 32
    .workgroup_processor_mode: 1
  - .args:
      - .offset:         0
        .size:           8
        .value_kind:     by_value
      - .address_space:  global
        .offset:         8
        .size:           8
        .value_kind:     global_buffer
      - .address_space:  global
        .offset:         16
        .size:           8
        .value_kind:     global_buffer
    .group_segment_fixed_size: 0
    .kernarg_segment_align: 8
    .kernarg_segment_size: 24
    .language:       OpenCL C
    .language_version:
      - 2
      - 0
    .max_flat_workgroup_size: 256
    .name:           _Z18lower_bound_kernelIfEvmPT_Pl
    .private_segment_fixed_size: 0
    .sgpr_count:     18
    .sgpr_spill_count: 0
    .symbol:         _Z18lower_bound_kernelIfEvmPT_Pl.kd
    .uniform_work_group_size: 1
    .uses_dynamic_stack: false
    .vgpr_count:     6
    .vgpr_spill_count: 0
    .wavefront_size: 32
    .workgroup_processor_mode: 1
  - .args:
      - .offset:         0
        .size:           56
        .value_kind:     by_value
    .group_segment_fixed_size: 0
    .kernarg_segment_align: 8
    .kernarg_segment_size: 56
    .language:       OpenCL C
    .language_version:
      - 2
      - 0
    .max_flat_workgroup_size: 256
    .name:           _ZN7rocprim17ROCPRIM_400000_NS6detail17trampoline_kernelINS0_14default_configENS1_27lower_bound_config_selectorIflEEZNS1_14transform_implILb0ES3_S5_N6thrust23THRUST_200600_302600_NS17counting_iteratorIfNS8_11use_defaultESA_SA_EEPlZNS1_13binary_searchIS3_S5_PfSB_SC_NS1_21lower_bound_search_opENS8_6detail16wrapped_functionI11custom_lessbEEEE10hipError_tPvRmT1_T2_T3_mmT4_T5_P12ihipStream_tbEUlRKfE_EESK_SO_SP_mSQ_ST_bEUlT_E_NS1_11comp_targetILNS1_3genE0ELNS1_11target_archE4294967295ELNS1_3gpuE0ELNS1_3repE0EEENS1_30default_config_static_selectorELNS0_4arch9wavefront6targetE0EEEvSN_
    .private_segment_fixed_size: 0
    .sgpr_count:     0
    .sgpr_spill_count: 0
    .symbol:         _ZN7rocprim17ROCPRIM_400000_NS6detail17trampoline_kernelINS0_14default_configENS1_27lower_bound_config_selectorIflEEZNS1_14transform_implILb0ES3_S5_N6thrust23THRUST_200600_302600_NS17counting_iteratorIfNS8_11use_defaultESA_SA_EEPlZNS1_13binary_searchIS3_S5_PfSB_SC_NS1_21lower_bound_search_opENS8_6detail16wrapped_functionI11custom_lessbEEEE10hipError_tPvRmT1_T2_T3_mmT4_T5_P12ihipStream_tbEUlRKfE_EESK_SO_SP_mSQ_ST_bEUlT_E_NS1_11comp_targetILNS1_3genE0ELNS1_11target_archE4294967295ELNS1_3gpuE0ELNS1_3repE0EEENS1_30default_config_static_selectorELNS0_4arch9wavefront6targetE0EEEvSN_.kd
    .uniform_work_group_size: 1
    .uses_dynamic_stack: false
    .vgpr_count:     0
    .vgpr_spill_count: 0
    .wavefront_size: 32
    .workgroup_processor_mode: 1
  - .args:
      - .offset:         0
        .size:           56
        .value_kind:     by_value
    .group_segment_fixed_size: 0
    .kernarg_segment_align: 8
    .kernarg_segment_size: 56
    .language:       OpenCL C
    .language_version:
      - 2
      - 0
    .max_flat_workgroup_size: 256
    .name:           _ZN7rocprim17ROCPRIM_400000_NS6detail17trampoline_kernelINS0_14default_configENS1_27lower_bound_config_selectorIflEEZNS1_14transform_implILb0ES3_S5_N6thrust23THRUST_200600_302600_NS17counting_iteratorIfNS8_11use_defaultESA_SA_EEPlZNS1_13binary_searchIS3_S5_PfSB_SC_NS1_21lower_bound_search_opENS8_6detail16wrapped_functionI11custom_lessbEEEE10hipError_tPvRmT1_T2_T3_mmT4_T5_P12ihipStream_tbEUlRKfE_EESK_SO_SP_mSQ_ST_bEUlT_E_NS1_11comp_targetILNS1_3genE5ELNS1_11target_archE942ELNS1_3gpuE9ELNS1_3repE0EEENS1_30default_config_static_selectorELNS0_4arch9wavefront6targetE0EEEvSN_
    .private_segment_fixed_size: 0
    .sgpr_count:     0
    .sgpr_spill_count: 0
    .symbol:         _ZN7rocprim17ROCPRIM_400000_NS6detail17trampoline_kernelINS0_14default_configENS1_27lower_bound_config_selectorIflEEZNS1_14transform_implILb0ES3_S5_N6thrust23THRUST_200600_302600_NS17counting_iteratorIfNS8_11use_defaultESA_SA_EEPlZNS1_13binary_searchIS3_S5_PfSB_SC_NS1_21lower_bound_search_opENS8_6detail16wrapped_functionI11custom_lessbEEEE10hipError_tPvRmT1_T2_T3_mmT4_T5_P12ihipStream_tbEUlRKfE_EESK_SO_SP_mSQ_ST_bEUlT_E_NS1_11comp_targetILNS1_3genE5ELNS1_11target_archE942ELNS1_3gpuE9ELNS1_3repE0EEENS1_30default_config_static_selectorELNS0_4arch9wavefront6targetE0EEEvSN_.kd
    .uniform_work_group_size: 1
    .uses_dynamic_stack: false
    .vgpr_count:     0
    .vgpr_spill_count: 0
    .wavefront_size: 32
    .workgroup_processor_mode: 1
  - .args:
      - .offset:         0
        .size:           56
        .value_kind:     by_value
    .group_segment_fixed_size: 0
    .kernarg_segment_align: 8
    .kernarg_segment_size: 56
    .language:       OpenCL C
    .language_version:
      - 2
      - 0
    .max_flat_workgroup_size: 256
    .name:           _ZN7rocprim17ROCPRIM_400000_NS6detail17trampoline_kernelINS0_14default_configENS1_27lower_bound_config_selectorIflEEZNS1_14transform_implILb0ES3_S5_N6thrust23THRUST_200600_302600_NS17counting_iteratorIfNS8_11use_defaultESA_SA_EEPlZNS1_13binary_searchIS3_S5_PfSB_SC_NS1_21lower_bound_search_opENS8_6detail16wrapped_functionI11custom_lessbEEEE10hipError_tPvRmT1_T2_T3_mmT4_T5_P12ihipStream_tbEUlRKfE_EESK_SO_SP_mSQ_ST_bEUlT_E_NS1_11comp_targetILNS1_3genE4ELNS1_11target_archE910ELNS1_3gpuE8ELNS1_3repE0EEENS1_30default_config_static_selectorELNS0_4arch9wavefront6targetE0EEEvSN_
    .private_segment_fixed_size: 0
    .sgpr_count:     0
    .sgpr_spill_count: 0
    .symbol:         _ZN7rocprim17ROCPRIM_400000_NS6detail17trampoline_kernelINS0_14default_configENS1_27lower_bound_config_selectorIflEEZNS1_14transform_implILb0ES3_S5_N6thrust23THRUST_200600_302600_NS17counting_iteratorIfNS8_11use_defaultESA_SA_EEPlZNS1_13binary_searchIS3_S5_PfSB_SC_NS1_21lower_bound_search_opENS8_6detail16wrapped_functionI11custom_lessbEEEE10hipError_tPvRmT1_T2_T3_mmT4_T5_P12ihipStream_tbEUlRKfE_EESK_SO_SP_mSQ_ST_bEUlT_E_NS1_11comp_targetILNS1_3genE4ELNS1_11target_archE910ELNS1_3gpuE8ELNS1_3repE0EEENS1_30default_config_static_selectorELNS0_4arch9wavefront6targetE0EEEvSN_.kd
    .uniform_work_group_size: 1
    .uses_dynamic_stack: false
    .vgpr_count:     0
    .vgpr_spill_count: 0
    .wavefront_size: 32
    .workgroup_processor_mode: 1
  - .args:
      - .offset:         0
        .size:           56
        .value_kind:     by_value
    .group_segment_fixed_size: 0
    .kernarg_segment_align: 8
    .kernarg_segment_size: 56
    .language:       OpenCL C
    .language_version:
      - 2
      - 0
    .max_flat_workgroup_size: 256
    .name:           _ZN7rocprim17ROCPRIM_400000_NS6detail17trampoline_kernelINS0_14default_configENS1_27lower_bound_config_selectorIflEEZNS1_14transform_implILb0ES3_S5_N6thrust23THRUST_200600_302600_NS17counting_iteratorIfNS8_11use_defaultESA_SA_EEPlZNS1_13binary_searchIS3_S5_PfSB_SC_NS1_21lower_bound_search_opENS8_6detail16wrapped_functionI11custom_lessbEEEE10hipError_tPvRmT1_T2_T3_mmT4_T5_P12ihipStream_tbEUlRKfE_EESK_SO_SP_mSQ_ST_bEUlT_E_NS1_11comp_targetILNS1_3genE3ELNS1_11target_archE908ELNS1_3gpuE7ELNS1_3repE0EEENS1_30default_config_static_selectorELNS0_4arch9wavefront6targetE0EEEvSN_
    .private_segment_fixed_size: 0
    .sgpr_count:     0
    .sgpr_spill_count: 0
    .symbol:         _ZN7rocprim17ROCPRIM_400000_NS6detail17trampoline_kernelINS0_14default_configENS1_27lower_bound_config_selectorIflEEZNS1_14transform_implILb0ES3_S5_N6thrust23THRUST_200600_302600_NS17counting_iteratorIfNS8_11use_defaultESA_SA_EEPlZNS1_13binary_searchIS3_S5_PfSB_SC_NS1_21lower_bound_search_opENS8_6detail16wrapped_functionI11custom_lessbEEEE10hipError_tPvRmT1_T2_T3_mmT4_T5_P12ihipStream_tbEUlRKfE_EESK_SO_SP_mSQ_ST_bEUlT_E_NS1_11comp_targetILNS1_3genE3ELNS1_11target_archE908ELNS1_3gpuE7ELNS1_3repE0EEENS1_30default_config_static_selectorELNS0_4arch9wavefront6targetE0EEEvSN_.kd
    .uniform_work_group_size: 1
    .uses_dynamic_stack: false
    .vgpr_count:     0
    .vgpr_spill_count: 0
    .wavefront_size: 32
    .workgroup_processor_mode: 1
  - .args:
      - .offset:         0
        .size:           56
        .value_kind:     by_value
    .group_segment_fixed_size: 0
    .kernarg_segment_align: 8
    .kernarg_segment_size: 56
    .language:       OpenCL C
    .language_version:
      - 2
      - 0
    .max_flat_workgroup_size: 256
    .name:           _ZN7rocprim17ROCPRIM_400000_NS6detail17trampoline_kernelINS0_14default_configENS1_27lower_bound_config_selectorIflEEZNS1_14transform_implILb0ES3_S5_N6thrust23THRUST_200600_302600_NS17counting_iteratorIfNS8_11use_defaultESA_SA_EEPlZNS1_13binary_searchIS3_S5_PfSB_SC_NS1_21lower_bound_search_opENS8_6detail16wrapped_functionI11custom_lessbEEEE10hipError_tPvRmT1_T2_T3_mmT4_T5_P12ihipStream_tbEUlRKfE_EESK_SO_SP_mSQ_ST_bEUlT_E_NS1_11comp_targetILNS1_3genE2ELNS1_11target_archE906ELNS1_3gpuE6ELNS1_3repE0EEENS1_30default_config_static_selectorELNS0_4arch9wavefront6targetE0EEEvSN_
    .private_segment_fixed_size: 0
    .sgpr_count:     0
    .sgpr_spill_count: 0
    .symbol:         _ZN7rocprim17ROCPRIM_400000_NS6detail17trampoline_kernelINS0_14default_configENS1_27lower_bound_config_selectorIflEEZNS1_14transform_implILb0ES3_S5_N6thrust23THRUST_200600_302600_NS17counting_iteratorIfNS8_11use_defaultESA_SA_EEPlZNS1_13binary_searchIS3_S5_PfSB_SC_NS1_21lower_bound_search_opENS8_6detail16wrapped_functionI11custom_lessbEEEE10hipError_tPvRmT1_T2_T3_mmT4_T5_P12ihipStream_tbEUlRKfE_EESK_SO_SP_mSQ_ST_bEUlT_E_NS1_11comp_targetILNS1_3genE2ELNS1_11target_archE906ELNS1_3gpuE6ELNS1_3repE0EEENS1_30default_config_static_selectorELNS0_4arch9wavefront6targetE0EEEvSN_.kd
    .uniform_work_group_size: 1
    .uses_dynamic_stack: false
    .vgpr_count:     0
    .vgpr_spill_count: 0
    .wavefront_size: 32
    .workgroup_processor_mode: 1
  - .args:
      - .offset:         0
        .size:           56
        .value_kind:     by_value
    .group_segment_fixed_size: 0
    .kernarg_segment_align: 8
    .kernarg_segment_size: 56
    .language:       OpenCL C
    .language_version:
      - 2
      - 0
    .max_flat_workgroup_size: 128
    .name:           _ZN7rocprim17ROCPRIM_400000_NS6detail17trampoline_kernelINS0_14default_configENS1_27lower_bound_config_selectorIflEEZNS1_14transform_implILb0ES3_S5_N6thrust23THRUST_200600_302600_NS17counting_iteratorIfNS8_11use_defaultESA_SA_EEPlZNS1_13binary_searchIS3_S5_PfSB_SC_NS1_21lower_bound_search_opENS8_6detail16wrapped_functionI11custom_lessbEEEE10hipError_tPvRmT1_T2_T3_mmT4_T5_P12ihipStream_tbEUlRKfE_EESK_SO_SP_mSQ_ST_bEUlT_E_NS1_11comp_targetILNS1_3genE10ELNS1_11target_archE1201ELNS1_3gpuE5ELNS1_3repE0EEENS1_30default_config_static_selectorELNS0_4arch9wavefront6targetE0EEEvSN_
    .private_segment_fixed_size: 0
    .sgpr_count:     0
    .sgpr_spill_count: 0
    .symbol:         _ZN7rocprim17ROCPRIM_400000_NS6detail17trampoline_kernelINS0_14default_configENS1_27lower_bound_config_selectorIflEEZNS1_14transform_implILb0ES3_S5_N6thrust23THRUST_200600_302600_NS17counting_iteratorIfNS8_11use_defaultESA_SA_EEPlZNS1_13binary_searchIS3_S5_PfSB_SC_NS1_21lower_bound_search_opENS8_6detail16wrapped_functionI11custom_lessbEEEE10hipError_tPvRmT1_T2_T3_mmT4_T5_P12ihipStream_tbEUlRKfE_EESK_SO_SP_mSQ_ST_bEUlT_E_NS1_11comp_targetILNS1_3genE10ELNS1_11target_archE1201ELNS1_3gpuE5ELNS1_3repE0EEENS1_30default_config_static_selectorELNS0_4arch9wavefront6targetE0EEEvSN_.kd
    .uniform_work_group_size: 1
    .uses_dynamic_stack: false
    .vgpr_count:     0
    .vgpr_spill_count: 0
    .wavefront_size: 32
    .workgroup_processor_mode: 1
  - .args:
      - .offset:         0
        .size:           56
        .value_kind:     by_value
    .group_segment_fixed_size: 0
    .kernarg_segment_align: 8
    .kernarg_segment_size: 56
    .language:       OpenCL C
    .language_version:
      - 2
      - 0
    .max_flat_workgroup_size: 128
    .name:           _ZN7rocprim17ROCPRIM_400000_NS6detail17trampoline_kernelINS0_14default_configENS1_27lower_bound_config_selectorIflEEZNS1_14transform_implILb0ES3_S5_N6thrust23THRUST_200600_302600_NS17counting_iteratorIfNS8_11use_defaultESA_SA_EEPlZNS1_13binary_searchIS3_S5_PfSB_SC_NS1_21lower_bound_search_opENS8_6detail16wrapped_functionI11custom_lessbEEEE10hipError_tPvRmT1_T2_T3_mmT4_T5_P12ihipStream_tbEUlRKfE_EESK_SO_SP_mSQ_ST_bEUlT_E_NS1_11comp_targetILNS1_3genE10ELNS1_11target_archE1200ELNS1_3gpuE4ELNS1_3repE0EEENS1_30default_config_static_selectorELNS0_4arch9wavefront6targetE0EEEvSN_
    .private_segment_fixed_size: 0
    .sgpr_count:     0
    .sgpr_spill_count: 0
    .symbol:         _ZN7rocprim17ROCPRIM_400000_NS6detail17trampoline_kernelINS0_14default_configENS1_27lower_bound_config_selectorIflEEZNS1_14transform_implILb0ES3_S5_N6thrust23THRUST_200600_302600_NS17counting_iteratorIfNS8_11use_defaultESA_SA_EEPlZNS1_13binary_searchIS3_S5_PfSB_SC_NS1_21lower_bound_search_opENS8_6detail16wrapped_functionI11custom_lessbEEEE10hipError_tPvRmT1_T2_T3_mmT4_T5_P12ihipStream_tbEUlRKfE_EESK_SO_SP_mSQ_ST_bEUlT_E_NS1_11comp_targetILNS1_3genE10ELNS1_11target_archE1200ELNS1_3gpuE4ELNS1_3repE0EEENS1_30default_config_static_selectorELNS0_4arch9wavefront6targetE0EEEvSN_.kd
    .uniform_work_group_size: 1
    .uses_dynamic_stack: false
    .vgpr_count:     0
    .vgpr_spill_count: 0
    .wavefront_size: 32
    .workgroup_processor_mode: 1
  - .args:
      - .offset:         0
        .size:           56
        .value_kind:     by_value
      - .offset:         56
        .size:           4
        .value_kind:     hidden_block_count_x
      - .offset:         60
        .size:           4
        .value_kind:     hidden_block_count_y
      - .offset:         64
        .size:           4
        .value_kind:     hidden_block_count_z
      - .offset:         68
        .size:           2
        .value_kind:     hidden_group_size_x
      - .offset:         70
        .size:           2
        .value_kind:     hidden_group_size_y
      - .offset:         72
        .size:           2
        .value_kind:     hidden_group_size_z
      - .offset:         74
        .size:           2
        .value_kind:     hidden_remainder_x
      - .offset:         76
        .size:           2
        .value_kind:     hidden_remainder_y
      - .offset:         78
        .size:           2
        .value_kind:     hidden_remainder_z
      - .offset:         96
        .size:           8
        .value_kind:     hidden_global_offset_x
      - .offset:         104
        .size:           8
        .value_kind:     hidden_global_offset_y
      - .offset:         112
        .size:           8
        .value_kind:     hidden_global_offset_z
      - .offset:         120
        .size:           2
        .value_kind:     hidden_grid_dims
    .group_segment_fixed_size: 0
    .kernarg_segment_align: 8
    .kernarg_segment_size: 312
    .language:       OpenCL C
    .language_version:
      - 2
      - 0
    .max_flat_workgroup_size: 256
    .name:           _ZN7rocprim17ROCPRIM_400000_NS6detail17trampoline_kernelINS0_14default_configENS1_27lower_bound_config_selectorIflEEZNS1_14transform_implILb0ES3_S5_N6thrust23THRUST_200600_302600_NS17counting_iteratorIfNS8_11use_defaultESA_SA_EEPlZNS1_13binary_searchIS3_S5_PfSB_SC_NS1_21lower_bound_search_opENS8_6detail16wrapped_functionI11custom_lessbEEEE10hipError_tPvRmT1_T2_T3_mmT4_T5_P12ihipStream_tbEUlRKfE_EESK_SO_SP_mSQ_ST_bEUlT_E_NS1_11comp_targetILNS1_3genE9ELNS1_11target_archE1100ELNS1_3gpuE3ELNS1_3repE0EEENS1_30default_config_static_selectorELNS0_4arch9wavefront6targetE0EEEvSN_
    .private_segment_fixed_size: 0
    .sgpr_count:     18
    .sgpr_spill_count: 0
    .symbol:         _ZN7rocprim17ROCPRIM_400000_NS6detail17trampoline_kernelINS0_14default_configENS1_27lower_bound_config_selectorIflEEZNS1_14transform_implILb0ES3_S5_N6thrust23THRUST_200600_302600_NS17counting_iteratorIfNS8_11use_defaultESA_SA_EEPlZNS1_13binary_searchIS3_S5_PfSB_SC_NS1_21lower_bound_search_opENS8_6detail16wrapped_functionI11custom_lessbEEEE10hipError_tPvRmT1_T2_T3_mmT4_T5_P12ihipStream_tbEUlRKfE_EESK_SO_SP_mSQ_ST_bEUlT_E_NS1_11comp_targetILNS1_3genE9ELNS1_11target_archE1100ELNS1_3gpuE3ELNS1_3repE0EEENS1_30default_config_static_selectorELNS0_4arch9wavefront6targetE0EEEvSN_.kd
    .uniform_work_group_size: 1
    .uses_dynamic_stack: false
    .vgpr_count:     12
    .vgpr_spill_count: 0
    .wavefront_size: 32
    .workgroup_processor_mode: 1
  - .args:
      - .offset:         0
        .size:           56
        .value_kind:     by_value
    .group_segment_fixed_size: 0
    .kernarg_segment_align: 8
    .kernarg_segment_size: 56
    .language:       OpenCL C
    .language_version:
      - 2
      - 0
    .max_flat_workgroup_size: 256
    .name:           _ZN7rocprim17ROCPRIM_400000_NS6detail17trampoline_kernelINS0_14default_configENS1_27lower_bound_config_selectorIflEEZNS1_14transform_implILb0ES3_S5_N6thrust23THRUST_200600_302600_NS17counting_iteratorIfNS8_11use_defaultESA_SA_EEPlZNS1_13binary_searchIS3_S5_PfSB_SC_NS1_21lower_bound_search_opENS8_6detail16wrapped_functionI11custom_lessbEEEE10hipError_tPvRmT1_T2_T3_mmT4_T5_P12ihipStream_tbEUlRKfE_EESK_SO_SP_mSQ_ST_bEUlT_E_NS1_11comp_targetILNS1_3genE8ELNS1_11target_archE1030ELNS1_3gpuE2ELNS1_3repE0EEENS1_30default_config_static_selectorELNS0_4arch9wavefront6targetE0EEEvSN_
    .private_segment_fixed_size: 0
    .sgpr_count:     0
    .sgpr_spill_count: 0
    .symbol:         _ZN7rocprim17ROCPRIM_400000_NS6detail17trampoline_kernelINS0_14default_configENS1_27lower_bound_config_selectorIflEEZNS1_14transform_implILb0ES3_S5_N6thrust23THRUST_200600_302600_NS17counting_iteratorIfNS8_11use_defaultESA_SA_EEPlZNS1_13binary_searchIS3_S5_PfSB_SC_NS1_21lower_bound_search_opENS8_6detail16wrapped_functionI11custom_lessbEEEE10hipError_tPvRmT1_T2_T3_mmT4_T5_P12ihipStream_tbEUlRKfE_EESK_SO_SP_mSQ_ST_bEUlT_E_NS1_11comp_targetILNS1_3genE8ELNS1_11target_archE1030ELNS1_3gpuE2ELNS1_3repE0EEENS1_30default_config_static_selectorELNS0_4arch9wavefront6targetE0EEEvSN_.kd
    .uniform_work_group_size: 1
    .uses_dynamic_stack: false
    .vgpr_count:     0
    .vgpr_spill_count: 0
    .wavefront_size: 32
    .workgroup_processor_mode: 1
  - .args:
      - .offset:         0
        .size:           16
        .value_kind:     by_value
      - .offset:         16
        .size:           8
        .value_kind:     by_value
      - .offset:         24
        .size:           8
        .value_kind:     by_value
    .group_segment_fixed_size: 0
    .kernarg_segment_align: 8
    .kernarg_segment_size: 32
    .language:       OpenCL C
    .language_version:
      - 2
      - 0
    .max_flat_workgroup_size: 256
    .name:           _ZN6thrust23THRUST_200600_302600_NS11hip_rocprim14__parallel_for6kernelILj256ENS1_20__uninitialized_fill7functorINS0_10device_ptrIyEEyEEmLj1EEEvT0_T1_SA_
    .private_segment_fixed_size: 0
    .sgpr_count:     18
    .sgpr_spill_count: 0
    .symbol:         _ZN6thrust23THRUST_200600_302600_NS11hip_rocprim14__parallel_for6kernelILj256ENS1_20__uninitialized_fill7functorINS0_10device_ptrIyEEyEEmLj1EEEvT0_T1_SA_.kd
    .uniform_work_group_size: 1
    .uses_dynamic_stack: false
    .vgpr_count:     4
    .vgpr_spill_count: 0
    .wavefront_size: 32
    .workgroup_processor_mode: 1
  - .args:
      - .offset:         0
        .size:           8
        .value_kind:     by_value
      - .address_space:  global
        .offset:         8
        .size:           8
        .value_kind:     global_buffer
      - .address_space:  global
        .offset:         16
        .size:           8
        .value_kind:     global_buffer
    .group_segment_fixed_size: 0
    .kernarg_segment_align: 8
    .kernarg_segment_size: 24
    .language:       OpenCL C
    .language_version:
      - 2
      - 0
    .max_flat_workgroup_size: 256
    .name:           _Z18lower_bound_kernelIyEvmPT_Pl
    .private_segment_fixed_size: 0
    .sgpr_count:     19
    .sgpr_spill_count: 0
    .symbol:         _Z18lower_bound_kernelIyEvmPT_Pl.kd
    .uniform_work_group_size: 1
    .uses_dynamic_stack: false
    .vgpr_count:     3
    .vgpr_spill_count: 0
    .wavefront_size: 32
    .workgroup_processor_mode: 1
  - .args:
      - .offset:         0
        .size:           56
        .value_kind:     by_value
    .group_segment_fixed_size: 0
    .kernarg_segment_align: 8
    .kernarg_segment_size: 56
    .language:       OpenCL C
    .language_version:
      - 2
      - 0
    .max_flat_workgroup_size: 128
    .name:           _ZN7rocprim17ROCPRIM_400000_NS6detail17trampoline_kernelINS0_14default_configENS1_27lower_bound_config_selectorIylEEZNS1_14transform_implILb0ES3_S5_N6thrust23THRUST_200600_302600_NS17counting_iteratorIyNS8_11use_defaultESA_SA_EEPlZNS1_13binary_searchIS3_S5_PySB_SC_NS1_21lower_bound_search_opENS8_6detail16wrapped_functionI11custom_lessbEEEE10hipError_tPvRmT1_T2_T3_mmT4_T5_P12ihipStream_tbEUlRKyE_EESK_SO_SP_mSQ_ST_bEUlT_E_NS1_11comp_targetILNS1_3genE0ELNS1_11target_archE4294967295ELNS1_3gpuE0ELNS1_3repE0EEENS1_30default_config_static_selectorELNS0_4arch9wavefront6targetE0EEEvSN_
    .private_segment_fixed_size: 0
    .sgpr_count:     0
    .sgpr_spill_count: 0
    .symbol:         _ZN7rocprim17ROCPRIM_400000_NS6detail17trampoline_kernelINS0_14default_configENS1_27lower_bound_config_selectorIylEEZNS1_14transform_implILb0ES3_S5_N6thrust23THRUST_200600_302600_NS17counting_iteratorIyNS8_11use_defaultESA_SA_EEPlZNS1_13binary_searchIS3_S5_PySB_SC_NS1_21lower_bound_search_opENS8_6detail16wrapped_functionI11custom_lessbEEEE10hipError_tPvRmT1_T2_T3_mmT4_T5_P12ihipStream_tbEUlRKyE_EESK_SO_SP_mSQ_ST_bEUlT_E_NS1_11comp_targetILNS1_3genE0ELNS1_11target_archE4294967295ELNS1_3gpuE0ELNS1_3repE0EEENS1_30default_config_static_selectorELNS0_4arch9wavefront6targetE0EEEvSN_.kd
    .uniform_work_group_size: 1
    .uses_dynamic_stack: false
    .vgpr_count:     0
    .vgpr_spill_count: 0
    .wavefront_size: 32
    .workgroup_processor_mode: 1
  - .args:
      - .offset:         0
        .size:           56
        .value_kind:     by_value
    .group_segment_fixed_size: 0
    .kernarg_segment_align: 8
    .kernarg_segment_size: 56
    .language:       OpenCL C
    .language_version:
      - 2
      - 0
    .max_flat_workgroup_size: 64
    .name:           _ZN7rocprim17ROCPRIM_400000_NS6detail17trampoline_kernelINS0_14default_configENS1_27lower_bound_config_selectorIylEEZNS1_14transform_implILb0ES3_S5_N6thrust23THRUST_200600_302600_NS17counting_iteratorIyNS8_11use_defaultESA_SA_EEPlZNS1_13binary_searchIS3_S5_PySB_SC_NS1_21lower_bound_search_opENS8_6detail16wrapped_functionI11custom_lessbEEEE10hipError_tPvRmT1_T2_T3_mmT4_T5_P12ihipStream_tbEUlRKyE_EESK_SO_SP_mSQ_ST_bEUlT_E_NS1_11comp_targetILNS1_3genE5ELNS1_11target_archE942ELNS1_3gpuE9ELNS1_3repE0EEENS1_30default_config_static_selectorELNS0_4arch9wavefront6targetE0EEEvSN_
    .private_segment_fixed_size: 0
    .sgpr_count:     0
    .sgpr_spill_count: 0
    .symbol:         _ZN7rocprim17ROCPRIM_400000_NS6detail17trampoline_kernelINS0_14default_configENS1_27lower_bound_config_selectorIylEEZNS1_14transform_implILb0ES3_S5_N6thrust23THRUST_200600_302600_NS17counting_iteratorIyNS8_11use_defaultESA_SA_EEPlZNS1_13binary_searchIS3_S5_PySB_SC_NS1_21lower_bound_search_opENS8_6detail16wrapped_functionI11custom_lessbEEEE10hipError_tPvRmT1_T2_T3_mmT4_T5_P12ihipStream_tbEUlRKyE_EESK_SO_SP_mSQ_ST_bEUlT_E_NS1_11comp_targetILNS1_3genE5ELNS1_11target_archE942ELNS1_3gpuE9ELNS1_3repE0EEENS1_30default_config_static_selectorELNS0_4arch9wavefront6targetE0EEEvSN_.kd
    .uniform_work_group_size: 1
    .uses_dynamic_stack: false
    .vgpr_count:     0
    .vgpr_spill_count: 0
    .wavefront_size: 32
    .workgroup_processor_mode: 1
  - .args:
      - .offset:         0
        .size:           56
        .value_kind:     by_value
    .group_segment_fixed_size: 0
    .kernarg_segment_align: 8
    .kernarg_segment_size: 56
    .language:       OpenCL C
    .language_version:
      - 2
      - 0
    .max_flat_workgroup_size: 64
    .name:           _ZN7rocprim17ROCPRIM_400000_NS6detail17trampoline_kernelINS0_14default_configENS1_27lower_bound_config_selectorIylEEZNS1_14transform_implILb0ES3_S5_N6thrust23THRUST_200600_302600_NS17counting_iteratorIyNS8_11use_defaultESA_SA_EEPlZNS1_13binary_searchIS3_S5_PySB_SC_NS1_21lower_bound_search_opENS8_6detail16wrapped_functionI11custom_lessbEEEE10hipError_tPvRmT1_T2_T3_mmT4_T5_P12ihipStream_tbEUlRKyE_EESK_SO_SP_mSQ_ST_bEUlT_E_NS1_11comp_targetILNS1_3genE4ELNS1_11target_archE910ELNS1_3gpuE8ELNS1_3repE0EEENS1_30default_config_static_selectorELNS0_4arch9wavefront6targetE0EEEvSN_
    .private_segment_fixed_size: 0
    .sgpr_count:     0
    .sgpr_spill_count: 0
    .symbol:         _ZN7rocprim17ROCPRIM_400000_NS6detail17trampoline_kernelINS0_14default_configENS1_27lower_bound_config_selectorIylEEZNS1_14transform_implILb0ES3_S5_N6thrust23THRUST_200600_302600_NS17counting_iteratorIyNS8_11use_defaultESA_SA_EEPlZNS1_13binary_searchIS3_S5_PySB_SC_NS1_21lower_bound_search_opENS8_6detail16wrapped_functionI11custom_lessbEEEE10hipError_tPvRmT1_T2_T3_mmT4_T5_P12ihipStream_tbEUlRKyE_EESK_SO_SP_mSQ_ST_bEUlT_E_NS1_11comp_targetILNS1_3genE4ELNS1_11target_archE910ELNS1_3gpuE8ELNS1_3repE0EEENS1_30default_config_static_selectorELNS0_4arch9wavefront6targetE0EEEvSN_.kd
    .uniform_work_group_size: 1
    .uses_dynamic_stack: false
    .vgpr_count:     0
    .vgpr_spill_count: 0
    .wavefront_size: 32
    .workgroup_processor_mode: 1
  - .args:
      - .offset:         0
        .size:           56
        .value_kind:     by_value
    .group_segment_fixed_size: 0
    .kernarg_segment_align: 8
    .kernarg_segment_size: 56
    .language:       OpenCL C
    .language_version:
      - 2
      - 0
    .max_flat_workgroup_size: 128
    .name:           _ZN7rocprim17ROCPRIM_400000_NS6detail17trampoline_kernelINS0_14default_configENS1_27lower_bound_config_selectorIylEEZNS1_14transform_implILb0ES3_S5_N6thrust23THRUST_200600_302600_NS17counting_iteratorIyNS8_11use_defaultESA_SA_EEPlZNS1_13binary_searchIS3_S5_PySB_SC_NS1_21lower_bound_search_opENS8_6detail16wrapped_functionI11custom_lessbEEEE10hipError_tPvRmT1_T2_T3_mmT4_T5_P12ihipStream_tbEUlRKyE_EESK_SO_SP_mSQ_ST_bEUlT_E_NS1_11comp_targetILNS1_3genE3ELNS1_11target_archE908ELNS1_3gpuE7ELNS1_3repE0EEENS1_30default_config_static_selectorELNS0_4arch9wavefront6targetE0EEEvSN_
    .private_segment_fixed_size: 0
    .sgpr_count:     0
    .sgpr_spill_count: 0
    .symbol:         _ZN7rocprim17ROCPRIM_400000_NS6detail17trampoline_kernelINS0_14default_configENS1_27lower_bound_config_selectorIylEEZNS1_14transform_implILb0ES3_S5_N6thrust23THRUST_200600_302600_NS17counting_iteratorIyNS8_11use_defaultESA_SA_EEPlZNS1_13binary_searchIS3_S5_PySB_SC_NS1_21lower_bound_search_opENS8_6detail16wrapped_functionI11custom_lessbEEEE10hipError_tPvRmT1_T2_T3_mmT4_T5_P12ihipStream_tbEUlRKyE_EESK_SO_SP_mSQ_ST_bEUlT_E_NS1_11comp_targetILNS1_3genE3ELNS1_11target_archE908ELNS1_3gpuE7ELNS1_3repE0EEENS1_30default_config_static_selectorELNS0_4arch9wavefront6targetE0EEEvSN_.kd
    .uniform_work_group_size: 1
    .uses_dynamic_stack: false
    .vgpr_count:     0
    .vgpr_spill_count: 0
    .wavefront_size: 32
    .workgroup_processor_mode: 1
  - .args:
      - .offset:         0
        .size:           56
        .value_kind:     by_value
    .group_segment_fixed_size: 0
    .kernarg_segment_align: 8
    .kernarg_segment_size: 56
    .language:       OpenCL C
    .language_version:
      - 2
      - 0
    .max_flat_workgroup_size: 256
    .name:           _ZN7rocprim17ROCPRIM_400000_NS6detail17trampoline_kernelINS0_14default_configENS1_27lower_bound_config_selectorIylEEZNS1_14transform_implILb0ES3_S5_N6thrust23THRUST_200600_302600_NS17counting_iteratorIyNS8_11use_defaultESA_SA_EEPlZNS1_13binary_searchIS3_S5_PySB_SC_NS1_21lower_bound_search_opENS8_6detail16wrapped_functionI11custom_lessbEEEE10hipError_tPvRmT1_T2_T3_mmT4_T5_P12ihipStream_tbEUlRKyE_EESK_SO_SP_mSQ_ST_bEUlT_E_NS1_11comp_targetILNS1_3genE2ELNS1_11target_archE906ELNS1_3gpuE6ELNS1_3repE0EEENS1_30default_config_static_selectorELNS0_4arch9wavefront6targetE0EEEvSN_
    .private_segment_fixed_size: 0
    .sgpr_count:     0
    .sgpr_spill_count: 0
    .symbol:         _ZN7rocprim17ROCPRIM_400000_NS6detail17trampoline_kernelINS0_14default_configENS1_27lower_bound_config_selectorIylEEZNS1_14transform_implILb0ES3_S5_N6thrust23THRUST_200600_302600_NS17counting_iteratorIyNS8_11use_defaultESA_SA_EEPlZNS1_13binary_searchIS3_S5_PySB_SC_NS1_21lower_bound_search_opENS8_6detail16wrapped_functionI11custom_lessbEEEE10hipError_tPvRmT1_T2_T3_mmT4_T5_P12ihipStream_tbEUlRKyE_EESK_SO_SP_mSQ_ST_bEUlT_E_NS1_11comp_targetILNS1_3genE2ELNS1_11target_archE906ELNS1_3gpuE6ELNS1_3repE0EEENS1_30default_config_static_selectorELNS0_4arch9wavefront6targetE0EEEvSN_.kd
    .uniform_work_group_size: 1
    .uses_dynamic_stack: false
    .vgpr_count:     0
    .vgpr_spill_count: 0
    .wavefront_size: 32
    .workgroup_processor_mode: 1
  - .args:
      - .offset:         0
        .size:           56
        .value_kind:     by_value
    .group_segment_fixed_size: 0
    .kernarg_segment_align: 8
    .kernarg_segment_size: 56
    .language:       OpenCL C
    .language_version:
      - 2
      - 0
    .max_flat_workgroup_size: 128
    .name:           _ZN7rocprim17ROCPRIM_400000_NS6detail17trampoline_kernelINS0_14default_configENS1_27lower_bound_config_selectorIylEEZNS1_14transform_implILb0ES3_S5_N6thrust23THRUST_200600_302600_NS17counting_iteratorIyNS8_11use_defaultESA_SA_EEPlZNS1_13binary_searchIS3_S5_PySB_SC_NS1_21lower_bound_search_opENS8_6detail16wrapped_functionI11custom_lessbEEEE10hipError_tPvRmT1_T2_T3_mmT4_T5_P12ihipStream_tbEUlRKyE_EESK_SO_SP_mSQ_ST_bEUlT_E_NS1_11comp_targetILNS1_3genE10ELNS1_11target_archE1201ELNS1_3gpuE5ELNS1_3repE0EEENS1_30default_config_static_selectorELNS0_4arch9wavefront6targetE0EEEvSN_
    .private_segment_fixed_size: 0
    .sgpr_count:     0
    .sgpr_spill_count: 0
    .symbol:         _ZN7rocprim17ROCPRIM_400000_NS6detail17trampoline_kernelINS0_14default_configENS1_27lower_bound_config_selectorIylEEZNS1_14transform_implILb0ES3_S5_N6thrust23THRUST_200600_302600_NS17counting_iteratorIyNS8_11use_defaultESA_SA_EEPlZNS1_13binary_searchIS3_S5_PySB_SC_NS1_21lower_bound_search_opENS8_6detail16wrapped_functionI11custom_lessbEEEE10hipError_tPvRmT1_T2_T3_mmT4_T5_P12ihipStream_tbEUlRKyE_EESK_SO_SP_mSQ_ST_bEUlT_E_NS1_11comp_targetILNS1_3genE10ELNS1_11target_archE1201ELNS1_3gpuE5ELNS1_3repE0EEENS1_30default_config_static_selectorELNS0_4arch9wavefront6targetE0EEEvSN_.kd
    .uniform_work_group_size: 1
    .uses_dynamic_stack: false
    .vgpr_count:     0
    .vgpr_spill_count: 0
    .wavefront_size: 32
    .workgroup_processor_mode: 1
  - .args:
      - .offset:         0
        .size:           56
        .value_kind:     by_value
    .group_segment_fixed_size: 0
    .kernarg_segment_align: 8
    .kernarg_segment_size: 56
    .language:       OpenCL C
    .language_version:
      - 2
      - 0
    .max_flat_workgroup_size: 128
    .name:           _ZN7rocprim17ROCPRIM_400000_NS6detail17trampoline_kernelINS0_14default_configENS1_27lower_bound_config_selectorIylEEZNS1_14transform_implILb0ES3_S5_N6thrust23THRUST_200600_302600_NS17counting_iteratorIyNS8_11use_defaultESA_SA_EEPlZNS1_13binary_searchIS3_S5_PySB_SC_NS1_21lower_bound_search_opENS8_6detail16wrapped_functionI11custom_lessbEEEE10hipError_tPvRmT1_T2_T3_mmT4_T5_P12ihipStream_tbEUlRKyE_EESK_SO_SP_mSQ_ST_bEUlT_E_NS1_11comp_targetILNS1_3genE10ELNS1_11target_archE1200ELNS1_3gpuE4ELNS1_3repE0EEENS1_30default_config_static_selectorELNS0_4arch9wavefront6targetE0EEEvSN_
    .private_segment_fixed_size: 0
    .sgpr_count:     0
    .sgpr_spill_count: 0
    .symbol:         _ZN7rocprim17ROCPRIM_400000_NS6detail17trampoline_kernelINS0_14default_configENS1_27lower_bound_config_selectorIylEEZNS1_14transform_implILb0ES3_S5_N6thrust23THRUST_200600_302600_NS17counting_iteratorIyNS8_11use_defaultESA_SA_EEPlZNS1_13binary_searchIS3_S5_PySB_SC_NS1_21lower_bound_search_opENS8_6detail16wrapped_functionI11custom_lessbEEEE10hipError_tPvRmT1_T2_T3_mmT4_T5_P12ihipStream_tbEUlRKyE_EESK_SO_SP_mSQ_ST_bEUlT_E_NS1_11comp_targetILNS1_3genE10ELNS1_11target_archE1200ELNS1_3gpuE4ELNS1_3repE0EEENS1_30default_config_static_selectorELNS0_4arch9wavefront6targetE0EEEvSN_.kd
    .uniform_work_group_size: 1
    .uses_dynamic_stack: false
    .vgpr_count:     0
    .vgpr_spill_count: 0
    .wavefront_size: 32
    .workgroup_processor_mode: 1
  - .args:
      - .offset:         0
        .size:           56
        .value_kind:     by_value
      - .offset:         56
        .size:           4
        .value_kind:     hidden_block_count_x
      - .offset:         60
        .size:           4
        .value_kind:     hidden_block_count_y
      - .offset:         64
        .size:           4
        .value_kind:     hidden_block_count_z
      - .offset:         68
        .size:           2
        .value_kind:     hidden_group_size_x
      - .offset:         70
        .size:           2
        .value_kind:     hidden_group_size_y
      - .offset:         72
        .size:           2
        .value_kind:     hidden_group_size_z
      - .offset:         74
        .size:           2
        .value_kind:     hidden_remainder_x
      - .offset:         76
        .size:           2
        .value_kind:     hidden_remainder_y
      - .offset:         78
        .size:           2
        .value_kind:     hidden_remainder_z
      - .offset:         96
        .size:           8
        .value_kind:     hidden_global_offset_x
      - .offset:         104
        .size:           8
        .value_kind:     hidden_global_offset_y
      - .offset:         112
        .size:           8
        .value_kind:     hidden_global_offset_z
      - .offset:         120
        .size:           2
        .value_kind:     hidden_grid_dims
    .group_segment_fixed_size: 0
    .kernarg_segment_align: 8
    .kernarg_segment_size: 312
    .language:       OpenCL C
    .language_version:
      - 2
      - 0
    .max_flat_workgroup_size: 256
    .name:           _ZN7rocprim17ROCPRIM_400000_NS6detail17trampoline_kernelINS0_14default_configENS1_27lower_bound_config_selectorIylEEZNS1_14transform_implILb0ES3_S5_N6thrust23THRUST_200600_302600_NS17counting_iteratorIyNS8_11use_defaultESA_SA_EEPlZNS1_13binary_searchIS3_S5_PySB_SC_NS1_21lower_bound_search_opENS8_6detail16wrapped_functionI11custom_lessbEEEE10hipError_tPvRmT1_T2_T3_mmT4_T5_P12ihipStream_tbEUlRKyE_EESK_SO_SP_mSQ_ST_bEUlT_E_NS1_11comp_targetILNS1_3genE9ELNS1_11target_archE1100ELNS1_3gpuE3ELNS1_3repE0EEENS1_30default_config_static_selectorELNS0_4arch9wavefront6targetE0EEEvSN_
    .private_segment_fixed_size: 0
    .sgpr_count:     18
    .sgpr_spill_count: 0
    .symbol:         _ZN7rocprim17ROCPRIM_400000_NS6detail17trampoline_kernelINS0_14default_configENS1_27lower_bound_config_selectorIylEEZNS1_14transform_implILb0ES3_S5_N6thrust23THRUST_200600_302600_NS17counting_iteratorIyNS8_11use_defaultESA_SA_EEPlZNS1_13binary_searchIS3_S5_PySB_SC_NS1_21lower_bound_search_opENS8_6detail16wrapped_functionI11custom_lessbEEEE10hipError_tPvRmT1_T2_T3_mmT4_T5_P12ihipStream_tbEUlRKyE_EESK_SO_SP_mSQ_ST_bEUlT_E_NS1_11comp_targetILNS1_3genE9ELNS1_11target_archE1100ELNS1_3gpuE3ELNS1_3repE0EEENS1_30default_config_static_selectorELNS0_4arch9wavefront6targetE0EEEvSN_.kd
    .uniform_work_group_size: 1
    .uses_dynamic_stack: false
    .vgpr_count:     13
    .vgpr_spill_count: 0
    .wavefront_size: 32
    .workgroup_processor_mode: 1
  - .args:
      - .offset:         0
        .size:           56
        .value_kind:     by_value
    .group_segment_fixed_size: 0
    .kernarg_segment_align: 8
    .kernarg_segment_size: 56
    .language:       OpenCL C
    .language_version:
      - 2
      - 0
    .max_flat_workgroup_size: 256
    .name:           _ZN7rocprim17ROCPRIM_400000_NS6detail17trampoline_kernelINS0_14default_configENS1_27lower_bound_config_selectorIylEEZNS1_14transform_implILb0ES3_S5_N6thrust23THRUST_200600_302600_NS17counting_iteratorIyNS8_11use_defaultESA_SA_EEPlZNS1_13binary_searchIS3_S5_PySB_SC_NS1_21lower_bound_search_opENS8_6detail16wrapped_functionI11custom_lessbEEEE10hipError_tPvRmT1_T2_T3_mmT4_T5_P12ihipStream_tbEUlRKyE_EESK_SO_SP_mSQ_ST_bEUlT_E_NS1_11comp_targetILNS1_3genE8ELNS1_11target_archE1030ELNS1_3gpuE2ELNS1_3repE0EEENS1_30default_config_static_selectorELNS0_4arch9wavefront6targetE0EEEvSN_
    .private_segment_fixed_size: 0
    .sgpr_count:     0
    .sgpr_spill_count: 0
    .symbol:         _ZN7rocprim17ROCPRIM_400000_NS6detail17trampoline_kernelINS0_14default_configENS1_27lower_bound_config_selectorIylEEZNS1_14transform_implILb0ES3_S5_N6thrust23THRUST_200600_302600_NS17counting_iteratorIyNS8_11use_defaultESA_SA_EEPlZNS1_13binary_searchIS3_S5_PySB_SC_NS1_21lower_bound_search_opENS8_6detail16wrapped_functionI11custom_lessbEEEE10hipError_tPvRmT1_T2_T3_mmT4_T5_P12ihipStream_tbEUlRKyE_EESK_SO_SP_mSQ_ST_bEUlT_E_NS1_11comp_targetILNS1_3genE8ELNS1_11target_archE1030ELNS1_3gpuE2ELNS1_3repE0EEENS1_30default_config_static_selectorELNS0_4arch9wavefront6targetE0EEEvSN_.kd
    .uniform_work_group_size: 1
    .uses_dynamic_stack: false
    .vgpr_count:     0
    .vgpr_spill_count: 0
    .wavefront_size: 32
    .workgroup_processor_mode: 1
  - .args:
      - .offset:         0
        .size:           16
        .value_kind:     by_value
      - .offset:         16
        .size:           8
        .value_kind:     by_value
      - .offset:         24
        .size:           8
        .value_kind:     by_value
    .group_segment_fixed_size: 0
    .kernarg_segment_align: 8
    .kernarg_segment_size: 32
    .language:       OpenCL C
    .language_version:
      - 2
      - 0
    .max_flat_workgroup_size: 256
    .name:           _ZN6thrust23THRUST_200600_302600_NS11hip_rocprim14__parallel_for6kernelILj256ENS1_20__uninitialized_fill7functorINS0_10device_ptrIjEEjEEmLj1EEEvT0_T1_SA_
    .private_segment_fixed_size: 0
    .sgpr_count:     18
    .sgpr_spill_count: 0
    .symbol:         _ZN6thrust23THRUST_200600_302600_NS11hip_rocprim14__parallel_for6kernelILj256ENS1_20__uninitialized_fill7functorINS0_10device_ptrIjEEjEEmLj1EEEvT0_T1_SA_.kd
    .uniform_work_group_size: 1
    .uses_dynamic_stack: false
    .vgpr_count:     3
    .vgpr_spill_count: 0
    .wavefront_size: 32
    .workgroup_processor_mode: 1
  - .args:
      - .offset:         0
        .size:           8
        .value_kind:     by_value
      - .address_space:  global
        .offset:         8
        .size:           8
        .value_kind:     global_buffer
      - .address_space:  global
        .offset:         16
        .size:           8
        .value_kind:     global_buffer
    .group_segment_fixed_size: 0
    .kernarg_segment_align: 8
    .kernarg_segment_size: 24
    .language:       OpenCL C
    .language_version:
      - 2
      - 0
    .max_flat_workgroup_size: 256
    .name:           _Z18lower_bound_kernelIjEvmPT_Pl
    .private_segment_fixed_size: 0
    .sgpr_count:     19
    .sgpr_spill_count: 0
    .symbol:         _Z18lower_bound_kernelIjEvmPT_Pl.kd
    .uniform_work_group_size: 1
    .uses_dynamic_stack: false
    .vgpr_count:     3
    .vgpr_spill_count: 0
    .wavefront_size: 32
    .workgroup_processor_mode: 1
  - .args:
      - .offset:         0
        .size:           56
        .value_kind:     by_value
    .group_segment_fixed_size: 0
    .kernarg_segment_align: 8
    .kernarg_segment_size: 56
    .language:       OpenCL C
    .language_version:
      - 2
      - 0
    .max_flat_workgroup_size: 256
    .name:           _ZN7rocprim17ROCPRIM_400000_NS6detail17trampoline_kernelINS0_14default_configENS1_27lower_bound_config_selectorIjlEEZNS1_14transform_implILb0ES3_S5_N6thrust23THRUST_200600_302600_NS17counting_iteratorIjNS8_11use_defaultESA_SA_EEPlZNS1_13binary_searchIS3_S5_PjSB_SC_NS1_21lower_bound_search_opENS8_6detail16wrapped_functionI11custom_lessbEEEE10hipError_tPvRmT1_T2_T3_mmT4_T5_P12ihipStream_tbEUlRKjE_EESK_SO_SP_mSQ_ST_bEUlT_E_NS1_11comp_targetILNS1_3genE0ELNS1_11target_archE4294967295ELNS1_3gpuE0ELNS1_3repE0EEENS1_30default_config_static_selectorELNS0_4arch9wavefront6targetE0EEEvSN_
    .private_segment_fixed_size: 0
    .sgpr_count:     0
    .sgpr_spill_count: 0
    .symbol:         _ZN7rocprim17ROCPRIM_400000_NS6detail17trampoline_kernelINS0_14default_configENS1_27lower_bound_config_selectorIjlEEZNS1_14transform_implILb0ES3_S5_N6thrust23THRUST_200600_302600_NS17counting_iteratorIjNS8_11use_defaultESA_SA_EEPlZNS1_13binary_searchIS3_S5_PjSB_SC_NS1_21lower_bound_search_opENS8_6detail16wrapped_functionI11custom_lessbEEEE10hipError_tPvRmT1_T2_T3_mmT4_T5_P12ihipStream_tbEUlRKjE_EESK_SO_SP_mSQ_ST_bEUlT_E_NS1_11comp_targetILNS1_3genE0ELNS1_11target_archE4294967295ELNS1_3gpuE0ELNS1_3repE0EEENS1_30default_config_static_selectorELNS0_4arch9wavefront6targetE0EEEvSN_.kd
    .uniform_work_group_size: 1
    .uses_dynamic_stack: false
    .vgpr_count:     0
    .vgpr_spill_count: 0
    .wavefront_size: 32
    .workgroup_processor_mode: 1
  - .args:
      - .offset:         0
        .size:           56
        .value_kind:     by_value
    .group_segment_fixed_size: 0
    .kernarg_segment_align: 8
    .kernarg_segment_size: 56
    .language:       OpenCL C
    .language_version:
      - 2
      - 0
    .max_flat_workgroup_size: 256
    .name:           _ZN7rocprim17ROCPRIM_400000_NS6detail17trampoline_kernelINS0_14default_configENS1_27lower_bound_config_selectorIjlEEZNS1_14transform_implILb0ES3_S5_N6thrust23THRUST_200600_302600_NS17counting_iteratorIjNS8_11use_defaultESA_SA_EEPlZNS1_13binary_searchIS3_S5_PjSB_SC_NS1_21lower_bound_search_opENS8_6detail16wrapped_functionI11custom_lessbEEEE10hipError_tPvRmT1_T2_T3_mmT4_T5_P12ihipStream_tbEUlRKjE_EESK_SO_SP_mSQ_ST_bEUlT_E_NS1_11comp_targetILNS1_3genE5ELNS1_11target_archE942ELNS1_3gpuE9ELNS1_3repE0EEENS1_30default_config_static_selectorELNS0_4arch9wavefront6targetE0EEEvSN_
    .private_segment_fixed_size: 0
    .sgpr_count:     0
    .sgpr_spill_count: 0
    .symbol:         _ZN7rocprim17ROCPRIM_400000_NS6detail17trampoline_kernelINS0_14default_configENS1_27lower_bound_config_selectorIjlEEZNS1_14transform_implILb0ES3_S5_N6thrust23THRUST_200600_302600_NS17counting_iteratorIjNS8_11use_defaultESA_SA_EEPlZNS1_13binary_searchIS3_S5_PjSB_SC_NS1_21lower_bound_search_opENS8_6detail16wrapped_functionI11custom_lessbEEEE10hipError_tPvRmT1_T2_T3_mmT4_T5_P12ihipStream_tbEUlRKjE_EESK_SO_SP_mSQ_ST_bEUlT_E_NS1_11comp_targetILNS1_3genE5ELNS1_11target_archE942ELNS1_3gpuE9ELNS1_3repE0EEENS1_30default_config_static_selectorELNS0_4arch9wavefront6targetE0EEEvSN_.kd
    .uniform_work_group_size: 1
    .uses_dynamic_stack: false
    .vgpr_count:     0
    .vgpr_spill_count: 0
    .wavefront_size: 32
    .workgroup_processor_mode: 1
  - .args:
      - .offset:         0
        .size:           56
        .value_kind:     by_value
    .group_segment_fixed_size: 0
    .kernarg_segment_align: 8
    .kernarg_segment_size: 56
    .language:       OpenCL C
    .language_version:
      - 2
      - 0
    .max_flat_workgroup_size: 256
    .name:           _ZN7rocprim17ROCPRIM_400000_NS6detail17trampoline_kernelINS0_14default_configENS1_27lower_bound_config_selectorIjlEEZNS1_14transform_implILb0ES3_S5_N6thrust23THRUST_200600_302600_NS17counting_iteratorIjNS8_11use_defaultESA_SA_EEPlZNS1_13binary_searchIS3_S5_PjSB_SC_NS1_21lower_bound_search_opENS8_6detail16wrapped_functionI11custom_lessbEEEE10hipError_tPvRmT1_T2_T3_mmT4_T5_P12ihipStream_tbEUlRKjE_EESK_SO_SP_mSQ_ST_bEUlT_E_NS1_11comp_targetILNS1_3genE4ELNS1_11target_archE910ELNS1_3gpuE8ELNS1_3repE0EEENS1_30default_config_static_selectorELNS0_4arch9wavefront6targetE0EEEvSN_
    .private_segment_fixed_size: 0
    .sgpr_count:     0
    .sgpr_spill_count: 0
    .symbol:         _ZN7rocprim17ROCPRIM_400000_NS6detail17trampoline_kernelINS0_14default_configENS1_27lower_bound_config_selectorIjlEEZNS1_14transform_implILb0ES3_S5_N6thrust23THRUST_200600_302600_NS17counting_iteratorIjNS8_11use_defaultESA_SA_EEPlZNS1_13binary_searchIS3_S5_PjSB_SC_NS1_21lower_bound_search_opENS8_6detail16wrapped_functionI11custom_lessbEEEE10hipError_tPvRmT1_T2_T3_mmT4_T5_P12ihipStream_tbEUlRKjE_EESK_SO_SP_mSQ_ST_bEUlT_E_NS1_11comp_targetILNS1_3genE4ELNS1_11target_archE910ELNS1_3gpuE8ELNS1_3repE0EEENS1_30default_config_static_selectorELNS0_4arch9wavefront6targetE0EEEvSN_.kd
    .uniform_work_group_size: 1
    .uses_dynamic_stack: false
    .vgpr_count:     0
    .vgpr_spill_count: 0
    .wavefront_size: 32
    .workgroup_processor_mode: 1
  - .args:
      - .offset:         0
        .size:           56
        .value_kind:     by_value
    .group_segment_fixed_size: 0
    .kernarg_segment_align: 8
    .kernarg_segment_size: 56
    .language:       OpenCL C
    .language_version:
      - 2
      - 0
    .max_flat_workgroup_size: 256
    .name:           _ZN7rocprim17ROCPRIM_400000_NS6detail17trampoline_kernelINS0_14default_configENS1_27lower_bound_config_selectorIjlEEZNS1_14transform_implILb0ES3_S5_N6thrust23THRUST_200600_302600_NS17counting_iteratorIjNS8_11use_defaultESA_SA_EEPlZNS1_13binary_searchIS3_S5_PjSB_SC_NS1_21lower_bound_search_opENS8_6detail16wrapped_functionI11custom_lessbEEEE10hipError_tPvRmT1_T2_T3_mmT4_T5_P12ihipStream_tbEUlRKjE_EESK_SO_SP_mSQ_ST_bEUlT_E_NS1_11comp_targetILNS1_3genE3ELNS1_11target_archE908ELNS1_3gpuE7ELNS1_3repE0EEENS1_30default_config_static_selectorELNS0_4arch9wavefront6targetE0EEEvSN_
    .private_segment_fixed_size: 0
    .sgpr_count:     0
    .sgpr_spill_count: 0
    .symbol:         _ZN7rocprim17ROCPRIM_400000_NS6detail17trampoline_kernelINS0_14default_configENS1_27lower_bound_config_selectorIjlEEZNS1_14transform_implILb0ES3_S5_N6thrust23THRUST_200600_302600_NS17counting_iteratorIjNS8_11use_defaultESA_SA_EEPlZNS1_13binary_searchIS3_S5_PjSB_SC_NS1_21lower_bound_search_opENS8_6detail16wrapped_functionI11custom_lessbEEEE10hipError_tPvRmT1_T2_T3_mmT4_T5_P12ihipStream_tbEUlRKjE_EESK_SO_SP_mSQ_ST_bEUlT_E_NS1_11comp_targetILNS1_3genE3ELNS1_11target_archE908ELNS1_3gpuE7ELNS1_3repE0EEENS1_30default_config_static_selectorELNS0_4arch9wavefront6targetE0EEEvSN_.kd
    .uniform_work_group_size: 1
    .uses_dynamic_stack: false
    .vgpr_count:     0
    .vgpr_spill_count: 0
    .wavefront_size: 32
    .workgroup_processor_mode: 1
  - .args:
      - .offset:         0
        .size:           56
        .value_kind:     by_value
    .group_segment_fixed_size: 0
    .kernarg_segment_align: 8
    .kernarg_segment_size: 56
    .language:       OpenCL C
    .language_version:
      - 2
      - 0
    .max_flat_workgroup_size: 256
    .name:           _ZN7rocprim17ROCPRIM_400000_NS6detail17trampoline_kernelINS0_14default_configENS1_27lower_bound_config_selectorIjlEEZNS1_14transform_implILb0ES3_S5_N6thrust23THRUST_200600_302600_NS17counting_iteratorIjNS8_11use_defaultESA_SA_EEPlZNS1_13binary_searchIS3_S5_PjSB_SC_NS1_21lower_bound_search_opENS8_6detail16wrapped_functionI11custom_lessbEEEE10hipError_tPvRmT1_T2_T3_mmT4_T5_P12ihipStream_tbEUlRKjE_EESK_SO_SP_mSQ_ST_bEUlT_E_NS1_11comp_targetILNS1_3genE2ELNS1_11target_archE906ELNS1_3gpuE6ELNS1_3repE0EEENS1_30default_config_static_selectorELNS0_4arch9wavefront6targetE0EEEvSN_
    .private_segment_fixed_size: 0
    .sgpr_count:     0
    .sgpr_spill_count: 0
    .symbol:         _ZN7rocprim17ROCPRIM_400000_NS6detail17trampoline_kernelINS0_14default_configENS1_27lower_bound_config_selectorIjlEEZNS1_14transform_implILb0ES3_S5_N6thrust23THRUST_200600_302600_NS17counting_iteratorIjNS8_11use_defaultESA_SA_EEPlZNS1_13binary_searchIS3_S5_PjSB_SC_NS1_21lower_bound_search_opENS8_6detail16wrapped_functionI11custom_lessbEEEE10hipError_tPvRmT1_T2_T3_mmT4_T5_P12ihipStream_tbEUlRKjE_EESK_SO_SP_mSQ_ST_bEUlT_E_NS1_11comp_targetILNS1_3genE2ELNS1_11target_archE906ELNS1_3gpuE6ELNS1_3repE0EEENS1_30default_config_static_selectorELNS0_4arch9wavefront6targetE0EEEvSN_.kd
    .uniform_work_group_size: 1
    .uses_dynamic_stack: false
    .vgpr_count:     0
    .vgpr_spill_count: 0
    .wavefront_size: 32
    .workgroup_processor_mode: 1
  - .args:
      - .offset:         0
        .size:           56
        .value_kind:     by_value
    .group_segment_fixed_size: 0
    .kernarg_segment_align: 8
    .kernarg_segment_size: 56
    .language:       OpenCL C
    .language_version:
      - 2
      - 0
    .max_flat_workgroup_size: 128
    .name:           _ZN7rocprim17ROCPRIM_400000_NS6detail17trampoline_kernelINS0_14default_configENS1_27lower_bound_config_selectorIjlEEZNS1_14transform_implILb0ES3_S5_N6thrust23THRUST_200600_302600_NS17counting_iteratorIjNS8_11use_defaultESA_SA_EEPlZNS1_13binary_searchIS3_S5_PjSB_SC_NS1_21lower_bound_search_opENS8_6detail16wrapped_functionI11custom_lessbEEEE10hipError_tPvRmT1_T2_T3_mmT4_T5_P12ihipStream_tbEUlRKjE_EESK_SO_SP_mSQ_ST_bEUlT_E_NS1_11comp_targetILNS1_3genE10ELNS1_11target_archE1201ELNS1_3gpuE5ELNS1_3repE0EEENS1_30default_config_static_selectorELNS0_4arch9wavefront6targetE0EEEvSN_
    .private_segment_fixed_size: 0
    .sgpr_count:     0
    .sgpr_spill_count: 0
    .symbol:         _ZN7rocprim17ROCPRIM_400000_NS6detail17trampoline_kernelINS0_14default_configENS1_27lower_bound_config_selectorIjlEEZNS1_14transform_implILb0ES3_S5_N6thrust23THRUST_200600_302600_NS17counting_iteratorIjNS8_11use_defaultESA_SA_EEPlZNS1_13binary_searchIS3_S5_PjSB_SC_NS1_21lower_bound_search_opENS8_6detail16wrapped_functionI11custom_lessbEEEE10hipError_tPvRmT1_T2_T3_mmT4_T5_P12ihipStream_tbEUlRKjE_EESK_SO_SP_mSQ_ST_bEUlT_E_NS1_11comp_targetILNS1_3genE10ELNS1_11target_archE1201ELNS1_3gpuE5ELNS1_3repE0EEENS1_30default_config_static_selectorELNS0_4arch9wavefront6targetE0EEEvSN_.kd
    .uniform_work_group_size: 1
    .uses_dynamic_stack: false
    .vgpr_count:     0
    .vgpr_spill_count: 0
    .wavefront_size: 32
    .workgroup_processor_mode: 1
  - .args:
      - .offset:         0
        .size:           56
        .value_kind:     by_value
    .group_segment_fixed_size: 0
    .kernarg_segment_align: 8
    .kernarg_segment_size: 56
    .language:       OpenCL C
    .language_version:
      - 2
      - 0
    .max_flat_workgroup_size: 128
    .name:           _ZN7rocprim17ROCPRIM_400000_NS6detail17trampoline_kernelINS0_14default_configENS1_27lower_bound_config_selectorIjlEEZNS1_14transform_implILb0ES3_S5_N6thrust23THRUST_200600_302600_NS17counting_iteratorIjNS8_11use_defaultESA_SA_EEPlZNS1_13binary_searchIS3_S5_PjSB_SC_NS1_21lower_bound_search_opENS8_6detail16wrapped_functionI11custom_lessbEEEE10hipError_tPvRmT1_T2_T3_mmT4_T5_P12ihipStream_tbEUlRKjE_EESK_SO_SP_mSQ_ST_bEUlT_E_NS1_11comp_targetILNS1_3genE10ELNS1_11target_archE1200ELNS1_3gpuE4ELNS1_3repE0EEENS1_30default_config_static_selectorELNS0_4arch9wavefront6targetE0EEEvSN_
    .private_segment_fixed_size: 0
    .sgpr_count:     0
    .sgpr_spill_count: 0
    .symbol:         _ZN7rocprim17ROCPRIM_400000_NS6detail17trampoline_kernelINS0_14default_configENS1_27lower_bound_config_selectorIjlEEZNS1_14transform_implILb0ES3_S5_N6thrust23THRUST_200600_302600_NS17counting_iteratorIjNS8_11use_defaultESA_SA_EEPlZNS1_13binary_searchIS3_S5_PjSB_SC_NS1_21lower_bound_search_opENS8_6detail16wrapped_functionI11custom_lessbEEEE10hipError_tPvRmT1_T2_T3_mmT4_T5_P12ihipStream_tbEUlRKjE_EESK_SO_SP_mSQ_ST_bEUlT_E_NS1_11comp_targetILNS1_3genE10ELNS1_11target_archE1200ELNS1_3gpuE4ELNS1_3repE0EEENS1_30default_config_static_selectorELNS0_4arch9wavefront6targetE0EEEvSN_.kd
    .uniform_work_group_size: 1
    .uses_dynamic_stack: false
    .vgpr_count:     0
    .vgpr_spill_count: 0
    .wavefront_size: 32
    .workgroup_processor_mode: 1
  - .args:
      - .offset:         0
        .size:           56
        .value_kind:     by_value
      - .offset:         56
        .size:           4
        .value_kind:     hidden_block_count_x
      - .offset:         60
        .size:           4
        .value_kind:     hidden_block_count_y
      - .offset:         64
        .size:           4
        .value_kind:     hidden_block_count_z
      - .offset:         68
        .size:           2
        .value_kind:     hidden_group_size_x
      - .offset:         70
        .size:           2
        .value_kind:     hidden_group_size_y
      - .offset:         72
        .size:           2
        .value_kind:     hidden_group_size_z
      - .offset:         74
        .size:           2
        .value_kind:     hidden_remainder_x
      - .offset:         76
        .size:           2
        .value_kind:     hidden_remainder_y
      - .offset:         78
        .size:           2
        .value_kind:     hidden_remainder_z
      - .offset:         96
        .size:           8
        .value_kind:     hidden_global_offset_x
      - .offset:         104
        .size:           8
        .value_kind:     hidden_global_offset_y
      - .offset:         112
        .size:           8
        .value_kind:     hidden_global_offset_z
      - .offset:         120
        .size:           2
        .value_kind:     hidden_grid_dims
    .group_segment_fixed_size: 0
    .kernarg_segment_align: 8
    .kernarg_segment_size: 312
    .language:       OpenCL C
    .language_version:
      - 2
      - 0
    .max_flat_workgroup_size: 256
    .name:           _ZN7rocprim17ROCPRIM_400000_NS6detail17trampoline_kernelINS0_14default_configENS1_27lower_bound_config_selectorIjlEEZNS1_14transform_implILb0ES3_S5_N6thrust23THRUST_200600_302600_NS17counting_iteratorIjNS8_11use_defaultESA_SA_EEPlZNS1_13binary_searchIS3_S5_PjSB_SC_NS1_21lower_bound_search_opENS8_6detail16wrapped_functionI11custom_lessbEEEE10hipError_tPvRmT1_T2_T3_mmT4_T5_P12ihipStream_tbEUlRKjE_EESK_SO_SP_mSQ_ST_bEUlT_E_NS1_11comp_targetILNS1_3genE9ELNS1_11target_archE1100ELNS1_3gpuE3ELNS1_3repE0EEENS1_30default_config_static_selectorELNS0_4arch9wavefront6targetE0EEEvSN_
    .private_segment_fixed_size: 0
    .sgpr_count:     18
    .sgpr_spill_count: 0
    .symbol:         _ZN7rocprim17ROCPRIM_400000_NS6detail17trampoline_kernelINS0_14default_configENS1_27lower_bound_config_selectorIjlEEZNS1_14transform_implILb0ES3_S5_N6thrust23THRUST_200600_302600_NS17counting_iteratorIjNS8_11use_defaultESA_SA_EEPlZNS1_13binary_searchIS3_S5_PjSB_SC_NS1_21lower_bound_search_opENS8_6detail16wrapped_functionI11custom_lessbEEEE10hipError_tPvRmT1_T2_T3_mmT4_T5_P12ihipStream_tbEUlRKjE_EESK_SO_SP_mSQ_ST_bEUlT_E_NS1_11comp_targetILNS1_3genE9ELNS1_11target_archE1100ELNS1_3gpuE3ELNS1_3repE0EEENS1_30default_config_static_selectorELNS0_4arch9wavefront6targetE0EEEvSN_.kd
    .uniform_work_group_size: 1
    .uses_dynamic_stack: false
    .vgpr_count:     11
    .vgpr_spill_count: 0
    .wavefront_size: 32
    .workgroup_processor_mode: 1
  - .args:
      - .offset:         0
        .size:           56
        .value_kind:     by_value
    .group_segment_fixed_size: 0
    .kernarg_segment_align: 8
    .kernarg_segment_size: 56
    .language:       OpenCL C
    .language_version:
      - 2
      - 0
    .max_flat_workgroup_size: 256
    .name:           _ZN7rocprim17ROCPRIM_400000_NS6detail17trampoline_kernelINS0_14default_configENS1_27lower_bound_config_selectorIjlEEZNS1_14transform_implILb0ES3_S5_N6thrust23THRUST_200600_302600_NS17counting_iteratorIjNS8_11use_defaultESA_SA_EEPlZNS1_13binary_searchIS3_S5_PjSB_SC_NS1_21lower_bound_search_opENS8_6detail16wrapped_functionI11custom_lessbEEEE10hipError_tPvRmT1_T2_T3_mmT4_T5_P12ihipStream_tbEUlRKjE_EESK_SO_SP_mSQ_ST_bEUlT_E_NS1_11comp_targetILNS1_3genE8ELNS1_11target_archE1030ELNS1_3gpuE2ELNS1_3repE0EEENS1_30default_config_static_selectorELNS0_4arch9wavefront6targetE0EEEvSN_
    .private_segment_fixed_size: 0
    .sgpr_count:     0
    .sgpr_spill_count: 0
    .symbol:         _ZN7rocprim17ROCPRIM_400000_NS6detail17trampoline_kernelINS0_14default_configENS1_27lower_bound_config_selectorIjlEEZNS1_14transform_implILb0ES3_S5_N6thrust23THRUST_200600_302600_NS17counting_iteratorIjNS8_11use_defaultESA_SA_EEPlZNS1_13binary_searchIS3_S5_PjSB_SC_NS1_21lower_bound_search_opENS8_6detail16wrapped_functionI11custom_lessbEEEE10hipError_tPvRmT1_T2_T3_mmT4_T5_P12ihipStream_tbEUlRKjE_EESK_SO_SP_mSQ_ST_bEUlT_E_NS1_11comp_targetILNS1_3genE8ELNS1_11target_archE1030ELNS1_3gpuE2ELNS1_3repE0EEENS1_30default_config_static_selectorELNS0_4arch9wavefront6targetE0EEEvSN_.kd
    .uniform_work_group_size: 1
    .uses_dynamic_stack: false
    .vgpr_count:     0
    .vgpr_spill_count: 0
    .wavefront_size: 32
    .workgroup_processor_mode: 1
  - .args:
      - .offset:         0
        .size:           16
        .value_kind:     by_value
      - .offset:         16
        .size:           8
        .value_kind:     by_value
      - .offset:         24
        .size:           8
        .value_kind:     by_value
    .group_segment_fixed_size: 0
    .kernarg_segment_align: 8
    .kernarg_segment_size: 32
    .language:       OpenCL C
    .language_version:
      - 2
      - 0
    .max_flat_workgroup_size: 256
    .name:           _ZN6thrust23THRUST_200600_302600_NS11hip_rocprim14__parallel_for6kernelILj256ENS1_20__uninitialized_fill7functorINS0_10device_ptrItEEtEEmLj1EEEvT0_T1_SA_
    .private_segment_fixed_size: 0
    .sgpr_count:     18
    .sgpr_spill_count: 0
    .symbol:         _ZN6thrust23THRUST_200600_302600_NS11hip_rocprim14__parallel_for6kernelILj256ENS1_20__uninitialized_fill7functorINS0_10device_ptrItEEtEEmLj1EEEvT0_T1_SA_.kd
    .uniform_work_group_size: 1
    .uses_dynamic_stack: false
    .vgpr_count:     3
    .vgpr_spill_count: 0
    .wavefront_size: 32
    .workgroup_processor_mode: 1
  - .args:
      - .offset:         0
        .size:           8
        .value_kind:     by_value
      - .address_space:  global
        .offset:         8
        .size:           8
        .value_kind:     global_buffer
      - .address_space:  global
        .offset:         16
        .size:           8
        .value_kind:     global_buffer
    .group_segment_fixed_size: 0
    .kernarg_segment_align: 8
    .kernarg_segment_size: 24
    .language:       OpenCL C
    .language_version:
      - 2
      - 0
    .max_flat_workgroup_size: 256
    .name:           _Z18lower_bound_kernelItEvmPT_Pl
    .private_segment_fixed_size: 0
    .sgpr_count:     19
    .sgpr_spill_count: 0
    .symbol:         _Z18lower_bound_kernelItEvmPT_Pl.kd
    .uniform_work_group_size: 1
    .uses_dynamic_stack: false
    .vgpr_count:     3
    .vgpr_spill_count: 0
    .wavefront_size: 32
    .workgroup_processor_mode: 1
  - .args:
      - .offset:         0
        .size:           56
        .value_kind:     by_value
    .group_segment_fixed_size: 0
    .kernarg_segment_align: 8
    .kernarg_segment_size: 56
    .language:       OpenCL C
    .language_version:
      - 2
      - 0
    .max_flat_workgroup_size: 256
    .name:           _ZN7rocprim17ROCPRIM_400000_NS6detail17trampoline_kernelINS0_14default_configENS1_27lower_bound_config_selectorItlEEZNS1_14transform_implILb0ES3_S5_N6thrust23THRUST_200600_302600_NS17counting_iteratorItNS8_11use_defaultESA_SA_EEPlZNS1_13binary_searchIS3_S5_PtSB_SC_NS1_21lower_bound_search_opENS8_6detail16wrapped_functionI11custom_lessbEEEE10hipError_tPvRmT1_T2_T3_mmT4_T5_P12ihipStream_tbEUlRKtE_EESK_SO_SP_mSQ_ST_bEUlT_E_NS1_11comp_targetILNS1_3genE0ELNS1_11target_archE4294967295ELNS1_3gpuE0ELNS1_3repE0EEENS1_30default_config_static_selectorELNS0_4arch9wavefront6targetE0EEEvSN_
    .private_segment_fixed_size: 0
    .sgpr_count:     0
    .sgpr_spill_count: 0
    .symbol:         _ZN7rocprim17ROCPRIM_400000_NS6detail17trampoline_kernelINS0_14default_configENS1_27lower_bound_config_selectorItlEEZNS1_14transform_implILb0ES3_S5_N6thrust23THRUST_200600_302600_NS17counting_iteratorItNS8_11use_defaultESA_SA_EEPlZNS1_13binary_searchIS3_S5_PtSB_SC_NS1_21lower_bound_search_opENS8_6detail16wrapped_functionI11custom_lessbEEEE10hipError_tPvRmT1_T2_T3_mmT4_T5_P12ihipStream_tbEUlRKtE_EESK_SO_SP_mSQ_ST_bEUlT_E_NS1_11comp_targetILNS1_3genE0ELNS1_11target_archE4294967295ELNS1_3gpuE0ELNS1_3repE0EEENS1_30default_config_static_selectorELNS0_4arch9wavefront6targetE0EEEvSN_.kd
    .uniform_work_group_size: 1
    .uses_dynamic_stack: false
    .vgpr_count:     0
    .vgpr_spill_count: 0
    .wavefront_size: 32
    .workgroup_processor_mode: 1
  - .args:
      - .offset:         0
        .size:           56
        .value_kind:     by_value
    .group_segment_fixed_size: 0
    .kernarg_segment_align: 8
    .kernarg_segment_size: 56
    .language:       OpenCL C
    .language_version:
      - 2
      - 0
    .max_flat_workgroup_size: 256
    .name:           _ZN7rocprim17ROCPRIM_400000_NS6detail17trampoline_kernelINS0_14default_configENS1_27lower_bound_config_selectorItlEEZNS1_14transform_implILb0ES3_S5_N6thrust23THRUST_200600_302600_NS17counting_iteratorItNS8_11use_defaultESA_SA_EEPlZNS1_13binary_searchIS3_S5_PtSB_SC_NS1_21lower_bound_search_opENS8_6detail16wrapped_functionI11custom_lessbEEEE10hipError_tPvRmT1_T2_T3_mmT4_T5_P12ihipStream_tbEUlRKtE_EESK_SO_SP_mSQ_ST_bEUlT_E_NS1_11comp_targetILNS1_3genE5ELNS1_11target_archE942ELNS1_3gpuE9ELNS1_3repE0EEENS1_30default_config_static_selectorELNS0_4arch9wavefront6targetE0EEEvSN_
    .private_segment_fixed_size: 0
    .sgpr_count:     0
    .sgpr_spill_count: 0
    .symbol:         _ZN7rocprim17ROCPRIM_400000_NS6detail17trampoline_kernelINS0_14default_configENS1_27lower_bound_config_selectorItlEEZNS1_14transform_implILb0ES3_S5_N6thrust23THRUST_200600_302600_NS17counting_iteratorItNS8_11use_defaultESA_SA_EEPlZNS1_13binary_searchIS3_S5_PtSB_SC_NS1_21lower_bound_search_opENS8_6detail16wrapped_functionI11custom_lessbEEEE10hipError_tPvRmT1_T2_T3_mmT4_T5_P12ihipStream_tbEUlRKtE_EESK_SO_SP_mSQ_ST_bEUlT_E_NS1_11comp_targetILNS1_3genE5ELNS1_11target_archE942ELNS1_3gpuE9ELNS1_3repE0EEENS1_30default_config_static_selectorELNS0_4arch9wavefront6targetE0EEEvSN_.kd
    .uniform_work_group_size: 1
    .uses_dynamic_stack: false
    .vgpr_count:     0
    .vgpr_spill_count: 0
    .wavefront_size: 32
    .workgroup_processor_mode: 1
  - .args:
      - .offset:         0
        .size:           56
        .value_kind:     by_value
    .group_segment_fixed_size: 0
    .kernarg_segment_align: 8
    .kernarg_segment_size: 56
    .language:       OpenCL C
    .language_version:
      - 2
      - 0
    .max_flat_workgroup_size: 256
    .name:           _ZN7rocprim17ROCPRIM_400000_NS6detail17trampoline_kernelINS0_14default_configENS1_27lower_bound_config_selectorItlEEZNS1_14transform_implILb0ES3_S5_N6thrust23THRUST_200600_302600_NS17counting_iteratorItNS8_11use_defaultESA_SA_EEPlZNS1_13binary_searchIS3_S5_PtSB_SC_NS1_21lower_bound_search_opENS8_6detail16wrapped_functionI11custom_lessbEEEE10hipError_tPvRmT1_T2_T3_mmT4_T5_P12ihipStream_tbEUlRKtE_EESK_SO_SP_mSQ_ST_bEUlT_E_NS1_11comp_targetILNS1_3genE4ELNS1_11target_archE910ELNS1_3gpuE8ELNS1_3repE0EEENS1_30default_config_static_selectorELNS0_4arch9wavefront6targetE0EEEvSN_
    .private_segment_fixed_size: 0
    .sgpr_count:     0
    .sgpr_spill_count: 0
    .symbol:         _ZN7rocprim17ROCPRIM_400000_NS6detail17trampoline_kernelINS0_14default_configENS1_27lower_bound_config_selectorItlEEZNS1_14transform_implILb0ES3_S5_N6thrust23THRUST_200600_302600_NS17counting_iteratorItNS8_11use_defaultESA_SA_EEPlZNS1_13binary_searchIS3_S5_PtSB_SC_NS1_21lower_bound_search_opENS8_6detail16wrapped_functionI11custom_lessbEEEE10hipError_tPvRmT1_T2_T3_mmT4_T5_P12ihipStream_tbEUlRKtE_EESK_SO_SP_mSQ_ST_bEUlT_E_NS1_11comp_targetILNS1_3genE4ELNS1_11target_archE910ELNS1_3gpuE8ELNS1_3repE0EEENS1_30default_config_static_selectorELNS0_4arch9wavefront6targetE0EEEvSN_.kd
    .uniform_work_group_size: 1
    .uses_dynamic_stack: false
    .vgpr_count:     0
    .vgpr_spill_count: 0
    .wavefront_size: 32
    .workgroup_processor_mode: 1
  - .args:
      - .offset:         0
        .size:           56
        .value_kind:     by_value
    .group_segment_fixed_size: 0
    .kernarg_segment_align: 8
    .kernarg_segment_size: 56
    .language:       OpenCL C
    .language_version:
      - 2
      - 0
    .max_flat_workgroup_size: 256
    .name:           _ZN7rocprim17ROCPRIM_400000_NS6detail17trampoline_kernelINS0_14default_configENS1_27lower_bound_config_selectorItlEEZNS1_14transform_implILb0ES3_S5_N6thrust23THRUST_200600_302600_NS17counting_iteratorItNS8_11use_defaultESA_SA_EEPlZNS1_13binary_searchIS3_S5_PtSB_SC_NS1_21lower_bound_search_opENS8_6detail16wrapped_functionI11custom_lessbEEEE10hipError_tPvRmT1_T2_T3_mmT4_T5_P12ihipStream_tbEUlRKtE_EESK_SO_SP_mSQ_ST_bEUlT_E_NS1_11comp_targetILNS1_3genE3ELNS1_11target_archE908ELNS1_3gpuE7ELNS1_3repE0EEENS1_30default_config_static_selectorELNS0_4arch9wavefront6targetE0EEEvSN_
    .private_segment_fixed_size: 0
    .sgpr_count:     0
    .sgpr_spill_count: 0
    .symbol:         _ZN7rocprim17ROCPRIM_400000_NS6detail17trampoline_kernelINS0_14default_configENS1_27lower_bound_config_selectorItlEEZNS1_14transform_implILb0ES3_S5_N6thrust23THRUST_200600_302600_NS17counting_iteratorItNS8_11use_defaultESA_SA_EEPlZNS1_13binary_searchIS3_S5_PtSB_SC_NS1_21lower_bound_search_opENS8_6detail16wrapped_functionI11custom_lessbEEEE10hipError_tPvRmT1_T2_T3_mmT4_T5_P12ihipStream_tbEUlRKtE_EESK_SO_SP_mSQ_ST_bEUlT_E_NS1_11comp_targetILNS1_3genE3ELNS1_11target_archE908ELNS1_3gpuE7ELNS1_3repE0EEENS1_30default_config_static_selectorELNS0_4arch9wavefront6targetE0EEEvSN_.kd
    .uniform_work_group_size: 1
    .uses_dynamic_stack: false
    .vgpr_count:     0
    .vgpr_spill_count: 0
    .wavefront_size: 32
    .workgroup_processor_mode: 1
  - .args:
      - .offset:         0
        .size:           56
        .value_kind:     by_value
    .group_segment_fixed_size: 0
    .kernarg_segment_align: 8
    .kernarg_segment_size: 56
    .language:       OpenCL C
    .language_version:
      - 2
      - 0
    .max_flat_workgroup_size: 256
    .name:           _ZN7rocprim17ROCPRIM_400000_NS6detail17trampoline_kernelINS0_14default_configENS1_27lower_bound_config_selectorItlEEZNS1_14transform_implILb0ES3_S5_N6thrust23THRUST_200600_302600_NS17counting_iteratorItNS8_11use_defaultESA_SA_EEPlZNS1_13binary_searchIS3_S5_PtSB_SC_NS1_21lower_bound_search_opENS8_6detail16wrapped_functionI11custom_lessbEEEE10hipError_tPvRmT1_T2_T3_mmT4_T5_P12ihipStream_tbEUlRKtE_EESK_SO_SP_mSQ_ST_bEUlT_E_NS1_11comp_targetILNS1_3genE2ELNS1_11target_archE906ELNS1_3gpuE6ELNS1_3repE0EEENS1_30default_config_static_selectorELNS0_4arch9wavefront6targetE0EEEvSN_
    .private_segment_fixed_size: 0
    .sgpr_count:     0
    .sgpr_spill_count: 0
    .symbol:         _ZN7rocprim17ROCPRIM_400000_NS6detail17trampoline_kernelINS0_14default_configENS1_27lower_bound_config_selectorItlEEZNS1_14transform_implILb0ES3_S5_N6thrust23THRUST_200600_302600_NS17counting_iteratorItNS8_11use_defaultESA_SA_EEPlZNS1_13binary_searchIS3_S5_PtSB_SC_NS1_21lower_bound_search_opENS8_6detail16wrapped_functionI11custom_lessbEEEE10hipError_tPvRmT1_T2_T3_mmT4_T5_P12ihipStream_tbEUlRKtE_EESK_SO_SP_mSQ_ST_bEUlT_E_NS1_11comp_targetILNS1_3genE2ELNS1_11target_archE906ELNS1_3gpuE6ELNS1_3repE0EEENS1_30default_config_static_selectorELNS0_4arch9wavefront6targetE0EEEvSN_.kd
    .uniform_work_group_size: 1
    .uses_dynamic_stack: false
    .vgpr_count:     0
    .vgpr_spill_count: 0
    .wavefront_size: 32
    .workgroup_processor_mode: 1
  - .args:
      - .offset:         0
        .size:           56
        .value_kind:     by_value
    .group_segment_fixed_size: 0
    .kernarg_segment_align: 8
    .kernarg_segment_size: 56
    .language:       OpenCL C
    .language_version:
      - 2
      - 0
    .max_flat_workgroup_size: 256
    .name:           _ZN7rocprim17ROCPRIM_400000_NS6detail17trampoline_kernelINS0_14default_configENS1_27lower_bound_config_selectorItlEEZNS1_14transform_implILb0ES3_S5_N6thrust23THRUST_200600_302600_NS17counting_iteratorItNS8_11use_defaultESA_SA_EEPlZNS1_13binary_searchIS3_S5_PtSB_SC_NS1_21lower_bound_search_opENS8_6detail16wrapped_functionI11custom_lessbEEEE10hipError_tPvRmT1_T2_T3_mmT4_T5_P12ihipStream_tbEUlRKtE_EESK_SO_SP_mSQ_ST_bEUlT_E_NS1_11comp_targetILNS1_3genE10ELNS1_11target_archE1201ELNS1_3gpuE5ELNS1_3repE0EEENS1_30default_config_static_selectorELNS0_4arch9wavefront6targetE0EEEvSN_
    .private_segment_fixed_size: 0
    .sgpr_count:     0
    .sgpr_spill_count: 0
    .symbol:         _ZN7rocprim17ROCPRIM_400000_NS6detail17trampoline_kernelINS0_14default_configENS1_27lower_bound_config_selectorItlEEZNS1_14transform_implILb0ES3_S5_N6thrust23THRUST_200600_302600_NS17counting_iteratorItNS8_11use_defaultESA_SA_EEPlZNS1_13binary_searchIS3_S5_PtSB_SC_NS1_21lower_bound_search_opENS8_6detail16wrapped_functionI11custom_lessbEEEE10hipError_tPvRmT1_T2_T3_mmT4_T5_P12ihipStream_tbEUlRKtE_EESK_SO_SP_mSQ_ST_bEUlT_E_NS1_11comp_targetILNS1_3genE10ELNS1_11target_archE1201ELNS1_3gpuE5ELNS1_3repE0EEENS1_30default_config_static_selectorELNS0_4arch9wavefront6targetE0EEEvSN_.kd
    .uniform_work_group_size: 1
    .uses_dynamic_stack: false
    .vgpr_count:     0
    .vgpr_spill_count: 0
    .wavefront_size: 32
    .workgroup_processor_mode: 1
  - .args:
      - .offset:         0
        .size:           56
        .value_kind:     by_value
    .group_segment_fixed_size: 0
    .kernarg_segment_align: 8
    .kernarg_segment_size: 56
    .language:       OpenCL C
    .language_version:
      - 2
      - 0
    .max_flat_workgroup_size: 256
    .name:           _ZN7rocprim17ROCPRIM_400000_NS6detail17trampoline_kernelINS0_14default_configENS1_27lower_bound_config_selectorItlEEZNS1_14transform_implILb0ES3_S5_N6thrust23THRUST_200600_302600_NS17counting_iteratorItNS8_11use_defaultESA_SA_EEPlZNS1_13binary_searchIS3_S5_PtSB_SC_NS1_21lower_bound_search_opENS8_6detail16wrapped_functionI11custom_lessbEEEE10hipError_tPvRmT1_T2_T3_mmT4_T5_P12ihipStream_tbEUlRKtE_EESK_SO_SP_mSQ_ST_bEUlT_E_NS1_11comp_targetILNS1_3genE10ELNS1_11target_archE1200ELNS1_3gpuE4ELNS1_3repE0EEENS1_30default_config_static_selectorELNS0_4arch9wavefront6targetE0EEEvSN_
    .private_segment_fixed_size: 0
    .sgpr_count:     0
    .sgpr_spill_count: 0
    .symbol:         _ZN7rocprim17ROCPRIM_400000_NS6detail17trampoline_kernelINS0_14default_configENS1_27lower_bound_config_selectorItlEEZNS1_14transform_implILb0ES3_S5_N6thrust23THRUST_200600_302600_NS17counting_iteratorItNS8_11use_defaultESA_SA_EEPlZNS1_13binary_searchIS3_S5_PtSB_SC_NS1_21lower_bound_search_opENS8_6detail16wrapped_functionI11custom_lessbEEEE10hipError_tPvRmT1_T2_T3_mmT4_T5_P12ihipStream_tbEUlRKtE_EESK_SO_SP_mSQ_ST_bEUlT_E_NS1_11comp_targetILNS1_3genE10ELNS1_11target_archE1200ELNS1_3gpuE4ELNS1_3repE0EEENS1_30default_config_static_selectorELNS0_4arch9wavefront6targetE0EEEvSN_.kd
    .uniform_work_group_size: 1
    .uses_dynamic_stack: false
    .vgpr_count:     0
    .vgpr_spill_count: 0
    .wavefront_size: 32
    .workgroup_processor_mode: 1
  - .args:
      - .offset:         0
        .size:           56
        .value_kind:     by_value
      - .offset:         56
        .size:           4
        .value_kind:     hidden_block_count_x
      - .offset:         60
        .size:           4
        .value_kind:     hidden_block_count_y
      - .offset:         64
        .size:           4
        .value_kind:     hidden_block_count_z
      - .offset:         68
        .size:           2
        .value_kind:     hidden_group_size_x
      - .offset:         70
        .size:           2
        .value_kind:     hidden_group_size_y
      - .offset:         72
        .size:           2
        .value_kind:     hidden_group_size_z
      - .offset:         74
        .size:           2
        .value_kind:     hidden_remainder_x
      - .offset:         76
        .size:           2
        .value_kind:     hidden_remainder_y
      - .offset:         78
        .size:           2
        .value_kind:     hidden_remainder_z
      - .offset:         96
        .size:           8
        .value_kind:     hidden_global_offset_x
      - .offset:         104
        .size:           8
        .value_kind:     hidden_global_offset_y
      - .offset:         112
        .size:           8
        .value_kind:     hidden_global_offset_z
      - .offset:         120
        .size:           2
        .value_kind:     hidden_grid_dims
    .group_segment_fixed_size: 0
    .kernarg_segment_align: 8
    .kernarg_segment_size: 312
    .language:       OpenCL C
    .language_version:
      - 2
      - 0
    .max_flat_workgroup_size: 64
    .name:           _ZN7rocprim17ROCPRIM_400000_NS6detail17trampoline_kernelINS0_14default_configENS1_27lower_bound_config_selectorItlEEZNS1_14transform_implILb0ES3_S5_N6thrust23THRUST_200600_302600_NS17counting_iteratorItNS8_11use_defaultESA_SA_EEPlZNS1_13binary_searchIS3_S5_PtSB_SC_NS1_21lower_bound_search_opENS8_6detail16wrapped_functionI11custom_lessbEEEE10hipError_tPvRmT1_T2_T3_mmT4_T5_P12ihipStream_tbEUlRKtE_EESK_SO_SP_mSQ_ST_bEUlT_E_NS1_11comp_targetILNS1_3genE9ELNS1_11target_archE1100ELNS1_3gpuE3ELNS1_3repE0EEENS1_30default_config_static_selectorELNS0_4arch9wavefront6targetE0EEEvSN_
    .private_segment_fixed_size: 0
    .sgpr_count:     29
    .sgpr_spill_count: 0
    .symbol:         _ZN7rocprim17ROCPRIM_400000_NS6detail17trampoline_kernelINS0_14default_configENS1_27lower_bound_config_selectorItlEEZNS1_14transform_implILb0ES3_S5_N6thrust23THRUST_200600_302600_NS17counting_iteratorItNS8_11use_defaultESA_SA_EEPlZNS1_13binary_searchIS3_S5_PtSB_SC_NS1_21lower_bound_search_opENS8_6detail16wrapped_functionI11custom_lessbEEEE10hipError_tPvRmT1_T2_T3_mmT4_T5_P12ihipStream_tbEUlRKtE_EESK_SO_SP_mSQ_ST_bEUlT_E_NS1_11comp_targetILNS1_3genE9ELNS1_11target_archE1100ELNS1_3gpuE3ELNS1_3repE0EEENS1_30default_config_static_selectorELNS0_4arch9wavefront6targetE0EEEvSN_.kd
    .uniform_work_group_size: 1
    .uses_dynamic_stack: false
    .vgpr_count:     41
    .vgpr_spill_count: 0
    .wavefront_size: 32
    .workgroup_processor_mode: 1
  - .args:
      - .offset:         0
        .size:           56
        .value_kind:     by_value
    .group_segment_fixed_size: 0
    .kernarg_segment_align: 8
    .kernarg_segment_size: 56
    .language:       OpenCL C
    .language_version:
      - 2
      - 0
    .max_flat_workgroup_size: 128
    .name:           _ZN7rocprim17ROCPRIM_400000_NS6detail17trampoline_kernelINS0_14default_configENS1_27lower_bound_config_selectorItlEEZNS1_14transform_implILb0ES3_S5_N6thrust23THRUST_200600_302600_NS17counting_iteratorItNS8_11use_defaultESA_SA_EEPlZNS1_13binary_searchIS3_S5_PtSB_SC_NS1_21lower_bound_search_opENS8_6detail16wrapped_functionI11custom_lessbEEEE10hipError_tPvRmT1_T2_T3_mmT4_T5_P12ihipStream_tbEUlRKtE_EESK_SO_SP_mSQ_ST_bEUlT_E_NS1_11comp_targetILNS1_3genE8ELNS1_11target_archE1030ELNS1_3gpuE2ELNS1_3repE0EEENS1_30default_config_static_selectorELNS0_4arch9wavefront6targetE0EEEvSN_
    .private_segment_fixed_size: 0
    .sgpr_count:     0
    .sgpr_spill_count: 0
    .symbol:         _ZN7rocprim17ROCPRIM_400000_NS6detail17trampoline_kernelINS0_14default_configENS1_27lower_bound_config_selectorItlEEZNS1_14transform_implILb0ES3_S5_N6thrust23THRUST_200600_302600_NS17counting_iteratorItNS8_11use_defaultESA_SA_EEPlZNS1_13binary_searchIS3_S5_PtSB_SC_NS1_21lower_bound_search_opENS8_6detail16wrapped_functionI11custom_lessbEEEE10hipError_tPvRmT1_T2_T3_mmT4_T5_P12ihipStream_tbEUlRKtE_EESK_SO_SP_mSQ_ST_bEUlT_E_NS1_11comp_targetILNS1_3genE8ELNS1_11target_archE1030ELNS1_3gpuE2ELNS1_3repE0EEENS1_30default_config_static_selectorELNS0_4arch9wavefront6targetE0EEEvSN_.kd
    .uniform_work_group_size: 1
    .uses_dynamic_stack: false
    .vgpr_count:     0
    .vgpr_spill_count: 0
    .wavefront_size: 32
    .workgroup_processor_mode: 1
  - .args:
      - .offset:         0
        .size:           16
        .value_kind:     by_value
      - .offset:         16
        .size:           8
        .value_kind:     by_value
      - .offset:         24
        .size:           8
        .value_kind:     by_value
    .group_segment_fixed_size: 0
    .kernarg_segment_align: 8
    .kernarg_segment_size: 32
    .language:       OpenCL C
    .language_version:
      - 2
      - 0
    .max_flat_workgroup_size: 256
    .name:           _ZN6thrust23THRUST_200600_302600_NS11hip_rocprim14__parallel_for6kernelILj256ENS1_20__uninitialized_fill7functorINS0_10device_ptrIxEExEEmLj1EEEvT0_T1_SA_
    .private_segment_fixed_size: 0
    .sgpr_count:     18
    .sgpr_spill_count: 0
    .symbol:         _ZN6thrust23THRUST_200600_302600_NS11hip_rocprim14__parallel_for6kernelILj256ENS1_20__uninitialized_fill7functorINS0_10device_ptrIxEExEEmLj1EEEvT0_T1_SA_.kd
    .uniform_work_group_size: 1
    .uses_dynamic_stack: false
    .vgpr_count:     4
    .vgpr_spill_count: 0
    .wavefront_size: 32
    .workgroup_processor_mode: 1
  - .args:
      - .offset:         0
        .size:           8
        .value_kind:     by_value
      - .address_space:  global
        .offset:         8
        .size:           8
        .value_kind:     global_buffer
      - .address_space:  global
        .offset:         16
        .size:           8
        .value_kind:     global_buffer
    .group_segment_fixed_size: 0
    .kernarg_segment_align: 8
    .kernarg_segment_size: 24
    .language:       OpenCL C
    .language_version:
      - 2
      - 0
    .max_flat_workgroup_size: 256
    .name:           _Z18lower_bound_kernelIxEvmPT_Pl
    .private_segment_fixed_size: 0
    .sgpr_count:     19
    .sgpr_spill_count: 0
    .symbol:         _Z18lower_bound_kernelIxEvmPT_Pl.kd
    .uniform_work_group_size: 1
    .uses_dynamic_stack: false
    .vgpr_count:     3
    .vgpr_spill_count: 0
    .wavefront_size: 32
    .workgroup_processor_mode: 1
  - .args:
      - .offset:         0
        .size:           56
        .value_kind:     by_value
    .group_segment_fixed_size: 0
    .kernarg_segment_align: 8
    .kernarg_segment_size: 56
    .language:       OpenCL C
    .language_version:
      - 2
      - 0
    .max_flat_workgroup_size: 128
    .name:           _ZN7rocprim17ROCPRIM_400000_NS6detail17trampoline_kernelINS0_14default_configENS1_27lower_bound_config_selectorIxlEEZNS1_14transform_implILb0ES3_S5_N6thrust23THRUST_200600_302600_NS17counting_iteratorIxNS8_11use_defaultESA_SA_EEPlZNS1_13binary_searchIS3_S5_PxSB_SC_NS1_21lower_bound_search_opENS8_6detail16wrapped_functionI11custom_lessbEEEE10hipError_tPvRmT1_T2_T3_mmT4_T5_P12ihipStream_tbEUlRKxE_EESK_SO_SP_mSQ_ST_bEUlT_E_NS1_11comp_targetILNS1_3genE0ELNS1_11target_archE4294967295ELNS1_3gpuE0ELNS1_3repE0EEENS1_30default_config_static_selectorELNS0_4arch9wavefront6targetE0EEEvSN_
    .private_segment_fixed_size: 0
    .sgpr_count:     0
    .sgpr_spill_count: 0
    .symbol:         _ZN7rocprim17ROCPRIM_400000_NS6detail17trampoline_kernelINS0_14default_configENS1_27lower_bound_config_selectorIxlEEZNS1_14transform_implILb0ES3_S5_N6thrust23THRUST_200600_302600_NS17counting_iteratorIxNS8_11use_defaultESA_SA_EEPlZNS1_13binary_searchIS3_S5_PxSB_SC_NS1_21lower_bound_search_opENS8_6detail16wrapped_functionI11custom_lessbEEEE10hipError_tPvRmT1_T2_T3_mmT4_T5_P12ihipStream_tbEUlRKxE_EESK_SO_SP_mSQ_ST_bEUlT_E_NS1_11comp_targetILNS1_3genE0ELNS1_11target_archE4294967295ELNS1_3gpuE0ELNS1_3repE0EEENS1_30default_config_static_selectorELNS0_4arch9wavefront6targetE0EEEvSN_.kd
    .uniform_work_group_size: 1
    .uses_dynamic_stack: false
    .vgpr_count:     0
    .vgpr_spill_count: 0
    .wavefront_size: 32
    .workgroup_processor_mode: 1
  - .args:
      - .offset:         0
        .size:           56
        .value_kind:     by_value
    .group_segment_fixed_size: 0
    .kernarg_segment_align: 8
    .kernarg_segment_size: 56
    .language:       OpenCL C
    .language_version:
      - 2
      - 0
    .max_flat_workgroup_size: 64
    .name:           _ZN7rocprim17ROCPRIM_400000_NS6detail17trampoline_kernelINS0_14default_configENS1_27lower_bound_config_selectorIxlEEZNS1_14transform_implILb0ES3_S5_N6thrust23THRUST_200600_302600_NS17counting_iteratorIxNS8_11use_defaultESA_SA_EEPlZNS1_13binary_searchIS3_S5_PxSB_SC_NS1_21lower_bound_search_opENS8_6detail16wrapped_functionI11custom_lessbEEEE10hipError_tPvRmT1_T2_T3_mmT4_T5_P12ihipStream_tbEUlRKxE_EESK_SO_SP_mSQ_ST_bEUlT_E_NS1_11comp_targetILNS1_3genE5ELNS1_11target_archE942ELNS1_3gpuE9ELNS1_3repE0EEENS1_30default_config_static_selectorELNS0_4arch9wavefront6targetE0EEEvSN_
    .private_segment_fixed_size: 0
    .sgpr_count:     0
    .sgpr_spill_count: 0
    .symbol:         _ZN7rocprim17ROCPRIM_400000_NS6detail17trampoline_kernelINS0_14default_configENS1_27lower_bound_config_selectorIxlEEZNS1_14transform_implILb0ES3_S5_N6thrust23THRUST_200600_302600_NS17counting_iteratorIxNS8_11use_defaultESA_SA_EEPlZNS1_13binary_searchIS3_S5_PxSB_SC_NS1_21lower_bound_search_opENS8_6detail16wrapped_functionI11custom_lessbEEEE10hipError_tPvRmT1_T2_T3_mmT4_T5_P12ihipStream_tbEUlRKxE_EESK_SO_SP_mSQ_ST_bEUlT_E_NS1_11comp_targetILNS1_3genE5ELNS1_11target_archE942ELNS1_3gpuE9ELNS1_3repE0EEENS1_30default_config_static_selectorELNS0_4arch9wavefront6targetE0EEEvSN_.kd
    .uniform_work_group_size: 1
    .uses_dynamic_stack: false
    .vgpr_count:     0
    .vgpr_spill_count: 0
    .wavefront_size: 32
    .workgroup_processor_mode: 1
  - .args:
      - .offset:         0
        .size:           56
        .value_kind:     by_value
    .group_segment_fixed_size: 0
    .kernarg_segment_align: 8
    .kernarg_segment_size: 56
    .language:       OpenCL C
    .language_version:
      - 2
      - 0
    .max_flat_workgroup_size: 64
    .name:           _ZN7rocprim17ROCPRIM_400000_NS6detail17trampoline_kernelINS0_14default_configENS1_27lower_bound_config_selectorIxlEEZNS1_14transform_implILb0ES3_S5_N6thrust23THRUST_200600_302600_NS17counting_iteratorIxNS8_11use_defaultESA_SA_EEPlZNS1_13binary_searchIS3_S5_PxSB_SC_NS1_21lower_bound_search_opENS8_6detail16wrapped_functionI11custom_lessbEEEE10hipError_tPvRmT1_T2_T3_mmT4_T5_P12ihipStream_tbEUlRKxE_EESK_SO_SP_mSQ_ST_bEUlT_E_NS1_11comp_targetILNS1_3genE4ELNS1_11target_archE910ELNS1_3gpuE8ELNS1_3repE0EEENS1_30default_config_static_selectorELNS0_4arch9wavefront6targetE0EEEvSN_
    .private_segment_fixed_size: 0
    .sgpr_count:     0
    .sgpr_spill_count: 0
    .symbol:         _ZN7rocprim17ROCPRIM_400000_NS6detail17trampoline_kernelINS0_14default_configENS1_27lower_bound_config_selectorIxlEEZNS1_14transform_implILb0ES3_S5_N6thrust23THRUST_200600_302600_NS17counting_iteratorIxNS8_11use_defaultESA_SA_EEPlZNS1_13binary_searchIS3_S5_PxSB_SC_NS1_21lower_bound_search_opENS8_6detail16wrapped_functionI11custom_lessbEEEE10hipError_tPvRmT1_T2_T3_mmT4_T5_P12ihipStream_tbEUlRKxE_EESK_SO_SP_mSQ_ST_bEUlT_E_NS1_11comp_targetILNS1_3genE4ELNS1_11target_archE910ELNS1_3gpuE8ELNS1_3repE0EEENS1_30default_config_static_selectorELNS0_4arch9wavefront6targetE0EEEvSN_.kd
    .uniform_work_group_size: 1
    .uses_dynamic_stack: false
    .vgpr_count:     0
    .vgpr_spill_count: 0
    .wavefront_size: 32
    .workgroup_processor_mode: 1
  - .args:
      - .offset:         0
        .size:           56
        .value_kind:     by_value
    .group_segment_fixed_size: 0
    .kernarg_segment_align: 8
    .kernarg_segment_size: 56
    .language:       OpenCL C
    .language_version:
      - 2
      - 0
    .max_flat_workgroup_size: 128
    .name:           _ZN7rocprim17ROCPRIM_400000_NS6detail17trampoline_kernelINS0_14default_configENS1_27lower_bound_config_selectorIxlEEZNS1_14transform_implILb0ES3_S5_N6thrust23THRUST_200600_302600_NS17counting_iteratorIxNS8_11use_defaultESA_SA_EEPlZNS1_13binary_searchIS3_S5_PxSB_SC_NS1_21lower_bound_search_opENS8_6detail16wrapped_functionI11custom_lessbEEEE10hipError_tPvRmT1_T2_T3_mmT4_T5_P12ihipStream_tbEUlRKxE_EESK_SO_SP_mSQ_ST_bEUlT_E_NS1_11comp_targetILNS1_3genE3ELNS1_11target_archE908ELNS1_3gpuE7ELNS1_3repE0EEENS1_30default_config_static_selectorELNS0_4arch9wavefront6targetE0EEEvSN_
    .private_segment_fixed_size: 0
    .sgpr_count:     0
    .sgpr_spill_count: 0
    .symbol:         _ZN7rocprim17ROCPRIM_400000_NS6detail17trampoline_kernelINS0_14default_configENS1_27lower_bound_config_selectorIxlEEZNS1_14transform_implILb0ES3_S5_N6thrust23THRUST_200600_302600_NS17counting_iteratorIxNS8_11use_defaultESA_SA_EEPlZNS1_13binary_searchIS3_S5_PxSB_SC_NS1_21lower_bound_search_opENS8_6detail16wrapped_functionI11custom_lessbEEEE10hipError_tPvRmT1_T2_T3_mmT4_T5_P12ihipStream_tbEUlRKxE_EESK_SO_SP_mSQ_ST_bEUlT_E_NS1_11comp_targetILNS1_3genE3ELNS1_11target_archE908ELNS1_3gpuE7ELNS1_3repE0EEENS1_30default_config_static_selectorELNS0_4arch9wavefront6targetE0EEEvSN_.kd
    .uniform_work_group_size: 1
    .uses_dynamic_stack: false
    .vgpr_count:     0
    .vgpr_spill_count: 0
    .wavefront_size: 32
    .workgroup_processor_mode: 1
  - .args:
      - .offset:         0
        .size:           56
        .value_kind:     by_value
    .group_segment_fixed_size: 0
    .kernarg_segment_align: 8
    .kernarg_segment_size: 56
    .language:       OpenCL C
    .language_version:
      - 2
      - 0
    .max_flat_workgroup_size: 256
    .name:           _ZN7rocprim17ROCPRIM_400000_NS6detail17trampoline_kernelINS0_14default_configENS1_27lower_bound_config_selectorIxlEEZNS1_14transform_implILb0ES3_S5_N6thrust23THRUST_200600_302600_NS17counting_iteratorIxNS8_11use_defaultESA_SA_EEPlZNS1_13binary_searchIS3_S5_PxSB_SC_NS1_21lower_bound_search_opENS8_6detail16wrapped_functionI11custom_lessbEEEE10hipError_tPvRmT1_T2_T3_mmT4_T5_P12ihipStream_tbEUlRKxE_EESK_SO_SP_mSQ_ST_bEUlT_E_NS1_11comp_targetILNS1_3genE2ELNS1_11target_archE906ELNS1_3gpuE6ELNS1_3repE0EEENS1_30default_config_static_selectorELNS0_4arch9wavefront6targetE0EEEvSN_
    .private_segment_fixed_size: 0
    .sgpr_count:     0
    .sgpr_spill_count: 0
    .symbol:         _ZN7rocprim17ROCPRIM_400000_NS6detail17trampoline_kernelINS0_14default_configENS1_27lower_bound_config_selectorIxlEEZNS1_14transform_implILb0ES3_S5_N6thrust23THRUST_200600_302600_NS17counting_iteratorIxNS8_11use_defaultESA_SA_EEPlZNS1_13binary_searchIS3_S5_PxSB_SC_NS1_21lower_bound_search_opENS8_6detail16wrapped_functionI11custom_lessbEEEE10hipError_tPvRmT1_T2_T3_mmT4_T5_P12ihipStream_tbEUlRKxE_EESK_SO_SP_mSQ_ST_bEUlT_E_NS1_11comp_targetILNS1_3genE2ELNS1_11target_archE906ELNS1_3gpuE6ELNS1_3repE0EEENS1_30default_config_static_selectorELNS0_4arch9wavefront6targetE0EEEvSN_.kd
    .uniform_work_group_size: 1
    .uses_dynamic_stack: false
    .vgpr_count:     0
    .vgpr_spill_count: 0
    .wavefront_size: 32
    .workgroup_processor_mode: 1
  - .args:
      - .offset:         0
        .size:           56
        .value_kind:     by_value
    .group_segment_fixed_size: 0
    .kernarg_segment_align: 8
    .kernarg_segment_size: 56
    .language:       OpenCL C
    .language_version:
      - 2
      - 0
    .max_flat_workgroup_size: 128
    .name:           _ZN7rocprim17ROCPRIM_400000_NS6detail17trampoline_kernelINS0_14default_configENS1_27lower_bound_config_selectorIxlEEZNS1_14transform_implILb0ES3_S5_N6thrust23THRUST_200600_302600_NS17counting_iteratorIxNS8_11use_defaultESA_SA_EEPlZNS1_13binary_searchIS3_S5_PxSB_SC_NS1_21lower_bound_search_opENS8_6detail16wrapped_functionI11custom_lessbEEEE10hipError_tPvRmT1_T2_T3_mmT4_T5_P12ihipStream_tbEUlRKxE_EESK_SO_SP_mSQ_ST_bEUlT_E_NS1_11comp_targetILNS1_3genE10ELNS1_11target_archE1201ELNS1_3gpuE5ELNS1_3repE0EEENS1_30default_config_static_selectorELNS0_4arch9wavefront6targetE0EEEvSN_
    .private_segment_fixed_size: 0
    .sgpr_count:     0
    .sgpr_spill_count: 0
    .symbol:         _ZN7rocprim17ROCPRIM_400000_NS6detail17trampoline_kernelINS0_14default_configENS1_27lower_bound_config_selectorIxlEEZNS1_14transform_implILb0ES3_S5_N6thrust23THRUST_200600_302600_NS17counting_iteratorIxNS8_11use_defaultESA_SA_EEPlZNS1_13binary_searchIS3_S5_PxSB_SC_NS1_21lower_bound_search_opENS8_6detail16wrapped_functionI11custom_lessbEEEE10hipError_tPvRmT1_T2_T3_mmT4_T5_P12ihipStream_tbEUlRKxE_EESK_SO_SP_mSQ_ST_bEUlT_E_NS1_11comp_targetILNS1_3genE10ELNS1_11target_archE1201ELNS1_3gpuE5ELNS1_3repE0EEENS1_30default_config_static_selectorELNS0_4arch9wavefront6targetE0EEEvSN_.kd
    .uniform_work_group_size: 1
    .uses_dynamic_stack: false
    .vgpr_count:     0
    .vgpr_spill_count: 0
    .wavefront_size: 32
    .workgroup_processor_mode: 1
  - .args:
      - .offset:         0
        .size:           56
        .value_kind:     by_value
    .group_segment_fixed_size: 0
    .kernarg_segment_align: 8
    .kernarg_segment_size: 56
    .language:       OpenCL C
    .language_version:
      - 2
      - 0
    .max_flat_workgroup_size: 128
    .name:           _ZN7rocprim17ROCPRIM_400000_NS6detail17trampoline_kernelINS0_14default_configENS1_27lower_bound_config_selectorIxlEEZNS1_14transform_implILb0ES3_S5_N6thrust23THRUST_200600_302600_NS17counting_iteratorIxNS8_11use_defaultESA_SA_EEPlZNS1_13binary_searchIS3_S5_PxSB_SC_NS1_21lower_bound_search_opENS8_6detail16wrapped_functionI11custom_lessbEEEE10hipError_tPvRmT1_T2_T3_mmT4_T5_P12ihipStream_tbEUlRKxE_EESK_SO_SP_mSQ_ST_bEUlT_E_NS1_11comp_targetILNS1_3genE10ELNS1_11target_archE1200ELNS1_3gpuE4ELNS1_3repE0EEENS1_30default_config_static_selectorELNS0_4arch9wavefront6targetE0EEEvSN_
    .private_segment_fixed_size: 0
    .sgpr_count:     0
    .sgpr_spill_count: 0
    .symbol:         _ZN7rocprim17ROCPRIM_400000_NS6detail17trampoline_kernelINS0_14default_configENS1_27lower_bound_config_selectorIxlEEZNS1_14transform_implILb0ES3_S5_N6thrust23THRUST_200600_302600_NS17counting_iteratorIxNS8_11use_defaultESA_SA_EEPlZNS1_13binary_searchIS3_S5_PxSB_SC_NS1_21lower_bound_search_opENS8_6detail16wrapped_functionI11custom_lessbEEEE10hipError_tPvRmT1_T2_T3_mmT4_T5_P12ihipStream_tbEUlRKxE_EESK_SO_SP_mSQ_ST_bEUlT_E_NS1_11comp_targetILNS1_3genE10ELNS1_11target_archE1200ELNS1_3gpuE4ELNS1_3repE0EEENS1_30default_config_static_selectorELNS0_4arch9wavefront6targetE0EEEvSN_.kd
    .uniform_work_group_size: 1
    .uses_dynamic_stack: false
    .vgpr_count:     0
    .vgpr_spill_count: 0
    .wavefront_size: 32
    .workgroup_processor_mode: 1
  - .args:
      - .offset:         0
        .size:           56
        .value_kind:     by_value
      - .offset:         56
        .size:           4
        .value_kind:     hidden_block_count_x
      - .offset:         60
        .size:           4
        .value_kind:     hidden_block_count_y
      - .offset:         64
        .size:           4
        .value_kind:     hidden_block_count_z
      - .offset:         68
        .size:           2
        .value_kind:     hidden_group_size_x
      - .offset:         70
        .size:           2
        .value_kind:     hidden_group_size_y
      - .offset:         72
        .size:           2
        .value_kind:     hidden_group_size_z
      - .offset:         74
        .size:           2
        .value_kind:     hidden_remainder_x
      - .offset:         76
        .size:           2
        .value_kind:     hidden_remainder_y
      - .offset:         78
        .size:           2
        .value_kind:     hidden_remainder_z
      - .offset:         96
        .size:           8
        .value_kind:     hidden_global_offset_x
      - .offset:         104
        .size:           8
        .value_kind:     hidden_global_offset_y
      - .offset:         112
        .size:           8
        .value_kind:     hidden_global_offset_z
      - .offset:         120
        .size:           2
        .value_kind:     hidden_grid_dims
    .group_segment_fixed_size: 0
    .kernarg_segment_align: 8
    .kernarg_segment_size: 312
    .language:       OpenCL C
    .language_version:
      - 2
      - 0
    .max_flat_workgroup_size: 256
    .name:           _ZN7rocprim17ROCPRIM_400000_NS6detail17trampoline_kernelINS0_14default_configENS1_27lower_bound_config_selectorIxlEEZNS1_14transform_implILb0ES3_S5_N6thrust23THRUST_200600_302600_NS17counting_iteratorIxNS8_11use_defaultESA_SA_EEPlZNS1_13binary_searchIS3_S5_PxSB_SC_NS1_21lower_bound_search_opENS8_6detail16wrapped_functionI11custom_lessbEEEE10hipError_tPvRmT1_T2_T3_mmT4_T5_P12ihipStream_tbEUlRKxE_EESK_SO_SP_mSQ_ST_bEUlT_E_NS1_11comp_targetILNS1_3genE9ELNS1_11target_archE1100ELNS1_3gpuE3ELNS1_3repE0EEENS1_30default_config_static_selectorELNS0_4arch9wavefront6targetE0EEEvSN_
    .private_segment_fixed_size: 0
    .sgpr_count:     18
    .sgpr_spill_count: 0
    .symbol:         _ZN7rocprim17ROCPRIM_400000_NS6detail17trampoline_kernelINS0_14default_configENS1_27lower_bound_config_selectorIxlEEZNS1_14transform_implILb0ES3_S5_N6thrust23THRUST_200600_302600_NS17counting_iteratorIxNS8_11use_defaultESA_SA_EEPlZNS1_13binary_searchIS3_S5_PxSB_SC_NS1_21lower_bound_search_opENS8_6detail16wrapped_functionI11custom_lessbEEEE10hipError_tPvRmT1_T2_T3_mmT4_T5_P12ihipStream_tbEUlRKxE_EESK_SO_SP_mSQ_ST_bEUlT_E_NS1_11comp_targetILNS1_3genE9ELNS1_11target_archE1100ELNS1_3gpuE3ELNS1_3repE0EEENS1_30default_config_static_selectorELNS0_4arch9wavefront6targetE0EEEvSN_.kd
    .uniform_work_group_size: 1
    .uses_dynamic_stack: false
    .vgpr_count:     13
    .vgpr_spill_count: 0
    .wavefront_size: 32
    .workgroup_processor_mode: 1
  - .args:
      - .offset:         0
        .size:           56
        .value_kind:     by_value
    .group_segment_fixed_size: 0
    .kernarg_segment_align: 8
    .kernarg_segment_size: 56
    .language:       OpenCL C
    .language_version:
      - 2
      - 0
    .max_flat_workgroup_size: 256
    .name:           _ZN7rocprim17ROCPRIM_400000_NS6detail17trampoline_kernelINS0_14default_configENS1_27lower_bound_config_selectorIxlEEZNS1_14transform_implILb0ES3_S5_N6thrust23THRUST_200600_302600_NS17counting_iteratorIxNS8_11use_defaultESA_SA_EEPlZNS1_13binary_searchIS3_S5_PxSB_SC_NS1_21lower_bound_search_opENS8_6detail16wrapped_functionI11custom_lessbEEEE10hipError_tPvRmT1_T2_T3_mmT4_T5_P12ihipStream_tbEUlRKxE_EESK_SO_SP_mSQ_ST_bEUlT_E_NS1_11comp_targetILNS1_3genE8ELNS1_11target_archE1030ELNS1_3gpuE2ELNS1_3repE0EEENS1_30default_config_static_selectorELNS0_4arch9wavefront6targetE0EEEvSN_
    .private_segment_fixed_size: 0
    .sgpr_count:     0
    .sgpr_spill_count: 0
    .symbol:         _ZN7rocprim17ROCPRIM_400000_NS6detail17trampoline_kernelINS0_14default_configENS1_27lower_bound_config_selectorIxlEEZNS1_14transform_implILb0ES3_S5_N6thrust23THRUST_200600_302600_NS17counting_iteratorIxNS8_11use_defaultESA_SA_EEPlZNS1_13binary_searchIS3_S5_PxSB_SC_NS1_21lower_bound_search_opENS8_6detail16wrapped_functionI11custom_lessbEEEE10hipError_tPvRmT1_T2_T3_mmT4_T5_P12ihipStream_tbEUlRKxE_EESK_SO_SP_mSQ_ST_bEUlT_E_NS1_11comp_targetILNS1_3genE8ELNS1_11target_archE1030ELNS1_3gpuE2ELNS1_3repE0EEENS1_30default_config_static_selectorELNS0_4arch9wavefront6targetE0EEEvSN_.kd
    .uniform_work_group_size: 1
    .uses_dynamic_stack: false
    .vgpr_count:     0
    .vgpr_spill_count: 0
    .wavefront_size: 32
    .workgroup_processor_mode: 1
  - .args:
      - .offset:         0
        .size:           8
        .value_kind:     by_value
      - .address_space:  global
        .offset:         8
        .size:           8
        .value_kind:     global_buffer
      - .address_space:  global
        .offset:         16
        .size:           8
        .value_kind:     global_buffer
    .group_segment_fixed_size: 0
    .kernarg_segment_align: 8
    .kernarg_segment_size: 24
    .language:       OpenCL C
    .language_version:
      - 2
      - 0
    .max_flat_workgroup_size: 256
    .name:           _Z18lower_bound_kernelIiEvmPT_Pl
    .private_segment_fixed_size: 0
    .sgpr_count:     19
    .sgpr_spill_count: 0
    .symbol:         _Z18lower_bound_kernelIiEvmPT_Pl.kd
    .uniform_work_group_size: 1
    .uses_dynamic_stack: false
    .vgpr_count:     3
    .vgpr_spill_count: 0
    .wavefront_size: 32
    .workgroup_processor_mode: 1
  - .args:
      - .offset:         0
        .size:           56
        .value_kind:     by_value
    .group_segment_fixed_size: 0
    .kernarg_segment_align: 8
    .kernarg_segment_size: 56
    .language:       OpenCL C
    .language_version:
      - 2
      - 0
    .max_flat_workgroup_size: 256
    .name:           _ZN7rocprim17ROCPRIM_400000_NS6detail17trampoline_kernelINS0_14default_configENS1_27lower_bound_config_selectorIilEEZNS1_14transform_implILb0ES3_S5_N6thrust23THRUST_200600_302600_NS17counting_iteratorIiNS8_11use_defaultESA_SA_EEPlZNS1_13binary_searchIS3_S5_PiSB_SC_NS1_21lower_bound_search_opENS8_6detail16wrapped_functionI11custom_lessbEEEE10hipError_tPvRmT1_T2_T3_mmT4_T5_P12ihipStream_tbEUlRKiE_EESK_SO_SP_mSQ_ST_bEUlT_E_NS1_11comp_targetILNS1_3genE0ELNS1_11target_archE4294967295ELNS1_3gpuE0ELNS1_3repE0EEENS1_30default_config_static_selectorELNS0_4arch9wavefront6targetE0EEEvSN_
    .private_segment_fixed_size: 0
    .sgpr_count:     0
    .sgpr_spill_count: 0
    .symbol:         _ZN7rocprim17ROCPRIM_400000_NS6detail17trampoline_kernelINS0_14default_configENS1_27lower_bound_config_selectorIilEEZNS1_14transform_implILb0ES3_S5_N6thrust23THRUST_200600_302600_NS17counting_iteratorIiNS8_11use_defaultESA_SA_EEPlZNS1_13binary_searchIS3_S5_PiSB_SC_NS1_21lower_bound_search_opENS8_6detail16wrapped_functionI11custom_lessbEEEE10hipError_tPvRmT1_T2_T3_mmT4_T5_P12ihipStream_tbEUlRKiE_EESK_SO_SP_mSQ_ST_bEUlT_E_NS1_11comp_targetILNS1_3genE0ELNS1_11target_archE4294967295ELNS1_3gpuE0ELNS1_3repE0EEENS1_30default_config_static_selectorELNS0_4arch9wavefront6targetE0EEEvSN_.kd
    .uniform_work_group_size: 1
    .uses_dynamic_stack: false
    .vgpr_count:     0
    .vgpr_spill_count: 0
    .wavefront_size: 32
    .workgroup_processor_mode: 1
  - .args:
      - .offset:         0
        .size:           56
        .value_kind:     by_value
    .group_segment_fixed_size: 0
    .kernarg_segment_align: 8
    .kernarg_segment_size: 56
    .language:       OpenCL C
    .language_version:
      - 2
      - 0
    .max_flat_workgroup_size: 256
    .name:           _ZN7rocprim17ROCPRIM_400000_NS6detail17trampoline_kernelINS0_14default_configENS1_27lower_bound_config_selectorIilEEZNS1_14transform_implILb0ES3_S5_N6thrust23THRUST_200600_302600_NS17counting_iteratorIiNS8_11use_defaultESA_SA_EEPlZNS1_13binary_searchIS3_S5_PiSB_SC_NS1_21lower_bound_search_opENS8_6detail16wrapped_functionI11custom_lessbEEEE10hipError_tPvRmT1_T2_T3_mmT4_T5_P12ihipStream_tbEUlRKiE_EESK_SO_SP_mSQ_ST_bEUlT_E_NS1_11comp_targetILNS1_3genE5ELNS1_11target_archE942ELNS1_3gpuE9ELNS1_3repE0EEENS1_30default_config_static_selectorELNS0_4arch9wavefront6targetE0EEEvSN_
    .private_segment_fixed_size: 0
    .sgpr_count:     0
    .sgpr_spill_count: 0
    .symbol:         _ZN7rocprim17ROCPRIM_400000_NS6detail17trampoline_kernelINS0_14default_configENS1_27lower_bound_config_selectorIilEEZNS1_14transform_implILb0ES3_S5_N6thrust23THRUST_200600_302600_NS17counting_iteratorIiNS8_11use_defaultESA_SA_EEPlZNS1_13binary_searchIS3_S5_PiSB_SC_NS1_21lower_bound_search_opENS8_6detail16wrapped_functionI11custom_lessbEEEE10hipError_tPvRmT1_T2_T3_mmT4_T5_P12ihipStream_tbEUlRKiE_EESK_SO_SP_mSQ_ST_bEUlT_E_NS1_11comp_targetILNS1_3genE5ELNS1_11target_archE942ELNS1_3gpuE9ELNS1_3repE0EEENS1_30default_config_static_selectorELNS0_4arch9wavefront6targetE0EEEvSN_.kd
    .uniform_work_group_size: 1
    .uses_dynamic_stack: false
    .vgpr_count:     0
    .vgpr_spill_count: 0
    .wavefront_size: 32
    .workgroup_processor_mode: 1
  - .args:
      - .offset:         0
        .size:           56
        .value_kind:     by_value
    .group_segment_fixed_size: 0
    .kernarg_segment_align: 8
    .kernarg_segment_size: 56
    .language:       OpenCL C
    .language_version:
      - 2
      - 0
    .max_flat_workgroup_size: 256
    .name:           _ZN7rocprim17ROCPRIM_400000_NS6detail17trampoline_kernelINS0_14default_configENS1_27lower_bound_config_selectorIilEEZNS1_14transform_implILb0ES3_S5_N6thrust23THRUST_200600_302600_NS17counting_iteratorIiNS8_11use_defaultESA_SA_EEPlZNS1_13binary_searchIS3_S5_PiSB_SC_NS1_21lower_bound_search_opENS8_6detail16wrapped_functionI11custom_lessbEEEE10hipError_tPvRmT1_T2_T3_mmT4_T5_P12ihipStream_tbEUlRKiE_EESK_SO_SP_mSQ_ST_bEUlT_E_NS1_11comp_targetILNS1_3genE4ELNS1_11target_archE910ELNS1_3gpuE8ELNS1_3repE0EEENS1_30default_config_static_selectorELNS0_4arch9wavefront6targetE0EEEvSN_
    .private_segment_fixed_size: 0
    .sgpr_count:     0
    .sgpr_spill_count: 0
    .symbol:         _ZN7rocprim17ROCPRIM_400000_NS6detail17trampoline_kernelINS0_14default_configENS1_27lower_bound_config_selectorIilEEZNS1_14transform_implILb0ES3_S5_N6thrust23THRUST_200600_302600_NS17counting_iteratorIiNS8_11use_defaultESA_SA_EEPlZNS1_13binary_searchIS3_S5_PiSB_SC_NS1_21lower_bound_search_opENS8_6detail16wrapped_functionI11custom_lessbEEEE10hipError_tPvRmT1_T2_T3_mmT4_T5_P12ihipStream_tbEUlRKiE_EESK_SO_SP_mSQ_ST_bEUlT_E_NS1_11comp_targetILNS1_3genE4ELNS1_11target_archE910ELNS1_3gpuE8ELNS1_3repE0EEENS1_30default_config_static_selectorELNS0_4arch9wavefront6targetE0EEEvSN_.kd
    .uniform_work_group_size: 1
    .uses_dynamic_stack: false
    .vgpr_count:     0
    .vgpr_spill_count: 0
    .wavefront_size: 32
    .workgroup_processor_mode: 1
  - .args:
      - .offset:         0
        .size:           56
        .value_kind:     by_value
    .group_segment_fixed_size: 0
    .kernarg_segment_align: 8
    .kernarg_segment_size: 56
    .language:       OpenCL C
    .language_version:
      - 2
      - 0
    .max_flat_workgroup_size: 256
    .name:           _ZN7rocprim17ROCPRIM_400000_NS6detail17trampoline_kernelINS0_14default_configENS1_27lower_bound_config_selectorIilEEZNS1_14transform_implILb0ES3_S5_N6thrust23THRUST_200600_302600_NS17counting_iteratorIiNS8_11use_defaultESA_SA_EEPlZNS1_13binary_searchIS3_S5_PiSB_SC_NS1_21lower_bound_search_opENS8_6detail16wrapped_functionI11custom_lessbEEEE10hipError_tPvRmT1_T2_T3_mmT4_T5_P12ihipStream_tbEUlRKiE_EESK_SO_SP_mSQ_ST_bEUlT_E_NS1_11comp_targetILNS1_3genE3ELNS1_11target_archE908ELNS1_3gpuE7ELNS1_3repE0EEENS1_30default_config_static_selectorELNS0_4arch9wavefront6targetE0EEEvSN_
    .private_segment_fixed_size: 0
    .sgpr_count:     0
    .sgpr_spill_count: 0
    .symbol:         _ZN7rocprim17ROCPRIM_400000_NS6detail17trampoline_kernelINS0_14default_configENS1_27lower_bound_config_selectorIilEEZNS1_14transform_implILb0ES3_S5_N6thrust23THRUST_200600_302600_NS17counting_iteratorIiNS8_11use_defaultESA_SA_EEPlZNS1_13binary_searchIS3_S5_PiSB_SC_NS1_21lower_bound_search_opENS8_6detail16wrapped_functionI11custom_lessbEEEE10hipError_tPvRmT1_T2_T3_mmT4_T5_P12ihipStream_tbEUlRKiE_EESK_SO_SP_mSQ_ST_bEUlT_E_NS1_11comp_targetILNS1_3genE3ELNS1_11target_archE908ELNS1_3gpuE7ELNS1_3repE0EEENS1_30default_config_static_selectorELNS0_4arch9wavefront6targetE0EEEvSN_.kd
    .uniform_work_group_size: 1
    .uses_dynamic_stack: false
    .vgpr_count:     0
    .vgpr_spill_count: 0
    .wavefront_size: 32
    .workgroup_processor_mode: 1
  - .args:
      - .offset:         0
        .size:           56
        .value_kind:     by_value
    .group_segment_fixed_size: 0
    .kernarg_segment_align: 8
    .kernarg_segment_size: 56
    .language:       OpenCL C
    .language_version:
      - 2
      - 0
    .max_flat_workgroup_size: 256
    .name:           _ZN7rocprim17ROCPRIM_400000_NS6detail17trampoline_kernelINS0_14default_configENS1_27lower_bound_config_selectorIilEEZNS1_14transform_implILb0ES3_S5_N6thrust23THRUST_200600_302600_NS17counting_iteratorIiNS8_11use_defaultESA_SA_EEPlZNS1_13binary_searchIS3_S5_PiSB_SC_NS1_21lower_bound_search_opENS8_6detail16wrapped_functionI11custom_lessbEEEE10hipError_tPvRmT1_T2_T3_mmT4_T5_P12ihipStream_tbEUlRKiE_EESK_SO_SP_mSQ_ST_bEUlT_E_NS1_11comp_targetILNS1_3genE2ELNS1_11target_archE906ELNS1_3gpuE6ELNS1_3repE0EEENS1_30default_config_static_selectorELNS0_4arch9wavefront6targetE0EEEvSN_
    .private_segment_fixed_size: 0
    .sgpr_count:     0
    .sgpr_spill_count: 0
    .symbol:         _ZN7rocprim17ROCPRIM_400000_NS6detail17trampoline_kernelINS0_14default_configENS1_27lower_bound_config_selectorIilEEZNS1_14transform_implILb0ES3_S5_N6thrust23THRUST_200600_302600_NS17counting_iteratorIiNS8_11use_defaultESA_SA_EEPlZNS1_13binary_searchIS3_S5_PiSB_SC_NS1_21lower_bound_search_opENS8_6detail16wrapped_functionI11custom_lessbEEEE10hipError_tPvRmT1_T2_T3_mmT4_T5_P12ihipStream_tbEUlRKiE_EESK_SO_SP_mSQ_ST_bEUlT_E_NS1_11comp_targetILNS1_3genE2ELNS1_11target_archE906ELNS1_3gpuE6ELNS1_3repE0EEENS1_30default_config_static_selectorELNS0_4arch9wavefront6targetE0EEEvSN_.kd
    .uniform_work_group_size: 1
    .uses_dynamic_stack: false
    .vgpr_count:     0
    .vgpr_spill_count: 0
    .wavefront_size: 32
    .workgroup_processor_mode: 1
  - .args:
      - .offset:         0
        .size:           56
        .value_kind:     by_value
    .group_segment_fixed_size: 0
    .kernarg_segment_align: 8
    .kernarg_segment_size: 56
    .language:       OpenCL C
    .language_version:
      - 2
      - 0
    .max_flat_workgroup_size: 128
    .name:           _ZN7rocprim17ROCPRIM_400000_NS6detail17trampoline_kernelINS0_14default_configENS1_27lower_bound_config_selectorIilEEZNS1_14transform_implILb0ES3_S5_N6thrust23THRUST_200600_302600_NS17counting_iteratorIiNS8_11use_defaultESA_SA_EEPlZNS1_13binary_searchIS3_S5_PiSB_SC_NS1_21lower_bound_search_opENS8_6detail16wrapped_functionI11custom_lessbEEEE10hipError_tPvRmT1_T2_T3_mmT4_T5_P12ihipStream_tbEUlRKiE_EESK_SO_SP_mSQ_ST_bEUlT_E_NS1_11comp_targetILNS1_3genE10ELNS1_11target_archE1201ELNS1_3gpuE5ELNS1_3repE0EEENS1_30default_config_static_selectorELNS0_4arch9wavefront6targetE0EEEvSN_
    .private_segment_fixed_size: 0
    .sgpr_count:     0
    .sgpr_spill_count: 0
    .symbol:         _ZN7rocprim17ROCPRIM_400000_NS6detail17trampoline_kernelINS0_14default_configENS1_27lower_bound_config_selectorIilEEZNS1_14transform_implILb0ES3_S5_N6thrust23THRUST_200600_302600_NS17counting_iteratorIiNS8_11use_defaultESA_SA_EEPlZNS1_13binary_searchIS3_S5_PiSB_SC_NS1_21lower_bound_search_opENS8_6detail16wrapped_functionI11custom_lessbEEEE10hipError_tPvRmT1_T2_T3_mmT4_T5_P12ihipStream_tbEUlRKiE_EESK_SO_SP_mSQ_ST_bEUlT_E_NS1_11comp_targetILNS1_3genE10ELNS1_11target_archE1201ELNS1_3gpuE5ELNS1_3repE0EEENS1_30default_config_static_selectorELNS0_4arch9wavefront6targetE0EEEvSN_.kd
    .uniform_work_group_size: 1
    .uses_dynamic_stack: false
    .vgpr_count:     0
    .vgpr_spill_count: 0
    .wavefront_size: 32
    .workgroup_processor_mode: 1
  - .args:
      - .offset:         0
        .size:           56
        .value_kind:     by_value
    .group_segment_fixed_size: 0
    .kernarg_segment_align: 8
    .kernarg_segment_size: 56
    .language:       OpenCL C
    .language_version:
      - 2
      - 0
    .max_flat_workgroup_size: 128
    .name:           _ZN7rocprim17ROCPRIM_400000_NS6detail17trampoline_kernelINS0_14default_configENS1_27lower_bound_config_selectorIilEEZNS1_14transform_implILb0ES3_S5_N6thrust23THRUST_200600_302600_NS17counting_iteratorIiNS8_11use_defaultESA_SA_EEPlZNS1_13binary_searchIS3_S5_PiSB_SC_NS1_21lower_bound_search_opENS8_6detail16wrapped_functionI11custom_lessbEEEE10hipError_tPvRmT1_T2_T3_mmT4_T5_P12ihipStream_tbEUlRKiE_EESK_SO_SP_mSQ_ST_bEUlT_E_NS1_11comp_targetILNS1_3genE10ELNS1_11target_archE1200ELNS1_3gpuE4ELNS1_3repE0EEENS1_30default_config_static_selectorELNS0_4arch9wavefront6targetE0EEEvSN_
    .private_segment_fixed_size: 0
    .sgpr_count:     0
    .sgpr_spill_count: 0
    .symbol:         _ZN7rocprim17ROCPRIM_400000_NS6detail17trampoline_kernelINS0_14default_configENS1_27lower_bound_config_selectorIilEEZNS1_14transform_implILb0ES3_S5_N6thrust23THRUST_200600_302600_NS17counting_iteratorIiNS8_11use_defaultESA_SA_EEPlZNS1_13binary_searchIS3_S5_PiSB_SC_NS1_21lower_bound_search_opENS8_6detail16wrapped_functionI11custom_lessbEEEE10hipError_tPvRmT1_T2_T3_mmT4_T5_P12ihipStream_tbEUlRKiE_EESK_SO_SP_mSQ_ST_bEUlT_E_NS1_11comp_targetILNS1_3genE10ELNS1_11target_archE1200ELNS1_3gpuE4ELNS1_3repE0EEENS1_30default_config_static_selectorELNS0_4arch9wavefront6targetE0EEEvSN_.kd
    .uniform_work_group_size: 1
    .uses_dynamic_stack: false
    .vgpr_count:     0
    .vgpr_spill_count: 0
    .wavefront_size: 32
    .workgroup_processor_mode: 1
  - .args:
      - .offset:         0
        .size:           56
        .value_kind:     by_value
      - .offset:         56
        .size:           4
        .value_kind:     hidden_block_count_x
      - .offset:         60
        .size:           4
        .value_kind:     hidden_block_count_y
      - .offset:         64
        .size:           4
        .value_kind:     hidden_block_count_z
      - .offset:         68
        .size:           2
        .value_kind:     hidden_group_size_x
      - .offset:         70
        .size:           2
        .value_kind:     hidden_group_size_y
      - .offset:         72
        .size:           2
        .value_kind:     hidden_group_size_z
      - .offset:         74
        .size:           2
        .value_kind:     hidden_remainder_x
      - .offset:         76
        .size:           2
        .value_kind:     hidden_remainder_y
      - .offset:         78
        .size:           2
        .value_kind:     hidden_remainder_z
      - .offset:         96
        .size:           8
        .value_kind:     hidden_global_offset_x
      - .offset:         104
        .size:           8
        .value_kind:     hidden_global_offset_y
      - .offset:         112
        .size:           8
        .value_kind:     hidden_global_offset_z
      - .offset:         120
        .size:           2
        .value_kind:     hidden_grid_dims
    .group_segment_fixed_size: 0
    .kernarg_segment_align: 8
    .kernarg_segment_size: 312
    .language:       OpenCL C
    .language_version:
      - 2
      - 0
    .max_flat_workgroup_size: 256
    .name:           _ZN7rocprim17ROCPRIM_400000_NS6detail17trampoline_kernelINS0_14default_configENS1_27lower_bound_config_selectorIilEEZNS1_14transform_implILb0ES3_S5_N6thrust23THRUST_200600_302600_NS17counting_iteratorIiNS8_11use_defaultESA_SA_EEPlZNS1_13binary_searchIS3_S5_PiSB_SC_NS1_21lower_bound_search_opENS8_6detail16wrapped_functionI11custom_lessbEEEE10hipError_tPvRmT1_T2_T3_mmT4_T5_P12ihipStream_tbEUlRKiE_EESK_SO_SP_mSQ_ST_bEUlT_E_NS1_11comp_targetILNS1_3genE9ELNS1_11target_archE1100ELNS1_3gpuE3ELNS1_3repE0EEENS1_30default_config_static_selectorELNS0_4arch9wavefront6targetE0EEEvSN_
    .private_segment_fixed_size: 0
    .sgpr_count:     18
    .sgpr_spill_count: 0
    .symbol:         _ZN7rocprim17ROCPRIM_400000_NS6detail17trampoline_kernelINS0_14default_configENS1_27lower_bound_config_selectorIilEEZNS1_14transform_implILb0ES3_S5_N6thrust23THRUST_200600_302600_NS17counting_iteratorIiNS8_11use_defaultESA_SA_EEPlZNS1_13binary_searchIS3_S5_PiSB_SC_NS1_21lower_bound_search_opENS8_6detail16wrapped_functionI11custom_lessbEEEE10hipError_tPvRmT1_T2_T3_mmT4_T5_P12ihipStream_tbEUlRKiE_EESK_SO_SP_mSQ_ST_bEUlT_E_NS1_11comp_targetILNS1_3genE9ELNS1_11target_archE1100ELNS1_3gpuE3ELNS1_3repE0EEENS1_30default_config_static_selectorELNS0_4arch9wavefront6targetE0EEEvSN_.kd
    .uniform_work_group_size: 1
    .uses_dynamic_stack: false
    .vgpr_count:     11
    .vgpr_spill_count: 0
    .wavefront_size: 32
    .workgroup_processor_mode: 1
  - .args:
      - .offset:         0
        .size:           56
        .value_kind:     by_value
    .group_segment_fixed_size: 0
    .kernarg_segment_align: 8
    .kernarg_segment_size: 56
    .language:       OpenCL C
    .language_version:
      - 2
      - 0
    .max_flat_workgroup_size: 256
    .name:           _ZN7rocprim17ROCPRIM_400000_NS6detail17trampoline_kernelINS0_14default_configENS1_27lower_bound_config_selectorIilEEZNS1_14transform_implILb0ES3_S5_N6thrust23THRUST_200600_302600_NS17counting_iteratorIiNS8_11use_defaultESA_SA_EEPlZNS1_13binary_searchIS3_S5_PiSB_SC_NS1_21lower_bound_search_opENS8_6detail16wrapped_functionI11custom_lessbEEEE10hipError_tPvRmT1_T2_T3_mmT4_T5_P12ihipStream_tbEUlRKiE_EESK_SO_SP_mSQ_ST_bEUlT_E_NS1_11comp_targetILNS1_3genE8ELNS1_11target_archE1030ELNS1_3gpuE2ELNS1_3repE0EEENS1_30default_config_static_selectorELNS0_4arch9wavefront6targetE0EEEvSN_
    .private_segment_fixed_size: 0
    .sgpr_count:     0
    .sgpr_spill_count: 0
    .symbol:         _ZN7rocprim17ROCPRIM_400000_NS6detail17trampoline_kernelINS0_14default_configENS1_27lower_bound_config_selectorIilEEZNS1_14transform_implILb0ES3_S5_N6thrust23THRUST_200600_302600_NS17counting_iteratorIiNS8_11use_defaultESA_SA_EEPlZNS1_13binary_searchIS3_S5_PiSB_SC_NS1_21lower_bound_search_opENS8_6detail16wrapped_functionI11custom_lessbEEEE10hipError_tPvRmT1_T2_T3_mmT4_T5_P12ihipStream_tbEUlRKiE_EESK_SO_SP_mSQ_ST_bEUlT_E_NS1_11comp_targetILNS1_3genE8ELNS1_11target_archE1030ELNS1_3gpuE2ELNS1_3repE0EEENS1_30default_config_static_selectorELNS0_4arch9wavefront6targetE0EEEvSN_.kd
    .uniform_work_group_size: 1
    .uses_dynamic_stack: false
    .vgpr_count:     0
    .vgpr_spill_count: 0
    .wavefront_size: 32
    .workgroup_processor_mode: 1
  - .args:
      - .offset:         0
        .size:           16
        .value_kind:     by_value
      - .offset:         16
        .size:           8
        .value_kind:     by_value
      - .offset:         24
        .size:           8
        .value_kind:     by_value
    .group_segment_fixed_size: 0
    .kernarg_segment_align: 8
    .kernarg_segment_size: 32
    .language:       OpenCL C
    .language_version:
      - 2
      - 0
    .max_flat_workgroup_size: 256
    .name:           _ZN6thrust23THRUST_200600_302600_NS11hip_rocprim14__parallel_for6kernelILj256ENS1_20__uninitialized_fill7functorINS0_10device_ptrIsEEsEEmLj1EEEvT0_T1_SA_
    .private_segment_fixed_size: 0
    .sgpr_count:     18
    .sgpr_spill_count: 0
    .symbol:         _ZN6thrust23THRUST_200600_302600_NS11hip_rocprim14__parallel_for6kernelILj256ENS1_20__uninitialized_fill7functorINS0_10device_ptrIsEEsEEmLj1EEEvT0_T1_SA_.kd
    .uniform_work_group_size: 1
    .uses_dynamic_stack: false
    .vgpr_count:     3
    .vgpr_spill_count: 0
    .wavefront_size: 32
    .workgroup_processor_mode: 1
  - .args:
      - .offset:         0
        .size:           8
        .value_kind:     by_value
      - .address_space:  global
        .offset:         8
        .size:           8
        .value_kind:     global_buffer
      - .address_space:  global
        .offset:         16
        .size:           8
        .value_kind:     global_buffer
    .group_segment_fixed_size: 0
    .kernarg_segment_align: 8
    .kernarg_segment_size: 24
    .language:       OpenCL C
    .language_version:
      - 2
      - 0
    .max_flat_workgroup_size: 256
    .name:           _Z18lower_bound_kernelIsEvmPT_Pl
    .private_segment_fixed_size: 0
    .sgpr_count:     19
    .sgpr_spill_count: 0
    .symbol:         _Z18lower_bound_kernelIsEvmPT_Pl.kd
    .uniform_work_group_size: 1
    .uses_dynamic_stack: false
    .vgpr_count:     3
    .vgpr_spill_count: 0
    .wavefront_size: 32
    .workgroup_processor_mode: 1
  - .args:
      - .offset:         0
        .size:           56
        .value_kind:     by_value
    .group_segment_fixed_size: 0
    .kernarg_segment_align: 8
    .kernarg_segment_size: 56
    .language:       OpenCL C
    .language_version:
      - 2
      - 0
    .max_flat_workgroup_size: 256
    .name:           _ZN7rocprim17ROCPRIM_400000_NS6detail17trampoline_kernelINS0_14default_configENS1_27lower_bound_config_selectorIslEEZNS1_14transform_implILb0ES3_S5_N6thrust23THRUST_200600_302600_NS17counting_iteratorIsNS8_11use_defaultESA_SA_EEPlZNS1_13binary_searchIS3_S5_PsSB_SC_NS1_21lower_bound_search_opENS8_6detail16wrapped_functionI11custom_lessbEEEE10hipError_tPvRmT1_T2_T3_mmT4_T5_P12ihipStream_tbEUlRKsE_EESK_SO_SP_mSQ_ST_bEUlT_E_NS1_11comp_targetILNS1_3genE0ELNS1_11target_archE4294967295ELNS1_3gpuE0ELNS1_3repE0EEENS1_30default_config_static_selectorELNS0_4arch9wavefront6targetE0EEEvSN_
    .private_segment_fixed_size: 0
    .sgpr_count:     0
    .sgpr_spill_count: 0
    .symbol:         _ZN7rocprim17ROCPRIM_400000_NS6detail17trampoline_kernelINS0_14default_configENS1_27lower_bound_config_selectorIslEEZNS1_14transform_implILb0ES3_S5_N6thrust23THRUST_200600_302600_NS17counting_iteratorIsNS8_11use_defaultESA_SA_EEPlZNS1_13binary_searchIS3_S5_PsSB_SC_NS1_21lower_bound_search_opENS8_6detail16wrapped_functionI11custom_lessbEEEE10hipError_tPvRmT1_T2_T3_mmT4_T5_P12ihipStream_tbEUlRKsE_EESK_SO_SP_mSQ_ST_bEUlT_E_NS1_11comp_targetILNS1_3genE0ELNS1_11target_archE4294967295ELNS1_3gpuE0ELNS1_3repE0EEENS1_30default_config_static_selectorELNS0_4arch9wavefront6targetE0EEEvSN_.kd
    .uniform_work_group_size: 1
    .uses_dynamic_stack: false
    .vgpr_count:     0
    .vgpr_spill_count: 0
    .wavefront_size: 32
    .workgroup_processor_mode: 1
  - .args:
      - .offset:         0
        .size:           56
        .value_kind:     by_value
    .group_segment_fixed_size: 0
    .kernarg_segment_align: 8
    .kernarg_segment_size: 56
    .language:       OpenCL C
    .language_version:
      - 2
      - 0
    .max_flat_workgroup_size: 256
    .name:           _ZN7rocprim17ROCPRIM_400000_NS6detail17trampoline_kernelINS0_14default_configENS1_27lower_bound_config_selectorIslEEZNS1_14transform_implILb0ES3_S5_N6thrust23THRUST_200600_302600_NS17counting_iteratorIsNS8_11use_defaultESA_SA_EEPlZNS1_13binary_searchIS3_S5_PsSB_SC_NS1_21lower_bound_search_opENS8_6detail16wrapped_functionI11custom_lessbEEEE10hipError_tPvRmT1_T2_T3_mmT4_T5_P12ihipStream_tbEUlRKsE_EESK_SO_SP_mSQ_ST_bEUlT_E_NS1_11comp_targetILNS1_3genE5ELNS1_11target_archE942ELNS1_3gpuE9ELNS1_3repE0EEENS1_30default_config_static_selectorELNS0_4arch9wavefront6targetE0EEEvSN_
    .private_segment_fixed_size: 0
    .sgpr_count:     0
    .sgpr_spill_count: 0
    .symbol:         _ZN7rocprim17ROCPRIM_400000_NS6detail17trampoline_kernelINS0_14default_configENS1_27lower_bound_config_selectorIslEEZNS1_14transform_implILb0ES3_S5_N6thrust23THRUST_200600_302600_NS17counting_iteratorIsNS8_11use_defaultESA_SA_EEPlZNS1_13binary_searchIS3_S5_PsSB_SC_NS1_21lower_bound_search_opENS8_6detail16wrapped_functionI11custom_lessbEEEE10hipError_tPvRmT1_T2_T3_mmT4_T5_P12ihipStream_tbEUlRKsE_EESK_SO_SP_mSQ_ST_bEUlT_E_NS1_11comp_targetILNS1_3genE5ELNS1_11target_archE942ELNS1_3gpuE9ELNS1_3repE0EEENS1_30default_config_static_selectorELNS0_4arch9wavefront6targetE0EEEvSN_.kd
    .uniform_work_group_size: 1
    .uses_dynamic_stack: false
    .vgpr_count:     0
    .vgpr_spill_count: 0
    .wavefront_size: 32
    .workgroup_processor_mode: 1
  - .args:
      - .offset:         0
        .size:           56
        .value_kind:     by_value
    .group_segment_fixed_size: 0
    .kernarg_segment_align: 8
    .kernarg_segment_size: 56
    .language:       OpenCL C
    .language_version:
      - 2
      - 0
    .max_flat_workgroup_size: 256
    .name:           _ZN7rocprim17ROCPRIM_400000_NS6detail17trampoline_kernelINS0_14default_configENS1_27lower_bound_config_selectorIslEEZNS1_14transform_implILb0ES3_S5_N6thrust23THRUST_200600_302600_NS17counting_iteratorIsNS8_11use_defaultESA_SA_EEPlZNS1_13binary_searchIS3_S5_PsSB_SC_NS1_21lower_bound_search_opENS8_6detail16wrapped_functionI11custom_lessbEEEE10hipError_tPvRmT1_T2_T3_mmT4_T5_P12ihipStream_tbEUlRKsE_EESK_SO_SP_mSQ_ST_bEUlT_E_NS1_11comp_targetILNS1_3genE4ELNS1_11target_archE910ELNS1_3gpuE8ELNS1_3repE0EEENS1_30default_config_static_selectorELNS0_4arch9wavefront6targetE0EEEvSN_
    .private_segment_fixed_size: 0
    .sgpr_count:     0
    .sgpr_spill_count: 0
    .symbol:         _ZN7rocprim17ROCPRIM_400000_NS6detail17trampoline_kernelINS0_14default_configENS1_27lower_bound_config_selectorIslEEZNS1_14transform_implILb0ES3_S5_N6thrust23THRUST_200600_302600_NS17counting_iteratorIsNS8_11use_defaultESA_SA_EEPlZNS1_13binary_searchIS3_S5_PsSB_SC_NS1_21lower_bound_search_opENS8_6detail16wrapped_functionI11custom_lessbEEEE10hipError_tPvRmT1_T2_T3_mmT4_T5_P12ihipStream_tbEUlRKsE_EESK_SO_SP_mSQ_ST_bEUlT_E_NS1_11comp_targetILNS1_3genE4ELNS1_11target_archE910ELNS1_3gpuE8ELNS1_3repE0EEENS1_30default_config_static_selectorELNS0_4arch9wavefront6targetE0EEEvSN_.kd
    .uniform_work_group_size: 1
    .uses_dynamic_stack: false
    .vgpr_count:     0
    .vgpr_spill_count: 0
    .wavefront_size: 32
    .workgroup_processor_mode: 1
  - .args:
      - .offset:         0
        .size:           56
        .value_kind:     by_value
    .group_segment_fixed_size: 0
    .kernarg_segment_align: 8
    .kernarg_segment_size: 56
    .language:       OpenCL C
    .language_version:
      - 2
      - 0
    .max_flat_workgroup_size: 256
    .name:           _ZN7rocprim17ROCPRIM_400000_NS6detail17trampoline_kernelINS0_14default_configENS1_27lower_bound_config_selectorIslEEZNS1_14transform_implILb0ES3_S5_N6thrust23THRUST_200600_302600_NS17counting_iteratorIsNS8_11use_defaultESA_SA_EEPlZNS1_13binary_searchIS3_S5_PsSB_SC_NS1_21lower_bound_search_opENS8_6detail16wrapped_functionI11custom_lessbEEEE10hipError_tPvRmT1_T2_T3_mmT4_T5_P12ihipStream_tbEUlRKsE_EESK_SO_SP_mSQ_ST_bEUlT_E_NS1_11comp_targetILNS1_3genE3ELNS1_11target_archE908ELNS1_3gpuE7ELNS1_3repE0EEENS1_30default_config_static_selectorELNS0_4arch9wavefront6targetE0EEEvSN_
    .private_segment_fixed_size: 0
    .sgpr_count:     0
    .sgpr_spill_count: 0
    .symbol:         _ZN7rocprim17ROCPRIM_400000_NS6detail17trampoline_kernelINS0_14default_configENS1_27lower_bound_config_selectorIslEEZNS1_14transform_implILb0ES3_S5_N6thrust23THRUST_200600_302600_NS17counting_iteratorIsNS8_11use_defaultESA_SA_EEPlZNS1_13binary_searchIS3_S5_PsSB_SC_NS1_21lower_bound_search_opENS8_6detail16wrapped_functionI11custom_lessbEEEE10hipError_tPvRmT1_T2_T3_mmT4_T5_P12ihipStream_tbEUlRKsE_EESK_SO_SP_mSQ_ST_bEUlT_E_NS1_11comp_targetILNS1_3genE3ELNS1_11target_archE908ELNS1_3gpuE7ELNS1_3repE0EEENS1_30default_config_static_selectorELNS0_4arch9wavefront6targetE0EEEvSN_.kd
    .uniform_work_group_size: 1
    .uses_dynamic_stack: false
    .vgpr_count:     0
    .vgpr_spill_count: 0
    .wavefront_size: 32
    .workgroup_processor_mode: 1
  - .args:
      - .offset:         0
        .size:           56
        .value_kind:     by_value
    .group_segment_fixed_size: 0
    .kernarg_segment_align: 8
    .kernarg_segment_size: 56
    .language:       OpenCL C
    .language_version:
      - 2
      - 0
    .max_flat_workgroup_size: 256
    .name:           _ZN7rocprim17ROCPRIM_400000_NS6detail17trampoline_kernelINS0_14default_configENS1_27lower_bound_config_selectorIslEEZNS1_14transform_implILb0ES3_S5_N6thrust23THRUST_200600_302600_NS17counting_iteratorIsNS8_11use_defaultESA_SA_EEPlZNS1_13binary_searchIS3_S5_PsSB_SC_NS1_21lower_bound_search_opENS8_6detail16wrapped_functionI11custom_lessbEEEE10hipError_tPvRmT1_T2_T3_mmT4_T5_P12ihipStream_tbEUlRKsE_EESK_SO_SP_mSQ_ST_bEUlT_E_NS1_11comp_targetILNS1_3genE2ELNS1_11target_archE906ELNS1_3gpuE6ELNS1_3repE0EEENS1_30default_config_static_selectorELNS0_4arch9wavefront6targetE0EEEvSN_
    .private_segment_fixed_size: 0
    .sgpr_count:     0
    .sgpr_spill_count: 0
    .symbol:         _ZN7rocprim17ROCPRIM_400000_NS6detail17trampoline_kernelINS0_14default_configENS1_27lower_bound_config_selectorIslEEZNS1_14transform_implILb0ES3_S5_N6thrust23THRUST_200600_302600_NS17counting_iteratorIsNS8_11use_defaultESA_SA_EEPlZNS1_13binary_searchIS3_S5_PsSB_SC_NS1_21lower_bound_search_opENS8_6detail16wrapped_functionI11custom_lessbEEEE10hipError_tPvRmT1_T2_T3_mmT4_T5_P12ihipStream_tbEUlRKsE_EESK_SO_SP_mSQ_ST_bEUlT_E_NS1_11comp_targetILNS1_3genE2ELNS1_11target_archE906ELNS1_3gpuE6ELNS1_3repE0EEENS1_30default_config_static_selectorELNS0_4arch9wavefront6targetE0EEEvSN_.kd
    .uniform_work_group_size: 1
    .uses_dynamic_stack: false
    .vgpr_count:     0
    .vgpr_spill_count: 0
    .wavefront_size: 32
    .workgroup_processor_mode: 1
  - .args:
      - .offset:         0
        .size:           56
        .value_kind:     by_value
    .group_segment_fixed_size: 0
    .kernarg_segment_align: 8
    .kernarg_segment_size: 56
    .language:       OpenCL C
    .language_version:
      - 2
      - 0
    .max_flat_workgroup_size: 256
    .name:           _ZN7rocprim17ROCPRIM_400000_NS6detail17trampoline_kernelINS0_14default_configENS1_27lower_bound_config_selectorIslEEZNS1_14transform_implILb0ES3_S5_N6thrust23THRUST_200600_302600_NS17counting_iteratorIsNS8_11use_defaultESA_SA_EEPlZNS1_13binary_searchIS3_S5_PsSB_SC_NS1_21lower_bound_search_opENS8_6detail16wrapped_functionI11custom_lessbEEEE10hipError_tPvRmT1_T2_T3_mmT4_T5_P12ihipStream_tbEUlRKsE_EESK_SO_SP_mSQ_ST_bEUlT_E_NS1_11comp_targetILNS1_3genE10ELNS1_11target_archE1201ELNS1_3gpuE5ELNS1_3repE0EEENS1_30default_config_static_selectorELNS0_4arch9wavefront6targetE0EEEvSN_
    .private_segment_fixed_size: 0
    .sgpr_count:     0
    .sgpr_spill_count: 0
    .symbol:         _ZN7rocprim17ROCPRIM_400000_NS6detail17trampoline_kernelINS0_14default_configENS1_27lower_bound_config_selectorIslEEZNS1_14transform_implILb0ES3_S5_N6thrust23THRUST_200600_302600_NS17counting_iteratorIsNS8_11use_defaultESA_SA_EEPlZNS1_13binary_searchIS3_S5_PsSB_SC_NS1_21lower_bound_search_opENS8_6detail16wrapped_functionI11custom_lessbEEEE10hipError_tPvRmT1_T2_T3_mmT4_T5_P12ihipStream_tbEUlRKsE_EESK_SO_SP_mSQ_ST_bEUlT_E_NS1_11comp_targetILNS1_3genE10ELNS1_11target_archE1201ELNS1_3gpuE5ELNS1_3repE0EEENS1_30default_config_static_selectorELNS0_4arch9wavefront6targetE0EEEvSN_.kd
    .uniform_work_group_size: 1
    .uses_dynamic_stack: false
    .vgpr_count:     0
    .vgpr_spill_count: 0
    .wavefront_size: 32
    .workgroup_processor_mode: 1
  - .args:
      - .offset:         0
        .size:           56
        .value_kind:     by_value
    .group_segment_fixed_size: 0
    .kernarg_segment_align: 8
    .kernarg_segment_size: 56
    .language:       OpenCL C
    .language_version:
      - 2
      - 0
    .max_flat_workgroup_size: 256
    .name:           _ZN7rocprim17ROCPRIM_400000_NS6detail17trampoline_kernelINS0_14default_configENS1_27lower_bound_config_selectorIslEEZNS1_14transform_implILb0ES3_S5_N6thrust23THRUST_200600_302600_NS17counting_iteratorIsNS8_11use_defaultESA_SA_EEPlZNS1_13binary_searchIS3_S5_PsSB_SC_NS1_21lower_bound_search_opENS8_6detail16wrapped_functionI11custom_lessbEEEE10hipError_tPvRmT1_T2_T3_mmT4_T5_P12ihipStream_tbEUlRKsE_EESK_SO_SP_mSQ_ST_bEUlT_E_NS1_11comp_targetILNS1_3genE10ELNS1_11target_archE1200ELNS1_3gpuE4ELNS1_3repE0EEENS1_30default_config_static_selectorELNS0_4arch9wavefront6targetE0EEEvSN_
    .private_segment_fixed_size: 0
    .sgpr_count:     0
    .sgpr_spill_count: 0
    .symbol:         _ZN7rocprim17ROCPRIM_400000_NS6detail17trampoline_kernelINS0_14default_configENS1_27lower_bound_config_selectorIslEEZNS1_14transform_implILb0ES3_S5_N6thrust23THRUST_200600_302600_NS17counting_iteratorIsNS8_11use_defaultESA_SA_EEPlZNS1_13binary_searchIS3_S5_PsSB_SC_NS1_21lower_bound_search_opENS8_6detail16wrapped_functionI11custom_lessbEEEE10hipError_tPvRmT1_T2_T3_mmT4_T5_P12ihipStream_tbEUlRKsE_EESK_SO_SP_mSQ_ST_bEUlT_E_NS1_11comp_targetILNS1_3genE10ELNS1_11target_archE1200ELNS1_3gpuE4ELNS1_3repE0EEENS1_30default_config_static_selectorELNS0_4arch9wavefront6targetE0EEEvSN_.kd
    .uniform_work_group_size: 1
    .uses_dynamic_stack: false
    .vgpr_count:     0
    .vgpr_spill_count: 0
    .wavefront_size: 32
    .workgroup_processor_mode: 1
  - .args:
      - .offset:         0
        .size:           56
        .value_kind:     by_value
      - .offset:         56
        .size:           4
        .value_kind:     hidden_block_count_x
      - .offset:         60
        .size:           4
        .value_kind:     hidden_block_count_y
      - .offset:         64
        .size:           4
        .value_kind:     hidden_block_count_z
      - .offset:         68
        .size:           2
        .value_kind:     hidden_group_size_x
      - .offset:         70
        .size:           2
        .value_kind:     hidden_group_size_y
      - .offset:         72
        .size:           2
        .value_kind:     hidden_group_size_z
      - .offset:         74
        .size:           2
        .value_kind:     hidden_remainder_x
      - .offset:         76
        .size:           2
        .value_kind:     hidden_remainder_y
      - .offset:         78
        .size:           2
        .value_kind:     hidden_remainder_z
      - .offset:         96
        .size:           8
        .value_kind:     hidden_global_offset_x
      - .offset:         104
        .size:           8
        .value_kind:     hidden_global_offset_y
      - .offset:         112
        .size:           8
        .value_kind:     hidden_global_offset_z
      - .offset:         120
        .size:           2
        .value_kind:     hidden_grid_dims
    .group_segment_fixed_size: 0
    .kernarg_segment_align: 8
    .kernarg_segment_size: 312
    .language:       OpenCL C
    .language_version:
      - 2
      - 0
    .max_flat_workgroup_size: 64
    .name:           _ZN7rocprim17ROCPRIM_400000_NS6detail17trampoline_kernelINS0_14default_configENS1_27lower_bound_config_selectorIslEEZNS1_14transform_implILb0ES3_S5_N6thrust23THRUST_200600_302600_NS17counting_iteratorIsNS8_11use_defaultESA_SA_EEPlZNS1_13binary_searchIS3_S5_PsSB_SC_NS1_21lower_bound_search_opENS8_6detail16wrapped_functionI11custom_lessbEEEE10hipError_tPvRmT1_T2_T3_mmT4_T5_P12ihipStream_tbEUlRKsE_EESK_SO_SP_mSQ_ST_bEUlT_E_NS1_11comp_targetILNS1_3genE9ELNS1_11target_archE1100ELNS1_3gpuE3ELNS1_3repE0EEENS1_30default_config_static_selectorELNS0_4arch9wavefront6targetE0EEEvSN_
    .private_segment_fixed_size: 0
    .sgpr_count:     29
    .sgpr_spill_count: 0
    .symbol:         _ZN7rocprim17ROCPRIM_400000_NS6detail17trampoline_kernelINS0_14default_configENS1_27lower_bound_config_selectorIslEEZNS1_14transform_implILb0ES3_S5_N6thrust23THRUST_200600_302600_NS17counting_iteratorIsNS8_11use_defaultESA_SA_EEPlZNS1_13binary_searchIS3_S5_PsSB_SC_NS1_21lower_bound_search_opENS8_6detail16wrapped_functionI11custom_lessbEEEE10hipError_tPvRmT1_T2_T3_mmT4_T5_P12ihipStream_tbEUlRKsE_EESK_SO_SP_mSQ_ST_bEUlT_E_NS1_11comp_targetILNS1_3genE9ELNS1_11target_archE1100ELNS1_3gpuE3ELNS1_3repE0EEENS1_30default_config_static_selectorELNS0_4arch9wavefront6targetE0EEEvSN_.kd
    .uniform_work_group_size: 1
    .uses_dynamic_stack: false
    .vgpr_count:     41
    .vgpr_spill_count: 0
    .wavefront_size: 32
    .workgroup_processor_mode: 1
  - .args:
      - .offset:         0
        .size:           56
        .value_kind:     by_value
    .group_segment_fixed_size: 0
    .kernarg_segment_align: 8
    .kernarg_segment_size: 56
    .language:       OpenCL C
    .language_version:
      - 2
      - 0
    .max_flat_workgroup_size: 128
    .name:           _ZN7rocprim17ROCPRIM_400000_NS6detail17trampoline_kernelINS0_14default_configENS1_27lower_bound_config_selectorIslEEZNS1_14transform_implILb0ES3_S5_N6thrust23THRUST_200600_302600_NS17counting_iteratorIsNS8_11use_defaultESA_SA_EEPlZNS1_13binary_searchIS3_S5_PsSB_SC_NS1_21lower_bound_search_opENS8_6detail16wrapped_functionI11custom_lessbEEEE10hipError_tPvRmT1_T2_T3_mmT4_T5_P12ihipStream_tbEUlRKsE_EESK_SO_SP_mSQ_ST_bEUlT_E_NS1_11comp_targetILNS1_3genE8ELNS1_11target_archE1030ELNS1_3gpuE2ELNS1_3repE0EEENS1_30default_config_static_selectorELNS0_4arch9wavefront6targetE0EEEvSN_
    .private_segment_fixed_size: 0
    .sgpr_count:     0
    .sgpr_spill_count: 0
    .symbol:         _ZN7rocprim17ROCPRIM_400000_NS6detail17trampoline_kernelINS0_14default_configENS1_27lower_bound_config_selectorIslEEZNS1_14transform_implILb0ES3_S5_N6thrust23THRUST_200600_302600_NS17counting_iteratorIsNS8_11use_defaultESA_SA_EEPlZNS1_13binary_searchIS3_S5_PsSB_SC_NS1_21lower_bound_search_opENS8_6detail16wrapped_functionI11custom_lessbEEEE10hipError_tPvRmT1_T2_T3_mmT4_T5_P12ihipStream_tbEUlRKsE_EESK_SO_SP_mSQ_ST_bEUlT_E_NS1_11comp_targetILNS1_3genE8ELNS1_11target_archE1030ELNS1_3gpuE2ELNS1_3repE0EEENS1_30default_config_static_selectorELNS0_4arch9wavefront6targetE0EEEvSN_.kd
    .uniform_work_group_size: 1
    .uses_dynamic_stack: false
    .vgpr_count:     0
    .vgpr_spill_count: 0
    .wavefront_size: 32
    .workgroup_processor_mode: 1
  - .args:
      - .offset:         0
        .size:           8
        .value_kind:     by_value
      - .address_space:  global
        .offset:         8
        .size:           8
        .value_kind:     global_buffer
      - .address_space:  global
        .offset:         16
        .size:           8
        .value_kind:     global_buffer
    .group_segment_fixed_size: 0
    .kernarg_segment_align: 8
    .kernarg_segment_size: 24
    .language:       OpenCL C
    .language_version:
      - 2
      - 0
    .max_flat_workgroup_size: 256
    .name:           _Z18upper_bound_kernelIdEvmPT_Pl
    .private_segment_fixed_size: 0
    .sgpr_count:     18
    .sgpr_spill_count: 0
    .symbol:         _Z18upper_bound_kernelIdEvmPT_Pl.kd
    .uniform_work_group_size: 1
    .uses_dynamic_stack: false
    .vgpr_count:     7
    .vgpr_spill_count: 0
    .wavefront_size: 32
    .workgroup_processor_mode: 1
  - .args:
      - .offset:         0
        .size:           56
        .value_kind:     by_value
    .group_segment_fixed_size: 0
    .kernarg_segment_align: 8
    .kernarg_segment_size: 56
    .language:       OpenCL C
    .language_version:
      - 2
      - 0
    .max_flat_workgroup_size: 256
    .name:           _ZN7rocprim17ROCPRIM_400000_NS6detail17trampoline_kernelINS0_14default_configENS1_27upper_bound_config_selectorIdlEEZNS1_14transform_implILb0ES3_S5_N6thrust23THRUST_200600_302600_NS17counting_iteratorIdNS8_11use_defaultESA_SA_EEPlZNS1_13binary_searchIS3_S5_PdSB_SC_NS1_21upper_bound_search_opENS8_6detail16wrapped_functionINS0_4lessIvEEbEEEE10hipError_tPvRmT1_T2_T3_mmT4_T5_P12ihipStream_tbEUlRKdE_EESL_SP_SQ_mSR_SU_bEUlT_E_NS1_11comp_targetILNS1_3genE0ELNS1_11target_archE4294967295ELNS1_3gpuE0ELNS1_3repE0EEENS1_30default_config_static_selectorELNS0_4arch9wavefront6targetE0EEEvSO_
    .private_segment_fixed_size: 0
    .sgpr_count:     0
    .sgpr_spill_count: 0
    .symbol:         _ZN7rocprim17ROCPRIM_400000_NS6detail17trampoline_kernelINS0_14default_configENS1_27upper_bound_config_selectorIdlEEZNS1_14transform_implILb0ES3_S5_N6thrust23THRUST_200600_302600_NS17counting_iteratorIdNS8_11use_defaultESA_SA_EEPlZNS1_13binary_searchIS3_S5_PdSB_SC_NS1_21upper_bound_search_opENS8_6detail16wrapped_functionINS0_4lessIvEEbEEEE10hipError_tPvRmT1_T2_T3_mmT4_T5_P12ihipStream_tbEUlRKdE_EESL_SP_SQ_mSR_SU_bEUlT_E_NS1_11comp_targetILNS1_3genE0ELNS1_11target_archE4294967295ELNS1_3gpuE0ELNS1_3repE0EEENS1_30default_config_static_selectorELNS0_4arch9wavefront6targetE0EEEvSO_.kd
    .uniform_work_group_size: 1
    .uses_dynamic_stack: false
    .vgpr_count:     0
    .vgpr_spill_count: 0
    .wavefront_size: 32
    .workgroup_processor_mode: 1
  - .args:
      - .offset:         0
        .size:           56
        .value_kind:     by_value
    .group_segment_fixed_size: 0
    .kernarg_segment_align: 8
    .kernarg_segment_size: 56
    .language:       OpenCL C
    .language_version:
      - 2
      - 0
    .max_flat_workgroup_size: 64
    .name:           _ZN7rocprim17ROCPRIM_400000_NS6detail17trampoline_kernelINS0_14default_configENS1_27upper_bound_config_selectorIdlEEZNS1_14transform_implILb0ES3_S5_N6thrust23THRUST_200600_302600_NS17counting_iteratorIdNS8_11use_defaultESA_SA_EEPlZNS1_13binary_searchIS3_S5_PdSB_SC_NS1_21upper_bound_search_opENS8_6detail16wrapped_functionINS0_4lessIvEEbEEEE10hipError_tPvRmT1_T2_T3_mmT4_T5_P12ihipStream_tbEUlRKdE_EESL_SP_SQ_mSR_SU_bEUlT_E_NS1_11comp_targetILNS1_3genE5ELNS1_11target_archE942ELNS1_3gpuE9ELNS1_3repE0EEENS1_30default_config_static_selectorELNS0_4arch9wavefront6targetE0EEEvSO_
    .private_segment_fixed_size: 0
    .sgpr_count:     0
    .sgpr_spill_count: 0
    .symbol:         _ZN7rocprim17ROCPRIM_400000_NS6detail17trampoline_kernelINS0_14default_configENS1_27upper_bound_config_selectorIdlEEZNS1_14transform_implILb0ES3_S5_N6thrust23THRUST_200600_302600_NS17counting_iteratorIdNS8_11use_defaultESA_SA_EEPlZNS1_13binary_searchIS3_S5_PdSB_SC_NS1_21upper_bound_search_opENS8_6detail16wrapped_functionINS0_4lessIvEEbEEEE10hipError_tPvRmT1_T2_T3_mmT4_T5_P12ihipStream_tbEUlRKdE_EESL_SP_SQ_mSR_SU_bEUlT_E_NS1_11comp_targetILNS1_3genE5ELNS1_11target_archE942ELNS1_3gpuE9ELNS1_3repE0EEENS1_30default_config_static_selectorELNS0_4arch9wavefront6targetE0EEEvSO_.kd
    .uniform_work_group_size: 1
    .uses_dynamic_stack: false
    .vgpr_count:     0
    .vgpr_spill_count: 0
    .wavefront_size: 32
    .workgroup_processor_mode: 1
  - .args:
      - .offset:         0
        .size:           56
        .value_kind:     by_value
    .group_segment_fixed_size: 0
    .kernarg_segment_align: 8
    .kernarg_segment_size: 56
    .language:       OpenCL C
    .language_version:
      - 2
      - 0
    .max_flat_workgroup_size: 64
    .name:           _ZN7rocprim17ROCPRIM_400000_NS6detail17trampoline_kernelINS0_14default_configENS1_27upper_bound_config_selectorIdlEEZNS1_14transform_implILb0ES3_S5_N6thrust23THRUST_200600_302600_NS17counting_iteratorIdNS8_11use_defaultESA_SA_EEPlZNS1_13binary_searchIS3_S5_PdSB_SC_NS1_21upper_bound_search_opENS8_6detail16wrapped_functionINS0_4lessIvEEbEEEE10hipError_tPvRmT1_T2_T3_mmT4_T5_P12ihipStream_tbEUlRKdE_EESL_SP_SQ_mSR_SU_bEUlT_E_NS1_11comp_targetILNS1_3genE4ELNS1_11target_archE910ELNS1_3gpuE8ELNS1_3repE0EEENS1_30default_config_static_selectorELNS0_4arch9wavefront6targetE0EEEvSO_
    .private_segment_fixed_size: 0
    .sgpr_count:     0
    .sgpr_spill_count: 0
    .symbol:         _ZN7rocprim17ROCPRIM_400000_NS6detail17trampoline_kernelINS0_14default_configENS1_27upper_bound_config_selectorIdlEEZNS1_14transform_implILb0ES3_S5_N6thrust23THRUST_200600_302600_NS17counting_iteratorIdNS8_11use_defaultESA_SA_EEPlZNS1_13binary_searchIS3_S5_PdSB_SC_NS1_21upper_bound_search_opENS8_6detail16wrapped_functionINS0_4lessIvEEbEEEE10hipError_tPvRmT1_T2_T3_mmT4_T5_P12ihipStream_tbEUlRKdE_EESL_SP_SQ_mSR_SU_bEUlT_E_NS1_11comp_targetILNS1_3genE4ELNS1_11target_archE910ELNS1_3gpuE8ELNS1_3repE0EEENS1_30default_config_static_selectorELNS0_4arch9wavefront6targetE0EEEvSO_.kd
    .uniform_work_group_size: 1
    .uses_dynamic_stack: false
    .vgpr_count:     0
    .vgpr_spill_count: 0
    .wavefront_size: 32
    .workgroup_processor_mode: 1
  - .args:
      - .offset:         0
        .size:           56
        .value_kind:     by_value
    .group_segment_fixed_size: 0
    .kernarg_segment_align: 8
    .kernarg_segment_size: 56
    .language:       OpenCL C
    .language_version:
      - 2
      - 0
    .max_flat_workgroup_size: 256
    .name:           _ZN7rocprim17ROCPRIM_400000_NS6detail17trampoline_kernelINS0_14default_configENS1_27upper_bound_config_selectorIdlEEZNS1_14transform_implILb0ES3_S5_N6thrust23THRUST_200600_302600_NS17counting_iteratorIdNS8_11use_defaultESA_SA_EEPlZNS1_13binary_searchIS3_S5_PdSB_SC_NS1_21upper_bound_search_opENS8_6detail16wrapped_functionINS0_4lessIvEEbEEEE10hipError_tPvRmT1_T2_T3_mmT4_T5_P12ihipStream_tbEUlRKdE_EESL_SP_SQ_mSR_SU_bEUlT_E_NS1_11comp_targetILNS1_3genE3ELNS1_11target_archE908ELNS1_3gpuE7ELNS1_3repE0EEENS1_30default_config_static_selectorELNS0_4arch9wavefront6targetE0EEEvSO_
    .private_segment_fixed_size: 0
    .sgpr_count:     0
    .sgpr_spill_count: 0
    .symbol:         _ZN7rocprim17ROCPRIM_400000_NS6detail17trampoline_kernelINS0_14default_configENS1_27upper_bound_config_selectorIdlEEZNS1_14transform_implILb0ES3_S5_N6thrust23THRUST_200600_302600_NS17counting_iteratorIdNS8_11use_defaultESA_SA_EEPlZNS1_13binary_searchIS3_S5_PdSB_SC_NS1_21upper_bound_search_opENS8_6detail16wrapped_functionINS0_4lessIvEEbEEEE10hipError_tPvRmT1_T2_T3_mmT4_T5_P12ihipStream_tbEUlRKdE_EESL_SP_SQ_mSR_SU_bEUlT_E_NS1_11comp_targetILNS1_3genE3ELNS1_11target_archE908ELNS1_3gpuE7ELNS1_3repE0EEENS1_30default_config_static_selectorELNS0_4arch9wavefront6targetE0EEEvSO_.kd
    .uniform_work_group_size: 1
    .uses_dynamic_stack: false
    .vgpr_count:     0
    .vgpr_spill_count: 0
    .wavefront_size: 32
    .workgroup_processor_mode: 1
  - .args:
      - .offset:         0
        .size:           56
        .value_kind:     by_value
    .group_segment_fixed_size: 0
    .kernarg_segment_align: 8
    .kernarg_segment_size: 56
    .language:       OpenCL C
    .language_version:
      - 2
      - 0
    .max_flat_workgroup_size: 256
    .name:           _ZN7rocprim17ROCPRIM_400000_NS6detail17trampoline_kernelINS0_14default_configENS1_27upper_bound_config_selectorIdlEEZNS1_14transform_implILb0ES3_S5_N6thrust23THRUST_200600_302600_NS17counting_iteratorIdNS8_11use_defaultESA_SA_EEPlZNS1_13binary_searchIS3_S5_PdSB_SC_NS1_21upper_bound_search_opENS8_6detail16wrapped_functionINS0_4lessIvEEbEEEE10hipError_tPvRmT1_T2_T3_mmT4_T5_P12ihipStream_tbEUlRKdE_EESL_SP_SQ_mSR_SU_bEUlT_E_NS1_11comp_targetILNS1_3genE2ELNS1_11target_archE906ELNS1_3gpuE6ELNS1_3repE0EEENS1_30default_config_static_selectorELNS0_4arch9wavefront6targetE0EEEvSO_
    .private_segment_fixed_size: 0
    .sgpr_count:     0
    .sgpr_spill_count: 0
    .symbol:         _ZN7rocprim17ROCPRIM_400000_NS6detail17trampoline_kernelINS0_14default_configENS1_27upper_bound_config_selectorIdlEEZNS1_14transform_implILb0ES3_S5_N6thrust23THRUST_200600_302600_NS17counting_iteratorIdNS8_11use_defaultESA_SA_EEPlZNS1_13binary_searchIS3_S5_PdSB_SC_NS1_21upper_bound_search_opENS8_6detail16wrapped_functionINS0_4lessIvEEbEEEE10hipError_tPvRmT1_T2_T3_mmT4_T5_P12ihipStream_tbEUlRKdE_EESL_SP_SQ_mSR_SU_bEUlT_E_NS1_11comp_targetILNS1_3genE2ELNS1_11target_archE906ELNS1_3gpuE6ELNS1_3repE0EEENS1_30default_config_static_selectorELNS0_4arch9wavefront6targetE0EEEvSO_.kd
    .uniform_work_group_size: 1
    .uses_dynamic_stack: false
    .vgpr_count:     0
    .vgpr_spill_count: 0
    .wavefront_size: 32
    .workgroup_processor_mode: 1
  - .args:
      - .offset:         0
        .size:           56
        .value_kind:     by_value
    .group_segment_fixed_size: 0
    .kernarg_segment_align: 8
    .kernarg_segment_size: 56
    .language:       OpenCL C
    .language_version:
      - 2
      - 0
    .max_flat_workgroup_size: 128
    .name:           _ZN7rocprim17ROCPRIM_400000_NS6detail17trampoline_kernelINS0_14default_configENS1_27upper_bound_config_selectorIdlEEZNS1_14transform_implILb0ES3_S5_N6thrust23THRUST_200600_302600_NS17counting_iteratorIdNS8_11use_defaultESA_SA_EEPlZNS1_13binary_searchIS3_S5_PdSB_SC_NS1_21upper_bound_search_opENS8_6detail16wrapped_functionINS0_4lessIvEEbEEEE10hipError_tPvRmT1_T2_T3_mmT4_T5_P12ihipStream_tbEUlRKdE_EESL_SP_SQ_mSR_SU_bEUlT_E_NS1_11comp_targetILNS1_3genE10ELNS1_11target_archE1201ELNS1_3gpuE5ELNS1_3repE0EEENS1_30default_config_static_selectorELNS0_4arch9wavefront6targetE0EEEvSO_
    .private_segment_fixed_size: 0
    .sgpr_count:     0
    .sgpr_spill_count: 0
    .symbol:         _ZN7rocprim17ROCPRIM_400000_NS6detail17trampoline_kernelINS0_14default_configENS1_27upper_bound_config_selectorIdlEEZNS1_14transform_implILb0ES3_S5_N6thrust23THRUST_200600_302600_NS17counting_iteratorIdNS8_11use_defaultESA_SA_EEPlZNS1_13binary_searchIS3_S5_PdSB_SC_NS1_21upper_bound_search_opENS8_6detail16wrapped_functionINS0_4lessIvEEbEEEE10hipError_tPvRmT1_T2_T3_mmT4_T5_P12ihipStream_tbEUlRKdE_EESL_SP_SQ_mSR_SU_bEUlT_E_NS1_11comp_targetILNS1_3genE10ELNS1_11target_archE1201ELNS1_3gpuE5ELNS1_3repE0EEENS1_30default_config_static_selectorELNS0_4arch9wavefront6targetE0EEEvSO_.kd
    .uniform_work_group_size: 1
    .uses_dynamic_stack: false
    .vgpr_count:     0
    .vgpr_spill_count: 0
    .wavefront_size: 32
    .workgroup_processor_mode: 1
  - .args:
      - .offset:         0
        .size:           56
        .value_kind:     by_value
    .group_segment_fixed_size: 0
    .kernarg_segment_align: 8
    .kernarg_segment_size: 56
    .language:       OpenCL C
    .language_version:
      - 2
      - 0
    .max_flat_workgroup_size: 128
    .name:           _ZN7rocprim17ROCPRIM_400000_NS6detail17trampoline_kernelINS0_14default_configENS1_27upper_bound_config_selectorIdlEEZNS1_14transform_implILb0ES3_S5_N6thrust23THRUST_200600_302600_NS17counting_iteratorIdNS8_11use_defaultESA_SA_EEPlZNS1_13binary_searchIS3_S5_PdSB_SC_NS1_21upper_bound_search_opENS8_6detail16wrapped_functionINS0_4lessIvEEbEEEE10hipError_tPvRmT1_T2_T3_mmT4_T5_P12ihipStream_tbEUlRKdE_EESL_SP_SQ_mSR_SU_bEUlT_E_NS1_11comp_targetILNS1_3genE10ELNS1_11target_archE1200ELNS1_3gpuE4ELNS1_3repE0EEENS1_30default_config_static_selectorELNS0_4arch9wavefront6targetE0EEEvSO_
    .private_segment_fixed_size: 0
    .sgpr_count:     0
    .sgpr_spill_count: 0
    .symbol:         _ZN7rocprim17ROCPRIM_400000_NS6detail17trampoline_kernelINS0_14default_configENS1_27upper_bound_config_selectorIdlEEZNS1_14transform_implILb0ES3_S5_N6thrust23THRUST_200600_302600_NS17counting_iteratorIdNS8_11use_defaultESA_SA_EEPlZNS1_13binary_searchIS3_S5_PdSB_SC_NS1_21upper_bound_search_opENS8_6detail16wrapped_functionINS0_4lessIvEEbEEEE10hipError_tPvRmT1_T2_T3_mmT4_T5_P12ihipStream_tbEUlRKdE_EESL_SP_SQ_mSR_SU_bEUlT_E_NS1_11comp_targetILNS1_3genE10ELNS1_11target_archE1200ELNS1_3gpuE4ELNS1_3repE0EEENS1_30default_config_static_selectorELNS0_4arch9wavefront6targetE0EEEvSO_.kd
    .uniform_work_group_size: 1
    .uses_dynamic_stack: false
    .vgpr_count:     0
    .vgpr_spill_count: 0
    .wavefront_size: 32
    .workgroup_processor_mode: 1
  - .args:
      - .offset:         0
        .size:           56
        .value_kind:     by_value
      - .offset:         56
        .size:           4
        .value_kind:     hidden_block_count_x
      - .offset:         60
        .size:           4
        .value_kind:     hidden_block_count_y
      - .offset:         64
        .size:           4
        .value_kind:     hidden_block_count_z
      - .offset:         68
        .size:           2
        .value_kind:     hidden_group_size_x
      - .offset:         70
        .size:           2
        .value_kind:     hidden_group_size_y
      - .offset:         72
        .size:           2
        .value_kind:     hidden_group_size_z
      - .offset:         74
        .size:           2
        .value_kind:     hidden_remainder_x
      - .offset:         76
        .size:           2
        .value_kind:     hidden_remainder_y
      - .offset:         78
        .size:           2
        .value_kind:     hidden_remainder_z
      - .offset:         96
        .size:           8
        .value_kind:     hidden_global_offset_x
      - .offset:         104
        .size:           8
        .value_kind:     hidden_global_offset_y
      - .offset:         112
        .size:           8
        .value_kind:     hidden_global_offset_z
      - .offset:         120
        .size:           2
        .value_kind:     hidden_grid_dims
    .group_segment_fixed_size: 0
    .kernarg_segment_align: 8
    .kernarg_segment_size: 312
    .language:       OpenCL C
    .language_version:
      - 2
      - 0
    .max_flat_workgroup_size: 256
    .name:           _ZN7rocprim17ROCPRIM_400000_NS6detail17trampoline_kernelINS0_14default_configENS1_27upper_bound_config_selectorIdlEEZNS1_14transform_implILb0ES3_S5_N6thrust23THRUST_200600_302600_NS17counting_iteratorIdNS8_11use_defaultESA_SA_EEPlZNS1_13binary_searchIS3_S5_PdSB_SC_NS1_21upper_bound_search_opENS8_6detail16wrapped_functionINS0_4lessIvEEbEEEE10hipError_tPvRmT1_T2_T3_mmT4_T5_P12ihipStream_tbEUlRKdE_EESL_SP_SQ_mSR_SU_bEUlT_E_NS1_11comp_targetILNS1_3genE9ELNS1_11target_archE1100ELNS1_3gpuE3ELNS1_3repE0EEENS1_30default_config_static_selectorELNS0_4arch9wavefront6targetE0EEEvSO_
    .private_segment_fixed_size: 0
    .sgpr_count:     18
    .sgpr_spill_count: 0
    .symbol:         _ZN7rocprim17ROCPRIM_400000_NS6detail17trampoline_kernelINS0_14default_configENS1_27upper_bound_config_selectorIdlEEZNS1_14transform_implILb0ES3_S5_N6thrust23THRUST_200600_302600_NS17counting_iteratorIdNS8_11use_defaultESA_SA_EEPlZNS1_13binary_searchIS3_S5_PdSB_SC_NS1_21upper_bound_search_opENS8_6detail16wrapped_functionINS0_4lessIvEEbEEEE10hipError_tPvRmT1_T2_T3_mmT4_T5_P12ihipStream_tbEUlRKdE_EESL_SP_SQ_mSR_SU_bEUlT_E_NS1_11comp_targetILNS1_3genE9ELNS1_11target_archE1100ELNS1_3gpuE3ELNS1_3repE0EEENS1_30default_config_static_selectorELNS0_4arch9wavefront6targetE0EEEvSO_.kd
    .uniform_work_group_size: 1
    .uses_dynamic_stack: false
    .vgpr_count:     13
    .vgpr_spill_count: 0
    .wavefront_size: 32
    .workgroup_processor_mode: 1
  - .args:
      - .offset:         0
        .size:           56
        .value_kind:     by_value
    .group_segment_fixed_size: 0
    .kernarg_segment_align: 8
    .kernarg_segment_size: 56
    .language:       OpenCL C
    .language_version:
      - 2
      - 0
    .max_flat_workgroup_size: 256
    .name:           _ZN7rocprim17ROCPRIM_400000_NS6detail17trampoline_kernelINS0_14default_configENS1_27upper_bound_config_selectorIdlEEZNS1_14transform_implILb0ES3_S5_N6thrust23THRUST_200600_302600_NS17counting_iteratorIdNS8_11use_defaultESA_SA_EEPlZNS1_13binary_searchIS3_S5_PdSB_SC_NS1_21upper_bound_search_opENS8_6detail16wrapped_functionINS0_4lessIvEEbEEEE10hipError_tPvRmT1_T2_T3_mmT4_T5_P12ihipStream_tbEUlRKdE_EESL_SP_SQ_mSR_SU_bEUlT_E_NS1_11comp_targetILNS1_3genE8ELNS1_11target_archE1030ELNS1_3gpuE2ELNS1_3repE0EEENS1_30default_config_static_selectorELNS0_4arch9wavefront6targetE0EEEvSO_
    .private_segment_fixed_size: 0
    .sgpr_count:     0
    .sgpr_spill_count: 0
    .symbol:         _ZN7rocprim17ROCPRIM_400000_NS6detail17trampoline_kernelINS0_14default_configENS1_27upper_bound_config_selectorIdlEEZNS1_14transform_implILb0ES3_S5_N6thrust23THRUST_200600_302600_NS17counting_iteratorIdNS8_11use_defaultESA_SA_EEPlZNS1_13binary_searchIS3_S5_PdSB_SC_NS1_21upper_bound_search_opENS8_6detail16wrapped_functionINS0_4lessIvEEbEEEE10hipError_tPvRmT1_T2_T3_mmT4_T5_P12ihipStream_tbEUlRKdE_EESL_SP_SQ_mSR_SU_bEUlT_E_NS1_11comp_targetILNS1_3genE8ELNS1_11target_archE1030ELNS1_3gpuE2ELNS1_3repE0EEENS1_30default_config_static_selectorELNS0_4arch9wavefront6targetE0EEEvSO_.kd
    .uniform_work_group_size: 1
    .uses_dynamic_stack: false
    .vgpr_count:     0
    .vgpr_spill_count: 0
    .wavefront_size: 32
    .workgroup_processor_mode: 1
  - .args:
      - .offset:         0
        .size:           8
        .value_kind:     by_value
      - .address_space:  global
        .offset:         8
        .size:           8
        .value_kind:     global_buffer
      - .address_space:  global
        .offset:         16
        .size:           8
        .value_kind:     global_buffer
    .group_segment_fixed_size: 0
    .kernarg_segment_align: 8
    .kernarg_segment_size: 24
    .language:       OpenCL C
    .language_version:
      - 2
      - 0
    .max_flat_workgroup_size: 256
    .name:           _Z18upper_bound_kernelIfEvmPT_Pl
    .private_segment_fixed_size: 0
    .sgpr_count:     18
    .sgpr_spill_count: 0
    .symbol:         _Z18upper_bound_kernelIfEvmPT_Pl.kd
    .uniform_work_group_size: 1
    .uses_dynamic_stack: false
    .vgpr_count:     6
    .vgpr_spill_count: 0
    .wavefront_size: 32
    .workgroup_processor_mode: 1
  - .args:
      - .offset:         0
        .size:           56
        .value_kind:     by_value
    .group_segment_fixed_size: 0
    .kernarg_segment_align: 8
    .kernarg_segment_size: 56
    .language:       OpenCL C
    .language_version:
      - 2
      - 0
    .max_flat_workgroup_size: 256
    .name:           _ZN7rocprim17ROCPRIM_400000_NS6detail17trampoline_kernelINS0_14default_configENS1_27upper_bound_config_selectorIflEEZNS1_14transform_implILb0ES3_S5_N6thrust23THRUST_200600_302600_NS17counting_iteratorIfNS8_11use_defaultESA_SA_EEPlZNS1_13binary_searchIS3_S5_PfSB_SC_NS1_21upper_bound_search_opENS8_6detail16wrapped_functionINS0_4lessIvEEbEEEE10hipError_tPvRmT1_T2_T3_mmT4_T5_P12ihipStream_tbEUlRKfE_EESL_SP_SQ_mSR_SU_bEUlT_E_NS1_11comp_targetILNS1_3genE0ELNS1_11target_archE4294967295ELNS1_3gpuE0ELNS1_3repE0EEENS1_30default_config_static_selectorELNS0_4arch9wavefront6targetE0EEEvSO_
    .private_segment_fixed_size: 0
    .sgpr_count:     0
    .sgpr_spill_count: 0
    .symbol:         _ZN7rocprim17ROCPRIM_400000_NS6detail17trampoline_kernelINS0_14default_configENS1_27upper_bound_config_selectorIflEEZNS1_14transform_implILb0ES3_S5_N6thrust23THRUST_200600_302600_NS17counting_iteratorIfNS8_11use_defaultESA_SA_EEPlZNS1_13binary_searchIS3_S5_PfSB_SC_NS1_21upper_bound_search_opENS8_6detail16wrapped_functionINS0_4lessIvEEbEEEE10hipError_tPvRmT1_T2_T3_mmT4_T5_P12ihipStream_tbEUlRKfE_EESL_SP_SQ_mSR_SU_bEUlT_E_NS1_11comp_targetILNS1_3genE0ELNS1_11target_archE4294967295ELNS1_3gpuE0ELNS1_3repE0EEENS1_30default_config_static_selectorELNS0_4arch9wavefront6targetE0EEEvSO_.kd
    .uniform_work_group_size: 1
    .uses_dynamic_stack: false
    .vgpr_count:     0
    .vgpr_spill_count: 0
    .wavefront_size: 32
    .workgroup_processor_mode: 1
  - .args:
      - .offset:         0
        .size:           56
        .value_kind:     by_value
    .group_segment_fixed_size: 0
    .kernarg_segment_align: 8
    .kernarg_segment_size: 56
    .language:       OpenCL C
    .language_version:
      - 2
      - 0
    .max_flat_workgroup_size: 256
    .name:           _ZN7rocprim17ROCPRIM_400000_NS6detail17trampoline_kernelINS0_14default_configENS1_27upper_bound_config_selectorIflEEZNS1_14transform_implILb0ES3_S5_N6thrust23THRUST_200600_302600_NS17counting_iteratorIfNS8_11use_defaultESA_SA_EEPlZNS1_13binary_searchIS3_S5_PfSB_SC_NS1_21upper_bound_search_opENS8_6detail16wrapped_functionINS0_4lessIvEEbEEEE10hipError_tPvRmT1_T2_T3_mmT4_T5_P12ihipStream_tbEUlRKfE_EESL_SP_SQ_mSR_SU_bEUlT_E_NS1_11comp_targetILNS1_3genE5ELNS1_11target_archE942ELNS1_3gpuE9ELNS1_3repE0EEENS1_30default_config_static_selectorELNS0_4arch9wavefront6targetE0EEEvSO_
    .private_segment_fixed_size: 0
    .sgpr_count:     0
    .sgpr_spill_count: 0
    .symbol:         _ZN7rocprim17ROCPRIM_400000_NS6detail17trampoline_kernelINS0_14default_configENS1_27upper_bound_config_selectorIflEEZNS1_14transform_implILb0ES3_S5_N6thrust23THRUST_200600_302600_NS17counting_iteratorIfNS8_11use_defaultESA_SA_EEPlZNS1_13binary_searchIS3_S5_PfSB_SC_NS1_21upper_bound_search_opENS8_6detail16wrapped_functionINS0_4lessIvEEbEEEE10hipError_tPvRmT1_T2_T3_mmT4_T5_P12ihipStream_tbEUlRKfE_EESL_SP_SQ_mSR_SU_bEUlT_E_NS1_11comp_targetILNS1_3genE5ELNS1_11target_archE942ELNS1_3gpuE9ELNS1_3repE0EEENS1_30default_config_static_selectorELNS0_4arch9wavefront6targetE0EEEvSO_.kd
    .uniform_work_group_size: 1
    .uses_dynamic_stack: false
    .vgpr_count:     0
    .vgpr_spill_count: 0
    .wavefront_size: 32
    .workgroup_processor_mode: 1
  - .args:
      - .offset:         0
        .size:           56
        .value_kind:     by_value
    .group_segment_fixed_size: 0
    .kernarg_segment_align: 8
    .kernarg_segment_size: 56
    .language:       OpenCL C
    .language_version:
      - 2
      - 0
    .max_flat_workgroup_size: 256
    .name:           _ZN7rocprim17ROCPRIM_400000_NS6detail17trampoline_kernelINS0_14default_configENS1_27upper_bound_config_selectorIflEEZNS1_14transform_implILb0ES3_S5_N6thrust23THRUST_200600_302600_NS17counting_iteratorIfNS8_11use_defaultESA_SA_EEPlZNS1_13binary_searchIS3_S5_PfSB_SC_NS1_21upper_bound_search_opENS8_6detail16wrapped_functionINS0_4lessIvEEbEEEE10hipError_tPvRmT1_T2_T3_mmT4_T5_P12ihipStream_tbEUlRKfE_EESL_SP_SQ_mSR_SU_bEUlT_E_NS1_11comp_targetILNS1_3genE4ELNS1_11target_archE910ELNS1_3gpuE8ELNS1_3repE0EEENS1_30default_config_static_selectorELNS0_4arch9wavefront6targetE0EEEvSO_
    .private_segment_fixed_size: 0
    .sgpr_count:     0
    .sgpr_spill_count: 0
    .symbol:         _ZN7rocprim17ROCPRIM_400000_NS6detail17trampoline_kernelINS0_14default_configENS1_27upper_bound_config_selectorIflEEZNS1_14transform_implILb0ES3_S5_N6thrust23THRUST_200600_302600_NS17counting_iteratorIfNS8_11use_defaultESA_SA_EEPlZNS1_13binary_searchIS3_S5_PfSB_SC_NS1_21upper_bound_search_opENS8_6detail16wrapped_functionINS0_4lessIvEEbEEEE10hipError_tPvRmT1_T2_T3_mmT4_T5_P12ihipStream_tbEUlRKfE_EESL_SP_SQ_mSR_SU_bEUlT_E_NS1_11comp_targetILNS1_3genE4ELNS1_11target_archE910ELNS1_3gpuE8ELNS1_3repE0EEENS1_30default_config_static_selectorELNS0_4arch9wavefront6targetE0EEEvSO_.kd
    .uniform_work_group_size: 1
    .uses_dynamic_stack: false
    .vgpr_count:     0
    .vgpr_spill_count: 0
    .wavefront_size: 32
    .workgroup_processor_mode: 1
  - .args:
      - .offset:         0
        .size:           56
        .value_kind:     by_value
    .group_segment_fixed_size: 0
    .kernarg_segment_align: 8
    .kernarg_segment_size: 56
    .language:       OpenCL C
    .language_version:
      - 2
      - 0
    .max_flat_workgroup_size: 256
    .name:           _ZN7rocprim17ROCPRIM_400000_NS6detail17trampoline_kernelINS0_14default_configENS1_27upper_bound_config_selectorIflEEZNS1_14transform_implILb0ES3_S5_N6thrust23THRUST_200600_302600_NS17counting_iteratorIfNS8_11use_defaultESA_SA_EEPlZNS1_13binary_searchIS3_S5_PfSB_SC_NS1_21upper_bound_search_opENS8_6detail16wrapped_functionINS0_4lessIvEEbEEEE10hipError_tPvRmT1_T2_T3_mmT4_T5_P12ihipStream_tbEUlRKfE_EESL_SP_SQ_mSR_SU_bEUlT_E_NS1_11comp_targetILNS1_3genE3ELNS1_11target_archE908ELNS1_3gpuE7ELNS1_3repE0EEENS1_30default_config_static_selectorELNS0_4arch9wavefront6targetE0EEEvSO_
    .private_segment_fixed_size: 0
    .sgpr_count:     0
    .sgpr_spill_count: 0
    .symbol:         _ZN7rocprim17ROCPRIM_400000_NS6detail17trampoline_kernelINS0_14default_configENS1_27upper_bound_config_selectorIflEEZNS1_14transform_implILb0ES3_S5_N6thrust23THRUST_200600_302600_NS17counting_iteratorIfNS8_11use_defaultESA_SA_EEPlZNS1_13binary_searchIS3_S5_PfSB_SC_NS1_21upper_bound_search_opENS8_6detail16wrapped_functionINS0_4lessIvEEbEEEE10hipError_tPvRmT1_T2_T3_mmT4_T5_P12ihipStream_tbEUlRKfE_EESL_SP_SQ_mSR_SU_bEUlT_E_NS1_11comp_targetILNS1_3genE3ELNS1_11target_archE908ELNS1_3gpuE7ELNS1_3repE0EEENS1_30default_config_static_selectorELNS0_4arch9wavefront6targetE0EEEvSO_.kd
    .uniform_work_group_size: 1
    .uses_dynamic_stack: false
    .vgpr_count:     0
    .vgpr_spill_count: 0
    .wavefront_size: 32
    .workgroup_processor_mode: 1
  - .args:
      - .offset:         0
        .size:           56
        .value_kind:     by_value
    .group_segment_fixed_size: 0
    .kernarg_segment_align: 8
    .kernarg_segment_size: 56
    .language:       OpenCL C
    .language_version:
      - 2
      - 0
    .max_flat_workgroup_size: 256
    .name:           _ZN7rocprim17ROCPRIM_400000_NS6detail17trampoline_kernelINS0_14default_configENS1_27upper_bound_config_selectorIflEEZNS1_14transform_implILb0ES3_S5_N6thrust23THRUST_200600_302600_NS17counting_iteratorIfNS8_11use_defaultESA_SA_EEPlZNS1_13binary_searchIS3_S5_PfSB_SC_NS1_21upper_bound_search_opENS8_6detail16wrapped_functionINS0_4lessIvEEbEEEE10hipError_tPvRmT1_T2_T3_mmT4_T5_P12ihipStream_tbEUlRKfE_EESL_SP_SQ_mSR_SU_bEUlT_E_NS1_11comp_targetILNS1_3genE2ELNS1_11target_archE906ELNS1_3gpuE6ELNS1_3repE0EEENS1_30default_config_static_selectorELNS0_4arch9wavefront6targetE0EEEvSO_
    .private_segment_fixed_size: 0
    .sgpr_count:     0
    .sgpr_spill_count: 0
    .symbol:         _ZN7rocprim17ROCPRIM_400000_NS6detail17trampoline_kernelINS0_14default_configENS1_27upper_bound_config_selectorIflEEZNS1_14transform_implILb0ES3_S5_N6thrust23THRUST_200600_302600_NS17counting_iteratorIfNS8_11use_defaultESA_SA_EEPlZNS1_13binary_searchIS3_S5_PfSB_SC_NS1_21upper_bound_search_opENS8_6detail16wrapped_functionINS0_4lessIvEEbEEEE10hipError_tPvRmT1_T2_T3_mmT4_T5_P12ihipStream_tbEUlRKfE_EESL_SP_SQ_mSR_SU_bEUlT_E_NS1_11comp_targetILNS1_3genE2ELNS1_11target_archE906ELNS1_3gpuE6ELNS1_3repE0EEENS1_30default_config_static_selectorELNS0_4arch9wavefront6targetE0EEEvSO_.kd
    .uniform_work_group_size: 1
    .uses_dynamic_stack: false
    .vgpr_count:     0
    .vgpr_spill_count: 0
    .wavefront_size: 32
    .workgroup_processor_mode: 1
  - .args:
      - .offset:         0
        .size:           56
        .value_kind:     by_value
    .group_segment_fixed_size: 0
    .kernarg_segment_align: 8
    .kernarg_segment_size: 56
    .language:       OpenCL C
    .language_version:
      - 2
      - 0
    .max_flat_workgroup_size: 128
    .name:           _ZN7rocprim17ROCPRIM_400000_NS6detail17trampoline_kernelINS0_14default_configENS1_27upper_bound_config_selectorIflEEZNS1_14transform_implILb0ES3_S5_N6thrust23THRUST_200600_302600_NS17counting_iteratorIfNS8_11use_defaultESA_SA_EEPlZNS1_13binary_searchIS3_S5_PfSB_SC_NS1_21upper_bound_search_opENS8_6detail16wrapped_functionINS0_4lessIvEEbEEEE10hipError_tPvRmT1_T2_T3_mmT4_T5_P12ihipStream_tbEUlRKfE_EESL_SP_SQ_mSR_SU_bEUlT_E_NS1_11comp_targetILNS1_3genE10ELNS1_11target_archE1201ELNS1_3gpuE5ELNS1_3repE0EEENS1_30default_config_static_selectorELNS0_4arch9wavefront6targetE0EEEvSO_
    .private_segment_fixed_size: 0
    .sgpr_count:     0
    .sgpr_spill_count: 0
    .symbol:         _ZN7rocprim17ROCPRIM_400000_NS6detail17trampoline_kernelINS0_14default_configENS1_27upper_bound_config_selectorIflEEZNS1_14transform_implILb0ES3_S5_N6thrust23THRUST_200600_302600_NS17counting_iteratorIfNS8_11use_defaultESA_SA_EEPlZNS1_13binary_searchIS3_S5_PfSB_SC_NS1_21upper_bound_search_opENS8_6detail16wrapped_functionINS0_4lessIvEEbEEEE10hipError_tPvRmT1_T2_T3_mmT4_T5_P12ihipStream_tbEUlRKfE_EESL_SP_SQ_mSR_SU_bEUlT_E_NS1_11comp_targetILNS1_3genE10ELNS1_11target_archE1201ELNS1_3gpuE5ELNS1_3repE0EEENS1_30default_config_static_selectorELNS0_4arch9wavefront6targetE0EEEvSO_.kd
    .uniform_work_group_size: 1
    .uses_dynamic_stack: false
    .vgpr_count:     0
    .vgpr_spill_count: 0
    .wavefront_size: 32
    .workgroup_processor_mode: 1
  - .args:
      - .offset:         0
        .size:           56
        .value_kind:     by_value
    .group_segment_fixed_size: 0
    .kernarg_segment_align: 8
    .kernarg_segment_size: 56
    .language:       OpenCL C
    .language_version:
      - 2
      - 0
    .max_flat_workgroup_size: 128
    .name:           _ZN7rocprim17ROCPRIM_400000_NS6detail17trampoline_kernelINS0_14default_configENS1_27upper_bound_config_selectorIflEEZNS1_14transform_implILb0ES3_S5_N6thrust23THRUST_200600_302600_NS17counting_iteratorIfNS8_11use_defaultESA_SA_EEPlZNS1_13binary_searchIS3_S5_PfSB_SC_NS1_21upper_bound_search_opENS8_6detail16wrapped_functionINS0_4lessIvEEbEEEE10hipError_tPvRmT1_T2_T3_mmT4_T5_P12ihipStream_tbEUlRKfE_EESL_SP_SQ_mSR_SU_bEUlT_E_NS1_11comp_targetILNS1_3genE10ELNS1_11target_archE1200ELNS1_3gpuE4ELNS1_3repE0EEENS1_30default_config_static_selectorELNS0_4arch9wavefront6targetE0EEEvSO_
    .private_segment_fixed_size: 0
    .sgpr_count:     0
    .sgpr_spill_count: 0
    .symbol:         _ZN7rocprim17ROCPRIM_400000_NS6detail17trampoline_kernelINS0_14default_configENS1_27upper_bound_config_selectorIflEEZNS1_14transform_implILb0ES3_S5_N6thrust23THRUST_200600_302600_NS17counting_iteratorIfNS8_11use_defaultESA_SA_EEPlZNS1_13binary_searchIS3_S5_PfSB_SC_NS1_21upper_bound_search_opENS8_6detail16wrapped_functionINS0_4lessIvEEbEEEE10hipError_tPvRmT1_T2_T3_mmT4_T5_P12ihipStream_tbEUlRKfE_EESL_SP_SQ_mSR_SU_bEUlT_E_NS1_11comp_targetILNS1_3genE10ELNS1_11target_archE1200ELNS1_3gpuE4ELNS1_3repE0EEENS1_30default_config_static_selectorELNS0_4arch9wavefront6targetE0EEEvSO_.kd
    .uniform_work_group_size: 1
    .uses_dynamic_stack: false
    .vgpr_count:     0
    .vgpr_spill_count: 0
    .wavefront_size: 32
    .workgroup_processor_mode: 1
  - .args:
      - .offset:         0
        .size:           56
        .value_kind:     by_value
      - .offset:         56
        .size:           4
        .value_kind:     hidden_block_count_x
      - .offset:         60
        .size:           4
        .value_kind:     hidden_block_count_y
      - .offset:         64
        .size:           4
        .value_kind:     hidden_block_count_z
      - .offset:         68
        .size:           2
        .value_kind:     hidden_group_size_x
      - .offset:         70
        .size:           2
        .value_kind:     hidden_group_size_y
      - .offset:         72
        .size:           2
        .value_kind:     hidden_group_size_z
      - .offset:         74
        .size:           2
        .value_kind:     hidden_remainder_x
      - .offset:         76
        .size:           2
        .value_kind:     hidden_remainder_y
      - .offset:         78
        .size:           2
        .value_kind:     hidden_remainder_z
      - .offset:         96
        .size:           8
        .value_kind:     hidden_global_offset_x
      - .offset:         104
        .size:           8
        .value_kind:     hidden_global_offset_y
      - .offset:         112
        .size:           8
        .value_kind:     hidden_global_offset_z
      - .offset:         120
        .size:           2
        .value_kind:     hidden_grid_dims
    .group_segment_fixed_size: 0
    .kernarg_segment_align: 8
    .kernarg_segment_size: 312
    .language:       OpenCL C
    .language_version:
      - 2
      - 0
    .max_flat_workgroup_size: 256
    .name:           _ZN7rocprim17ROCPRIM_400000_NS6detail17trampoline_kernelINS0_14default_configENS1_27upper_bound_config_selectorIflEEZNS1_14transform_implILb0ES3_S5_N6thrust23THRUST_200600_302600_NS17counting_iteratorIfNS8_11use_defaultESA_SA_EEPlZNS1_13binary_searchIS3_S5_PfSB_SC_NS1_21upper_bound_search_opENS8_6detail16wrapped_functionINS0_4lessIvEEbEEEE10hipError_tPvRmT1_T2_T3_mmT4_T5_P12ihipStream_tbEUlRKfE_EESL_SP_SQ_mSR_SU_bEUlT_E_NS1_11comp_targetILNS1_3genE9ELNS1_11target_archE1100ELNS1_3gpuE3ELNS1_3repE0EEENS1_30default_config_static_selectorELNS0_4arch9wavefront6targetE0EEEvSO_
    .private_segment_fixed_size: 0
    .sgpr_count:     18
    .sgpr_spill_count: 0
    .symbol:         _ZN7rocprim17ROCPRIM_400000_NS6detail17trampoline_kernelINS0_14default_configENS1_27upper_bound_config_selectorIflEEZNS1_14transform_implILb0ES3_S5_N6thrust23THRUST_200600_302600_NS17counting_iteratorIfNS8_11use_defaultESA_SA_EEPlZNS1_13binary_searchIS3_S5_PfSB_SC_NS1_21upper_bound_search_opENS8_6detail16wrapped_functionINS0_4lessIvEEbEEEE10hipError_tPvRmT1_T2_T3_mmT4_T5_P12ihipStream_tbEUlRKfE_EESL_SP_SQ_mSR_SU_bEUlT_E_NS1_11comp_targetILNS1_3genE9ELNS1_11target_archE1100ELNS1_3gpuE3ELNS1_3repE0EEENS1_30default_config_static_selectorELNS0_4arch9wavefront6targetE0EEEvSO_.kd
    .uniform_work_group_size: 1
    .uses_dynamic_stack: false
    .vgpr_count:     12
    .vgpr_spill_count: 0
    .wavefront_size: 32
    .workgroup_processor_mode: 1
  - .args:
      - .offset:         0
        .size:           56
        .value_kind:     by_value
    .group_segment_fixed_size: 0
    .kernarg_segment_align: 8
    .kernarg_segment_size: 56
    .language:       OpenCL C
    .language_version:
      - 2
      - 0
    .max_flat_workgroup_size: 256
    .name:           _ZN7rocprim17ROCPRIM_400000_NS6detail17trampoline_kernelINS0_14default_configENS1_27upper_bound_config_selectorIflEEZNS1_14transform_implILb0ES3_S5_N6thrust23THRUST_200600_302600_NS17counting_iteratorIfNS8_11use_defaultESA_SA_EEPlZNS1_13binary_searchIS3_S5_PfSB_SC_NS1_21upper_bound_search_opENS8_6detail16wrapped_functionINS0_4lessIvEEbEEEE10hipError_tPvRmT1_T2_T3_mmT4_T5_P12ihipStream_tbEUlRKfE_EESL_SP_SQ_mSR_SU_bEUlT_E_NS1_11comp_targetILNS1_3genE8ELNS1_11target_archE1030ELNS1_3gpuE2ELNS1_3repE0EEENS1_30default_config_static_selectorELNS0_4arch9wavefront6targetE0EEEvSO_
    .private_segment_fixed_size: 0
    .sgpr_count:     0
    .sgpr_spill_count: 0
    .symbol:         _ZN7rocprim17ROCPRIM_400000_NS6detail17trampoline_kernelINS0_14default_configENS1_27upper_bound_config_selectorIflEEZNS1_14transform_implILb0ES3_S5_N6thrust23THRUST_200600_302600_NS17counting_iteratorIfNS8_11use_defaultESA_SA_EEPlZNS1_13binary_searchIS3_S5_PfSB_SC_NS1_21upper_bound_search_opENS8_6detail16wrapped_functionINS0_4lessIvEEbEEEE10hipError_tPvRmT1_T2_T3_mmT4_T5_P12ihipStream_tbEUlRKfE_EESL_SP_SQ_mSR_SU_bEUlT_E_NS1_11comp_targetILNS1_3genE8ELNS1_11target_archE1030ELNS1_3gpuE2ELNS1_3repE0EEENS1_30default_config_static_selectorELNS0_4arch9wavefront6targetE0EEEvSO_.kd
    .uniform_work_group_size: 1
    .uses_dynamic_stack: false
    .vgpr_count:     0
    .vgpr_spill_count: 0
    .wavefront_size: 32
    .workgroup_processor_mode: 1
  - .args:
      - .offset:         0
        .size:           8
        .value_kind:     by_value
      - .address_space:  global
        .offset:         8
        .size:           8
        .value_kind:     global_buffer
      - .address_space:  global
        .offset:         16
        .size:           8
        .value_kind:     global_buffer
    .group_segment_fixed_size: 0
    .kernarg_segment_align: 8
    .kernarg_segment_size: 24
    .language:       OpenCL C
    .language_version:
      - 2
      - 0
    .max_flat_workgroup_size: 256
    .name:           _Z18upper_bound_kernelIyEvmPT_Pl
    .private_segment_fixed_size: 0
    .sgpr_count:     19
    .sgpr_spill_count: 0
    .symbol:         _Z18upper_bound_kernelIyEvmPT_Pl.kd
    .uniform_work_group_size: 1
    .uses_dynamic_stack: false
    .vgpr_count:     3
    .vgpr_spill_count: 0
    .wavefront_size: 32
    .workgroup_processor_mode: 1
  - .args:
      - .offset:         0
        .size:           56
        .value_kind:     by_value
    .group_segment_fixed_size: 0
    .kernarg_segment_align: 8
    .kernarg_segment_size: 56
    .language:       OpenCL C
    .language_version:
      - 2
      - 0
    .max_flat_workgroup_size: 128
    .name:           _ZN7rocprim17ROCPRIM_400000_NS6detail17trampoline_kernelINS0_14default_configENS1_27upper_bound_config_selectorIylEEZNS1_14transform_implILb0ES3_S5_N6thrust23THRUST_200600_302600_NS17counting_iteratorIyNS8_11use_defaultESA_SA_EEPlZNS1_13binary_searchIS3_S5_PySB_SC_NS1_21upper_bound_search_opENS8_6detail16wrapped_functionINS0_4lessIvEEbEEEE10hipError_tPvRmT1_T2_T3_mmT4_T5_P12ihipStream_tbEUlRKyE_EESL_SP_SQ_mSR_SU_bEUlT_E_NS1_11comp_targetILNS1_3genE0ELNS1_11target_archE4294967295ELNS1_3gpuE0ELNS1_3repE0EEENS1_30default_config_static_selectorELNS0_4arch9wavefront6targetE0EEEvSO_
    .private_segment_fixed_size: 0
    .sgpr_count:     0
    .sgpr_spill_count: 0
    .symbol:         _ZN7rocprim17ROCPRIM_400000_NS6detail17trampoline_kernelINS0_14default_configENS1_27upper_bound_config_selectorIylEEZNS1_14transform_implILb0ES3_S5_N6thrust23THRUST_200600_302600_NS17counting_iteratorIyNS8_11use_defaultESA_SA_EEPlZNS1_13binary_searchIS3_S5_PySB_SC_NS1_21upper_bound_search_opENS8_6detail16wrapped_functionINS0_4lessIvEEbEEEE10hipError_tPvRmT1_T2_T3_mmT4_T5_P12ihipStream_tbEUlRKyE_EESL_SP_SQ_mSR_SU_bEUlT_E_NS1_11comp_targetILNS1_3genE0ELNS1_11target_archE4294967295ELNS1_3gpuE0ELNS1_3repE0EEENS1_30default_config_static_selectorELNS0_4arch9wavefront6targetE0EEEvSO_.kd
    .uniform_work_group_size: 1
    .uses_dynamic_stack: false
    .vgpr_count:     0
    .vgpr_spill_count: 0
    .wavefront_size: 32
    .workgroup_processor_mode: 1
  - .args:
      - .offset:         0
        .size:           56
        .value_kind:     by_value
    .group_segment_fixed_size: 0
    .kernarg_segment_align: 8
    .kernarg_segment_size: 56
    .language:       OpenCL C
    .language_version:
      - 2
      - 0
    .max_flat_workgroup_size: 64
    .name:           _ZN7rocprim17ROCPRIM_400000_NS6detail17trampoline_kernelINS0_14default_configENS1_27upper_bound_config_selectorIylEEZNS1_14transform_implILb0ES3_S5_N6thrust23THRUST_200600_302600_NS17counting_iteratorIyNS8_11use_defaultESA_SA_EEPlZNS1_13binary_searchIS3_S5_PySB_SC_NS1_21upper_bound_search_opENS8_6detail16wrapped_functionINS0_4lessIvEEbEEEE10hipError_tPvRmT1_T2_T3_mmT4_T5_P12ihipStream_tbEUlRKyE_EESL_SP_SQ_mSR_SU_bEUlT_E_NS1_11comp_targetILNS1_3genE5ELNS1_11target_archE942ELNS1_3gpuE9ELNS1_3repE0EEENS1_30default_config_static_selectorELNS0_4arch9wavefront6targetE0EEEvSO_
    .private_segment_fixed_size: 0
    .sgpr_count:     0
    .sgpr_spill_count: 0
    .symbol:         _ZN7rocprim17ROCPRIM_400000_NS6detail17trampoline_kernelINS0_14default_configENS1_27upper_bound_config_selectorIylEEZNS1_14transform_implILb0ES3_S5_N6thrust23THRUST_200600_302600_NS17counting_iteratorIyNS8_11use_defaultESA_SA_EEPlZNS1_13binary_searchIS3_S5_PySB_SC_NS1_21upper_bound_search_opENS8_6detail16wrapped_functionINS0_4lessIvEEbEEEE10hipError_tPvRmT1_T2_T3_mmT4_T5_P12ihipStream_tbEUlRKyE_EESL_SP_SQ_mSR_SU_bEUlT_E_NS1_11comp_targetILNS1_3genE5ELNS1_11target_archE942ELNS1_3gpuE9ELNS1_3repE0EEENS1_30default_config_static_selectorELNS0_4arch9wavefront6targetE0EEEvSO_.kd
    .uniform_work_group_size: 1
    .uses_dynamic_stack: false
    .vgpr_count:     0
    .vgpr_spill_count: 0
    .wavefront_size: 32
    .workgroup_processor_mode: 1
  - .args:
      - .offset:         0
        .size:           56
        .value_kind:     by_value
    .group_segment_fixed_size: 0
    .kernarg_segment_align: 8
    .kernarg_segment_size: 56
    .language:       OpenCL C
    .language_version:
      - 2
      - 0
    .max_flat_workgroup_size: 64
    .name:           _ZN7rocprim17ROCPRIM_400000_NS6detail17trampoline_kernelINS0_14default_configENS1_27upper_bound_config_selectorIylEEZNS1_14transform_implILb0ES3_S5_N6thrust23THRUST_200600_302600_NS17counting_iteratorIyNS8_11use_defaultESA_SA_EEPlZNS1_13binary_searchIS3_S5_PySB_SC_NS1_21upper_bound_search_opENS8_6detail16wrapped_functionINS0_4lessIvEEbEEEE10hipError_tPvRmT1_T2_T3_mmT4_T5_P12ihipStream_tbEUlRKyE_EESL_SP_SQ_mSR_SU_bEUlT_E_NS1_11comp_targetILNS1_3genE4ELNS1_11target_archE910ELNS1_3gpuE8ELNS1_3repE0EEENS1_30default_config_static_selectorELNS0_4arch9wavefront6targetE0EEEvSO_
    .private_segment_fixed_size: 0
    .sgpr_count:     0
    .sgpr_spill_count: 0
    .symbol:         _ZN7rocprim17ROCPRIM_400000_NS6detail17trampoline_kernelINS0_14default_configENS1_27upper_bound_config_selectorIylEEZNS1_14transform_implILb0ES3_S5_N6thrust23THRUST_200600_302600_NS17counting_iteratorIyNS8_11use_defaultESA_SA_EEPlZNS1_13binary_searchIS3_S5_PySB_SC_NS1_21upper_bound_search_opENS8_6detail16wrapped_functionINS0_4lessIvEEbEEEE10hipError_tPvRmT1_T2_T3_mmT4_T5_P12ihipStream_tbEUlRKyE_EESL_SP_SQ_mSR_SU_bEUlT_E_NS1_11comp_targetILNS1_3genE4ELNS1_11target_archE910ELNS1_3gpuE8ELNS1_3repE0EEENS1_30default_config_static_selectorELNS0_4arch9wavefront6targetE0EEEvSO_.kd
    .uniform_work_group_size: 1
    .uses_dynamic_stack: false
    .vgpr_count:     0
    .vgpr_spill_count: 0
    .wavefront_size: 32
    .workgroup_processor_mode: 1
  - .args:
      - .offset:         0
        .size:           56
        .value_kind:     by_value
    .group_segment_fixed_size: 0
    .kernarg_segment_align: 8
    .kernarg_segment_size: 56
    .language:       OpenCL C
    .language_version:
      - 2
      - 0
    .max_flat_workgroup_size: 128
    .name:           _ZN7rocprim17ROCPRIM_400000_NS6detail17trampoline_kernelINS0_14default_configENS1_27upper_bound_config_selectorIylEEZNS1_14transform_implILb0ES3_S5_N6thrust23THRUST_200600_302600_NS17counting_iteratorIyNS8_11use_defaultESA_SA_EEPlZNS1_13binary_searchIS3_S5_PySB_SC_NS1_21upper_bound_search_opENS8_6detail16wrapped_functionINS0_4lessIvEEbEEEE10hipError_tPvRmT1_T2_T3_mmT4_T5_P12ihipStream_tbEUlRKyE_EESL_SP_SQ_mSR_SU_bEUlT_E_NS1_11comp_targetILNS1_3genE3ELNS1_11target_archE908ELNS1_3gpuE7ELNS1_3repE0EEENS1_30default_config_static_selectorELNS0_4arch9wavefront6targetE0EEEvSO_
    .private_segment_fixed_size: 0
    .sgpr_count:     0
    .sgpr_spill_count: 0
    .symbol:         _ZN7rocprim17ROCPRIM_400000_NS6detail17trampoline_kernelINS0_14default_configENS1_27upper_bound_config_selectorIylEEZNS1_14transform_implILb0ES3_S5_N6thrust23THRUST_200600_302600_NS17counting_iteratorIyNS8_11use_defaultESA_SA_EEPlZNS1_13binary_searchIS3_S5_PySB_SC_NS1_21upper_bound_search_opENS8_6detail16wrapped_functionINS0_4lessIvEEbEEEE10hipError_tPvRmT1_T2_T3_mmT4_T5_P12ihipStream_tbEUlRKyE_EESL_SP_SQ_mSR_SU_bEUlT_E_NS1_11comp_targetILNS1_3genE3ELNS1_11target_archE908ELNS1_3gpuE7ELNS1_3repE0EEENS1_30default_config_static_selectorELNS0_4arch9wavefront6targetE0EEEvSO_.kd
    .uniform_work_group_size: 1
    .uses_dynamic_stack: false
    .vgpr_count:     0
    .vgpr_spill_count: 0
    .wavefront_size: 32
    .workgroup_processor_mode: 1
  - .args:
      - .offset:         0
        .size:           56
        .value_kind:     by_value
    .group_segment_fixed_size: 0
    .kernarg_segment_align: 8
    .kernarg_segment_size: 56
    .language:       OpenCL C
    .language_version:
      - 2
      - 0
    .max_flat_workgroup_size: 256
    .name:           _ZN7rocprim17ROCPRIM_400000_NS6detail17trampoline_kernelINS0_14default_configENS1_27upper_bound_config_selectorIylEEZNS1_14transform_implILb0ES3_S5_N6thrust23THRUST_200600_302600_NS17counting_iteratorIyNS8_11use_defaultESA_SA_EEPlZNS1_13binary_searchIS3_S5_PySB_SC_NS1_21upper_bound_search_opENS8_6detail16wrapped_functionINS0_4lessIvEEbEEEE10hipError_tPvRmT1_T2_T3_mmT4_T5_P12ihipStream_tbEUlRKyE_EESL_SP_SQ_mSR_SU_bEUlT_E_NS1_11comp_targetILNS1_3genE2ELNS1_11target_archE906ELNS1_3gpuE6ELNS1_3repE0EEENS1_30default_config_static_selectorELNS0_4arch9wavefront6targetE0EEEvSO_
    .private_segment_fixed_size: 0
    .sgpr_count:     0
    .sgpr_spill_count: 0
    .symbol:         _ZN7rocprim17ROCPRIM_400000_NS6detail17trampoline_kernelINS0_14default_configENS1_27upper_bound_config_selectorIylEEZNS1_14transform_implILb0ES3_S5_N6thrust23THRUST_200600_302600_NS17counting_iteratorIyNS8_11use_defaultESA_SA_EEPlZNS1_13binary_searchIS3_S5_PySB_SC_NS1_21upper_bound_search_opENS8_6detail16wrapped_functionINS0_4lessIvEEbEEEE10hipError_tPvRmT1_T2_T3_mmT4_T5_P12ihipStream_tbEUlRKyE_EESL_SP_SQ_mSR_SU_bEUlT_E_NS1_11comp_targetILNS1_3genE2ELNS1_11target_archE906ELNS1_3gpuE6ELNS1_3repE0EEENS1_30default_config_static_selectorELNS0_4arch9wavefront6targetE0EEEvSO_.kd
    .uniform_work_group_size: 1
    .uses_dynamic_stack: false
    .vgpr_count:     0
    .vgpr_spill_count: 0
    .wavefront_size: 32
    .workgroup_processor_mode: 1
  - .args:
      - .offset:         0
        .size:           56
        .value_kind:     by_value
    .group_segment_fixed_size: 0
    .kernarg_segment_align: 8
    .kernarg_segment_size: 56
    .language:       OpenCL C
    .language_version:
      - 2
      - 0
    .max_flat_workgroup_size: 128
    .name:           _ZN7rocprim17ROCPRIM_400000_NS6detail17trampoline_kernelINS0_14default_configENS1_27upper_bound_config_selectorIylEEZNS1_14transform_implILb0ES3_S5_N6thrust23THRUST_200600_302600_NS17counting_iteratorIyNS8_11use_defaultESA_SA_EEPlZNS1_13binary_searchIS3_S5_PySB_SC_NS1_21upper_bound_search_opENS8_6detail16wrapped_functionINS0_4lessIvEEbEEEE10hipError_tPvRmT1_T2_T3_mmT4_T5_P12ihipStream_tbEUlRKyE_EESL_SP_SQ_mSR_SU_bEUlT_E_NS1_11comp_targetILNS1_3genE10ELNS1_11target_archE1201ELNS1_3gpuE5ELNS1_3repE0EEENS1_30default_config_static_selectorELNS0_4arch9wavefront6targetE0EEEvSO_
    .private_segment_fixed_size: 0
    .sgpr_count:     0
    .sgpr_spill_count: 0
    .symbol:         _ZN7rocprim17ROCPRIM_400000_NS6detail17trampoline_kernelINS0_14default_configENS1_27upper_bound_config_selectorIylEEZNS1_14transform_implILb0ES3_S5_N6thrust23THRUST_200600_302600_NS17counting_iteratorIyNS8_11use_defaultESA_SA_EEPlZNS1_13binary_searchIS3_S5_PySB_SC_NS1_21upper_bound_search_opENS8_6detail16wrapped_functionINS0_4lessIvEEbEEEE10hipError_tPvRmT1_T2_T3_mmT4_T5_P12ihipStream_tbEUlRKyE_EESL_SP_SQ_mSR_SU_bEUlT_E_NS1_11comp_targetILNS1_3genE10ELNS1_11target_archE1201ELNS1_3gpuE5ELNS1_3repE0EEENS1_30default_config_static_selectorELNS0_4arch9wavefront6targetE0EEEvSO_.kd
    .uniform_work_group_size: 1
    .uses_dynamic_stack: false
    .vgpr_count:     0
    .vgpr_spill_count: 0
    .wavefront_size: 32
    .workgroup_processor_mode: 1
  - .args:
      - .offset:         0
        .size:           56
        .value_kind:     by_value
    .group_segment_fixed_size: 0
    .kernarg_segment_align: 8
    .kernarg_segment_size: 56
    .language:       OpenCL C
    .language_version:
      - 2
      - 0
    .max_flat_workgroup_size: 128
    .name:           _ZN7rocprim17ROCPRIM_400000_NS6detail17trampoline_kernelINS0_14default_configENS1_27upper_bound_config_selectorIylEEZNS1_14transform_implILb0ES3_S5_N6thrust23THRUST_200600_302600_NS17counting_iteratorIyNS8_11use_defaultESA_SA_EEPlZNS1_13binary_searchIS3_S5_PySB_SC_NS1_21upper_bound_search_opENS8_6detail16wrapped_functionINS0_4lessIvEEbEEEE10hipError_tPvRmT1_T2_T3_mmT4_T5_P12ihipStream_tbEUlRKyE_EESL_SP_SQ_mSR_SU_bEUlT_E_NS1_11comp_targetILNS1_3genE10ELNS1_11target_archE1200ELNS1_3gpuE4ELNS1_3repE0EEENS1_30default_config_static_selectorELNS0_4arch9wavefront6targetE0EEEvSO_
    .private_segment_fixed_size: 0
    .sgpr_count:     0
    .sgpr_spill_count: 0
    .symbol:         _ZN7rocprim17ROCPRIM_400000_NS6detail17trampoline_kernelINS0_14default_configENS1_27upper_bound_config_selectorIylEEZNS1_14transform_implILb0ES3_S5_N6thrust23THRUST_200600_302600_NS17counting_iteratorIyNS8_11use_defaultESA_SA_EEPlZNS1_13binary_searchIS3_S5_PySB_SC_NS1_21upper_bound_search_opENS8_6detail16wrapped_functionINS0_4lessIvEEbEEEE10hipError_tPvRmT1_T2_T3_mmT4_T5_P12ihipStream_tbEUlRKyE_EESL_SP_SQ_mSR_SU_bEUlT_E_NS1_11comp_targetILNS1_3genE10ELNS1_11target_archE1200ELNS1_3gpuE4ELNS1_3repE0EEENS1_30default_config_static_selectorELNS0_4arch9wavefront6targetE0EEEvSO_.kd
    .uniform_work_group_size: 1
    .uses_dynamic_stack: false
    .vgpr_count:     0
    .vgpr_spill_count: 0
    .wavefront_size: 32
    .workgroup_processor_mode: 1
  - .args:
      - .offset:         0
        .size:           56
        .value_kind:     by_value
      - .offset:         56
        .size:           4
        .value_kind:     hidden_block_count_x
      - .offset:         60
        .size:           4
        .value_kind:     hidden_block_count_y
      - .offset:         64
        .size:           4
        .value_kind:     hidden_block_count_z
      - .offset:         68
        .size:           2
        .value_kind:     hidden_group_size_x
      - .offset:         70
        .size:           2
        .value_kind:     hidden_group_size_y
      - .offset:         72
        .size:           2
        .value_kind:     hidden_group_size_z
      - .offset:         74
        .size:           2
        .value_kind:     hidden_remainder_x
      - .offset:         76
        .size:           2
        .value_kind:     hidden_remainder_y
      - .offset:         78
        .size:           2
        .value_kind:     hidden_remainder_z
      - .offset:         96
        .size:           8
        .value_kind:     hidden_global_offset_x
      - .offset:         104
        .size:           8
        .value_kind:     hidden_global_offset_y
      - .offset:         112
        .size:           8
        .value_kind:     hidden_global_offset_z
      - .offset:         120
        .size:           2
        .value_kind:     hidden_grid_dims
    .group_segment_fixed_size: 0
    .kernarg_segment_align: 8
    .kernarg_segment_size: 312
    .language:       OpenCL C
    .language_version:
      - 2
      - 0
    .max_flat_workgroup_size: 256
    .name:           _ZN7rocprim17ROCPRIM_400000_NS6detail17trampoline_kernelINS0_14default_configENS1_27upper_bound_config_selectorIylEEZNS1_14transform_implILb0ES3_S5_N6thrust23THRUST_200600_302600_NS17counting_iteratorIyNS8_11use_defaultESA_SA_EEPlZNS1_13binary_searchIS3_S5_PySB_SC_NS1_21upper_bound_search_opENS8_6detail16wrapped_functionINS0_4lessIvEEbEEEE10hipError_tPvRmT1_T2_T3_mmT4_T5_P12ihipStream_tbEUlRKyE_EESL_SP_SQ_mSR_SU_bEUlT_E_NS1_11comp_targetILNS1_3genE9ELNS1_11target_archE1100ELNS1_3gpuE3ELNS1_3repE0EEENS1_30default_config_static_selectorELNS0_4arch9wavefront6targetE0EEEvSO_
    .private_segment_fixed_size: 0
    .sgpr_count:     18
    .sgpr_spill_count: 0
    .symbol:         _ZN7rocprim17ROCPRIM_400000_NS6detail17trampoline_kernelINS0_14default_configENS1_27upper_bound_config_selectorIylEEZNS1_14transform_implILb0ES3_S5_N6thrust23THRUST_200600_302600_NS17counting_iteratorIyNS8_11use_defaultESA_SA_EEPlZNS1_13binary_searchIS3_S5_PySB_SC_NS1_21upper_bound_search_opENS8_6detail16wrapped_functionINS0_4lessIvEEbEEEE10hipError_tPvRmT1_T2_T3_mmT4_T5_P12ihipStream_tbEUlRKyE_EESL_SP_SQ_mSR_SU_bEUlT_E_NS1_11comp_targetILNS1_3genE9ELNS1_11target_archE1100ELNS1_3gpuE3ELNS1_3repE0EEENS1_30default_config_static_selectorELNS0_4arch9wavefront6targetE0EEEvSO_.kd
    .uniform_work_group_size: 1
    .uses_dynamic_stack: false
    .vgpr_count:     13
    .vgpr_spill_count: 0
    .wavefront_size: 32
    .workgroup_processor_mode: 1
  - .args:
      - .offset:         0
        .size:           56
        .value_kind:     by_value
    .group_segment_fixed_size: 0
    .kernarg_segment_align: 8
    .kernarg_segment_size: 56
    .language:       OpenCL C
    .language_version:
      - 2
      - 0
    .max_flat_workgroup_size: 256
    .name:           _ZN7rocprim17ROCPRIM_400000_NS6detail17trampoline_kernelINS0_14default_configENS1_27upper_bound_config_selectorIylEEZNS1_14transform_implILb0ES3_S5_N6thrust23THRUST_200600_302600_NS17counting_iteratorIyNS8_11use_defaultESA_SA_EEPlZNS1_13binary_searchIS3_S5_PySB_SC_NS1_21upper_bound_search_opENS8_6detail16wrapped_functionINS0_4lessIvEEbEEEE10hipError_tPvRmT1_T2_T3_mmT4_T5_P12ihipStream_tbEUlRKyE_EESL_SP_SQ_mSR_SU_bEUlT_E_NS1_11comp_targetILNS1_3genE8ELNS1_11target_archE1030ELNS1_3gpuE2ELNS1_3repE0EEENS1_30default_config_static_selectorELNS0_4arch9wavefront6targetE0EEEvSO_
    .private_segment_fixed_size: 0
    .sgpr_count:     0
    .sgpr_spill_count: 0
    .symbol:         _ZN7rocprim17ROCPRIM_400000_NS6detail17trampoline_kernelINS0_14default_configENS1_27upper_bound_config_selectorIylEEZNS1_14transform_implILb0ES3_S5_N6thrust23THRUST_200600_302600_NS17counting_iteratorIyNS8_11use_defaultESA_SA_EEPlZNS1_13binary_searchIS3_S5_PySB_SC_NS1_21upper_bound_search_opENS8_6detail16wrapped_functionINS0_4lessIvEEbEEEE10hipError_tPvRmT1_T2_T3_mmT4_T5_P12ihipStream_tbEUlRKyE_EESL_SP_SQ_mSR_SU_bEUlT_E_NS1_11comp_targetILNS1_3genE8ELNS1_11target_archE1030ELNS1_3gpuE2ELNS1_3repE0EEENS1_30default_config_static_selectorELNS0_4arch9wavefront6targetE0EEEvSO_.kd
    .uniform_work_group_size: 1
    .uses_dynamic_stack: false
    .vgpr_count:     0
    .vgpr_spill_count: 0
    .wavefront_size: 32
    .workgroup_processor_mode: 1
  - .args:
      - .offset:         0
        .size:           8
        .value_kind:     by_value
      - .address_space:  global
        .offset:         8
        .size:           8
        .value_kind:     global_buffer
      - .address_space:  global
        .offset:         16
        .size:           8
        .value_kind:     global_buffer
    .group_segment_fixed_size: 0
    .kernarg_segment_align: 8
    .kernarg_segment_size: 24
    .language:       OpenCL C
    .language_version:
      - 2
      - 0
    .max_flat_workgroup_size: 256
    .name:           _Z18upper_bound_kernelIjEvmPT_Pl
    .private_segment_fixed_size: 0
    .sgpr_count:     19
    .sgpr_spill_count: 0
    .symbol:         _Z18upper_bound_kernelIjEvmPT_Pl.kd
    .uniform_work_group_size: 1
    .uses_dynamic_stack: false
    .vgpr_count:     3
    .vgpr_spill_count: 0
    .wavefront_size: 32
    .workgroup_processor_mode: 1
  - .args:
      - .offset:         0
        .size:           56
        .value_kind:     by_value
    .group_segment_fixed_size: 0
    .kernarg_segment_align: 8
    .kernarg_segment_size: 56
    .language:       OpenCL C
    .language_version:
      - 2
      - 0
    .max_flat_workgroup_size: 256
    .name:           _ZN7rocprim17ROCPRIM_400000_NS6detail17trampoline_kernelINS0_14default_configENS1_27upper_bound_config_selectorIjlEEZNS1_14transform_implILb0ES3_S5_N6thrust23THRUST_200600_302600_NS17counting_iteratorIjNS8_11use_defaultESA_SA_EEPlZNS1_13binary_searchIS3_S5_PjSB_SC_NS1_21upper_bound_search_opENS8_6detail16wrapped_functionINS0_4lessIvEEbEEEE10hipError_tPvRmT1_T2_T3_mmT4_T5_P12ihipStream_tbEUlRKjE_EESL_SP_SQ_mSR_SU_bEUlT_E_NS1_11comp_targetILNS1_3genE0ELNS1_11target_archE4294967295ELNS1_3gpuE0ELNS1_3repE0EEENS1_30default_config_static_selectorELNS0_4arch9wavefront6targetE0EEEvSO_
    .private_segment_fixed_size: 0
    .sgpr_count:     0
    .sgpr_spill_count: 0
    .symbol:         _ZN7rocprim17ROCPRIM_400000_NS6detail17trampoline_kernelINS0_14default_configENS1_27upper_bound_config_selectorIjlEEZNS1_14transform_implILb0ES3_S5_N6thrust23THRUST_200600_302600_NS17counting_iteratorIjNS8_11use_defaultESA_SA_EEPlZNS1_13binary_searchIS3_S5_PjSB_SC_NS1_21upper_bound_search_opENS8_6detail16wrapped_functionINS0_4lessIvEEbEEEE10hipError_tPvRmT1_T2_T3_mmT4_T5_P12ihipStream_tbEUlRKjE_EESL_SP_SQ_mSR_SU_bEUlT_E_NS1_11comp_targetILNS1_3genE0ELNS1_11target_archE4294967295ELNS1_3gpuE0ELNS1_3repE0EEENS1_30default_config_static_selectorELNS0_4arch9wavefront6targetE0EEEvSO_.kd
    .uniform_work_group_size: 1
    .uses_dynamic_stack: false
    .vgpr_count:     0
    .vgpr_spill_count: 0
    .wavefront_size: 32
    .workgroup_processor_mode: 1
  - .args:
      - .offset:         0
        .size:           56
        .value_kind:     by_value
    .group_segment_fixed_size: 0
    .kernarg_segment_align: 8
    .kernarg_segment_size: 56
    .language:       OpenCL C
    .language_version:
      - 2
      - 0
    .max_flat_workgroup_size: 256
    .name:           _ZN7rocprim17ROCPRIM_400000_NS6detail17trampoline_kernelINS0_14default_configENS1_27upper_bound_config_selectorIjlEEZNS1_14transform_implILb0ES3_S5_N6thrust23THRUST_200600_302600_NS17counting_iteratorIjNS8_11use_defaultESA_SA_EEPlZNS1_13binary_searchIS3_S5_PjSB_SC_NS1_21upper_bound_search_opENS8_6detail16wrapped_functionINS0_4lessIvEEbEEEE10hipError_tPvRmT1_T2_T3_mmT4_T5_P12ihipStream_tbEUlRKjE_EESL_SP_SQ_mSR_SU_bEUlT_E_NS1_11comp_targetILNS1_3genE5ELNS1_11target_archE942ELNS1_3gpuE9ELNS1_3repE0EEENS1_30default_config_static_selectorELNS0_4arch9wavefront6targetE0EEEvSO_
    .private_segment_fixed_size: 0
    .sgpr_count:     0
    .sgpr_spill_count: 0
    .symbol:         _ZN7rocprim17ROCPRIM_400000_NS6detail17trampoline_kernelINS0_14default_configENS1_27upper_bound_config_selectorIjlEEZNS1_14transform_implILb0ES3_S5_N6thrust23THRUST_200600_302600_NS17counting_iteratorIjNS8_11use_defaultESA_SA_EEPlZNS1_13binary_searchIS3_S5_PjSB_SC_NS1_21upper_bound_search_opENS8_6detail16wrapped_functionINS0_4lessIvEEbEEEE10hipError_tPvRmT1_T2_T3_mmT4_T5_P12ihipStream_tbEUlRKjE_EESL_SP_SQ_mSR_SU_bEUlT_E_NS1_11comp_targetILNS1_3genE5ELNS1_11target_archE942ELNS1_3gpuE9ELNS1_3repE0EEENS1_30default_config_static_selectorELNS0_4arch9wavefront6targetE0EEEvSO_.kd
    .uniform_work_group_size: 1
    .uses_dynamic_stack: false
    .vgpr_count:     0
    .vgpr_spill_count: 0
    .wavefront_size: 32
    .workgroup_processor_mode: 1
  - .args:
      - .offset:         0
        .size:           56
        .value_kind:     by_value
    .group_segment_fixed_size: 0
    .kernarg_segment_align: 8
    .kernarg_segment_size: 56
    .language:       OpenCL C
    .language_version:
      - 2
      - 0
    .max_flat_workgroup_size: 256
    .name:           _ZN7rocprim17ROCPRIM_400000_NS6detail17trampoline_kernelINS0_14default_configENS1_27upper_bound_config_selectorIjlEEZNS1_14transform_implILb0ES3_S5_N6thrust23THRUST_200600_302600_NS17counting_iteratorIjNS8_11use_defaultESA_SA_EEPlZNS1_13binary_searchIS3_S5_PjSB_SC_NS1_21upper_bound_search_opENS8_6detail16wrapped_functionINS0_4lessIvEEbEEEE10hipError_tPvRmT1_T2_T3_mmT4_T5_P12ihipStream_tbEUlRKjE_EESL_SP_SQ_mSR_SU_bEUlT_E_NS1_11comp_targetILNS1_3genE4ELNS1_11target_archE910ELNS1_3gpuE8ELNS1_3repE0EEENS1_30default_config_static_selectorELNS0_4arch9wavefront6targetE0EEEvSO_
    .private_segment_fixed_size: 0
    .sgpr_count:     0
    .sgpr_spill_count: 0
    .symbol:         _ZN7rocprim17ROCPRIM_400000_NS6detail17trampoline_kernelINS0_14default_configENS1_27upper_bound_config_selectorIjlEEZNS1_14transform_implILb0ES3_S5_N6thrust23THRUST_200600_302600_NS17counting_iteratorIjNS8_11use_defaultESA_SA_EEPlZNS1_13binary_searchIS3_S5_PjSB_SC_NS1_21upper_bound_search_opENS8_6detail16wrapped_functionINS0_4lessIvEEbEEEE10hipError_tPvRmT1_T2_T3_mmT4_T5_P12ihipStream_tbEUlRKjE_EESL_SP_SQ_mSR_SU_bEUlT_E_NS1_11comp_targetILNS1_3genE4ELNS1_11target_archE910ELNS1_3gpuE8ELNS1_3repE0EEENS1_30default_config_static_selectorELNS0_4arch9wavefront6targetE0EEEvSO_.kd
    .uniform_work_group_size: 1
    .uses_dynamic_stack: false
    .vgpr_count:     0
    .vgpr_spill_count: 0
    .wavefront_size: 32
    .workgroup_processor_mode: 1
  - .args:
      - .offset:         0
        .size:           56
        .value_kind:     by_value
    .group_segment_fixed_size: 0
    .kernarg_segment_align: 8
    .kernarg_segment_size: 56
    .language:       OpenCL C
    .language_version:
      - 2
      - 0
    .max_flat_workgroup_size: 256
    .name:           _ZN7rocprim17ROCPRIM_400000_NS6detail17trampoline_kernelINS0_14default_configENS1_27upper_bound_config_selectorIjlEEZNS1_14transform_implILb0ES3_S5_N6thrust23THRUST_200600_302600_NS17counting_iteratorIjNS8_11use_defaultESA_SA_EEPlZNS1_13binary_searchIS3_S5_PjSB_SC_NS1_21upper_bound_search_opENS8_6detail16wrapped_functionINS0_4lessIvEEbEEEE10hipError_tPvRmT1_T2_T3_mmT4_T5_P12ihipStream_tbEUlRKjE_EESL_SP_SQ_mSR_SU_bEUlT_E_NS1_11comp_targetILNS1_3genE3ELNS1_11target_archE908ELNS1_3gpuE7ELNS1_3repE0EEENS1_30default_config_static_selectorELNS0_4arch9wavefront6targetE0EEEvSO_
    .private_segment_fixed_size: 0
    .sgpr_count:     0
    .sgpr_spill_count: 0
    .symbol:         _ZN7rocprim17ROCPRIM_400000_NS6detail17trampoline_kernelINS0_14default_configENS1_27upper_bound_config_selectorIjlEEZNS1_14transform_implILb0ES3_S5_N6thrust23THRUST_200600_302600_NS17counting_iteratorIjNS8_11use_defaultESA_SA_EEPlZNS1_13binary_searchIS3_S5_PjSB_SC_NS1_21upper_bound_search_opENS8_6detail16wrapped_functionINS0_4lessIvEEbEEEE10hipError_tPvRmT1_T2_T3_mmT4_T5_P12ihipStream_tbEUlRKjE_EESL_SP_SQ_mSR_SU_bEUlT_E_NS1_11comp_targetILNS1_3genE3ELNS1_11target_archE908ELNS1_3gpuE7ELNS1_3repE0EEENS1_30default_config_static_selectorELNS0_4arch9wavefront6targetE0EEEvSO_.kd
    .uniform_work_group_size: 1
    .uses_dynamic_stack: false
    .vgpr_count:     0
    .vgpr_spill_count: 0
    .wavefront_size: 32
    .workgroup_processor_mode: 1
  - .args:
      - .offset:         0
        .size:           56
        .value_kind:     by_value
    .group_segment_fixed_size: 0
    .kernarg_segment_align: 8
    .kernarg_segment_size: 56
    .language:       OpenCL C
    .language_version:
      - 2
      - 0
    .max_flat_workgroup_size: 256
    .name:           _ZN7rocprim17ROCPRIM_400000_NS6detail17trampoline_kernelINS0_14default_configENS1_27upper_bound_config_selectorIjlEEZNS1_14transform_implILb0ES3_S5_N6thrust23THRUST_200600_302600_NS17counting_iteratorIjNS8_11use_defaultESA_SA_EEPlZNS1_13binary_searchIS3_S5_PjSB_SC_NS1_21upper_bound_search_opENS8_6detail16wrapped_functionINS0_4lessIvEEbEEEE10hipError_tPvRmT1_T2_T3_mmT4_T5_P12ihipStream_tbEUlRKjE_EESL_SP_SQ_mSR_SU_bEUlT_E_NS1_11comp_targetILNS1_3genE2ELNS1_11target_archE906ELNS1_3gpuE6ELNS1_3repE0EEENS1_30default_config_static_selectorELNS0_4arch9wavefront6targetE0EEEvSO_
    .private_segment_fixed_size: 0
    .sgpr_count:     0
    .sgpr_spill_count: 0
    .symbol:         _ZN7rocprim17ROCPRIM_400000_NS6detail17trampoline_kernelINS0_14default_configENS1_27upper_bound_config_selectorIjlEEZNS1_14transform_implILb0ES3_S5_N6thrust23THRUST_200600_302600_NS17counting_iteratorIjNS8_11use_defaultESA_SA_EEPlZNS1_13binary_searchIS3_S5_PjSB_SC_NS1_21upper_bound_search_opENS8_6detail16wrapped_functionINS0_4lessIvEEbEEEE10hipError_tPvRmT1_T2_T3_mmT4_T5_P12ihipStream_tbEUlRKjE_EESL_SP_SQ_mSR_SU_bEUlT_E_NS1_11comp_targetILNS1_3genE2ELNS1_11target_archE906ELNS1_3gpuE6ELNS1_3repE0EEENS1_30default_config_static_selectorELNS0_4arch9wavefront6targetE0EEEvSO_.kd
    .uniform_work_group_size: 1
    .uses_dynamic_stack: false
    .vgpr_count:     0
    .vgpr_spill_count: 0
    .wavefront_size: 32
    .workgroup_processor_mode: 1
  - .args:
      - .offset:         0
        .size:           56
        .value_kind:     by_value
    .group_segment_fixed_size: 0
    .kernarg_segment_align: 8
    .kernarg_segment_size: 56
    .language:       OpenCL C
    .language_version:
      - 2
      - 0
    .max_flat_workgroup_size: 128
    .name:           _ZN7rocprim17ROCPRIM_400000_NS6detail17trampoline_kernelINS0_14default_configENS1_27upper_bound_config_selectorIjlEEZNS1_14transform_implILb0ES3_S5_N6thrust23THRUST_200600_302600_NS17counting_iteratorIjNS8_11use_defaultESA_SA_EEPlZNS1_13binary_searchIS3_S5_PjSB_SC_NS1_21upper_bound_search_opENS8_6detail16wrapped_functionINS0_4lessIvEEbEEEE10hipError_tPvRmT1_T2_T3_mmT4_T5_P12ihipStream_tbEUlRKjE_EESL_SP_SQ_mSR_SU_bEUlT_E_NS1_11comp_targetILNS1_3genE10ELNS1_11target_archE1201ELNS1_3gpuE5ELNS1_3repE0EEENS1_30default_config_static_selectorELNS0_4arch9wavefront6targetE0EEEvSO_
    .private_segment_fixed_size: 0
    .sgpr_count:     0
    .sgpr_spill_count: 0
    .symbol:         _ZN7rocprim17ROCPRIM_400000_NS6detail17trampoline_kernelINS0_14default_configENS1_27upper_bound_config_selectorIjlEEZNS1_14transform_implILb0ES3_S5_N6thrust23THRUST_200600_302600_NS17counting_iteratorIjNS8_11use_defaultESA_SA_EEPlZNS1_13binary_searchIS3_S5_PjSB_SC_NS1_21upper_bound_search_opENS8_6detail16wrapped_functionINS0_4lessIvEEbEEEE10hipError_tPvRmT1_T2_T3_mmT4_T5_P12ihipStream_tbEUlRKjE_EESL_SP_SQ_mSR_SU_bEUlT_E_NS1_11comp_targetILNS1_3genE10ELNS1_11target_archE1201ELNS1_3gpuE5ELNS1_3repE0EEENS1_30default_config_static_selectorELNS0_4arch9wavefront6targetE0EEEvSO_.kd
    .uniform_work_group_size: 1
    .uses_dynamic_stack: false
    .vgpr_count:     0
    .vgpr_spill_count: 0
    .wavefront_size: 32
    .workgroup_processor_mode: 1
  - .args:
      - .offset:         0
        .size:           56
        .value_kind:     by_value
    .group_segment_fixed_size: 0
    .kernarg_segment_align: 8
    .kernarg_segment_size: 56
    .language:       OpenCL C
    .language_version:
      - 2
      - 0
    .max_flat_workgroup_size: 128
    .name:           _ZN7rocprim17ROCPRIM_400000_NS6detail17trampoline_kernelINS0_14default_configENS1_27upper_bound_config_selectorIjlEEZNS1_14transform_implILb0ES3_S5_N6thrust23THRUST_200600_302600_NS17counting_iteratorIjNS8_11use_defaultESA_SA_EEPlZNS1_13binary_searchIS3_S5_PjSB_SC_NS1_21upper_bound_search_opENS8_6detail16wrapped_functionINS0_4lessIvEEbEEEE10hipError_tPvRmT1_T2_T3_mmT4_T5_P12ihipStream_tbEUlRKjE_EESL_SP_SQ_mSR_SU_bEUlT_E_NS1_11comp_targetILNS1_3genE10ELNS1_11target_archE1200ELNS1_3gpuE4ELNS1_3repE0EEENS1_30default_config_static_selectorELNS0_4arch9wavefront6targetE0EEEvSO_
    .private_segment_fixed_size: 0
    .sgpr_count:     0
    .sgpr_spill_count: 0
    .symbol:         _ZN7rocprim17ROCPRIM_400000_NS6detail17trampoline_kernelINS0_14default_configENS1_27upper_bound_config_selectorIjlEEZNS1_14transform_implILb0ES3_S5_N6thrust23THRUST_200600_302600_NS17counting_iteratorIjNS8_11use_defaultESA_SA_EEPlZNS1_13binary_searchIS3_S5_PjSB_SC_NS1_21upper_bound_search_opENS8_6detail16wrapped_functionINS0_4lessIvEEbEEEE10hipError_tPvRmT1_T2_T3_mmT4_T5_P12ihipStream_tbEUlRKjE_EESL_SP_SQ_mSR_SU_bEUlT_E_NS1_11comp_targetILNS1_3genE10ELNS1_11target_archE1200ELNS1_3gpuE4ELNS1_3repE0EEENS1_30default_config_static_selectorELNS0_4arch9wavefront6targetE0EEEvSO_.kd
    .uniform_work_group_size: 1
    .uses_dynamic_stack: false
    .vgpr_count:     0
    .vgpr_spill_count: 0
    .wavefront_size: 32
    .workgroup_processor_mode: 1
  - .args:
      - .offset:         0
        .size:           56
        .value_kind:     by_value
      - .offset:         56
        .size:           4
        .value_kind:     hidden_block_count_x
      - .offset:         60
        .size:           4
        .value_kind:     hidden_block_count_y
      - .offset:         64
        .size:           4
        .value_kind:     hidden_block_count_z
      - .offset:         68
        .size:           2
        .value_kind:     hidden_group_size_x
      - .offset:         70
        .size:           2
        .value_kind:     hidden_group_size_y
      - .offset:         72
        .size:           2
        .value_kind:     hidden_group_size_z
      - .offset:         74
        .size:           2
        .value_kind:     hidden_remainder_x
      - .offset:         76
        .size:           2
        .value_kind:     hidden_remainder_y
      - .offset:         78
        .size:           2
        .value_kind:     hidden_remainder_z
      - .offset:         96
        .size:           8
        .value_kind:     hidden_global_offset_x
      - .offset:         104
        .size:           8
        .value_kind:     hidden_global_offset_y
      - .offset:         112
        .size:           8
        .value_kind:     hidden_global_offset_z
      - .offset:         120
        .size:           2
        .value_kind:     hidden_grid_dims
    .group_segment_fixed_size: 0
    .kernarg_segment_align: 8
    .kernarg_segment_size: 312
    .language:       OpenCL C
    .language_version:
      - 2
      - 0
    .max_flat_workgroup_size: 256
    .name:           _ZN7rocprim17ROCPRIM_400000_NS6detail17trampoline_kernelINS0_14default_configENS1_27upper_bound_config_selectorIjlEEZNS1_14transform_implILb0ES3_S5_N6thrust23THRUST_200600_302600_NS17counting_iteratorIjNS8_11use_defaultESA_SA_EEPlZNS1_13binary_searchIS3_S5_PjSB_SC_NS1_21upper_bound_search_opENS8_6detail16wrapped_functionINS0_4lessIvEEbEEEE10hipError_tPvRmT1_T2_T3_mmT4_T5_P12ihipStream_tbEUlRKjE_EESL_SP_SQ_mSR_SU_bEUlT_E_NS1_11comp_targetILNS1_3genE9ELNS1_11target_archE1100ELNS1_3gpuE3ELNS1_3repE0EEENS1_30default_config_static_selectorELNS0_4arch9wavefront6targetE0EEEvSO_
    .private_segment_fixed_size: 0
    .sgpr_count:     18
    .sgpr_spill_count: 0
    .symbol:         _ZN7rocprim17ROCPRIM_400000_NS6detail17trampoline_kernelINS0_14default_configENS1_27upper_bound_config_selectorIjlEEZNS1_14transform_implILb0ES3_S5_N6thrust23THRUST_200600_302600_NS17counting_iteratorIjNS8_11use_defaultESA_SA_EEPlZNS1_13binary_searchIS3_S5_PjSB_SC_NS1_21upper_bound_search_opENS8_6detail16wrapped_functionINS0_4lessIvEEbEEEE10hipError_tPvRmT1_T2_T3_mmT4_T5_P12ihipStream_tbEUlRKjE_EESL_SP_SQ_mSR_SU_bEUlT_E_NS1_11comp_targetILNS1_3genE9ELNS1_11target_archE1100ELNS1_3gpuE3ELNS1_3repE0EEENS1_30default_config_static_selectorELNS0_4arch9wavefront6targetE0EEEvSO_.kd
    .uniform_work_group_size: 1
    .uses_dynamic_stack: false
    .vgpr_count:     11
    .vgpr_spill_count: 0
    .wavefront_size: 32
    .workgroup_processor_mode: 1
  - .args:
      - .offset:         0
        .size:           56
        .value_kind:     by_value
    .group_segment_fixed_size: 0
    .kernarg_segment_align: 8
    .kernarg_segment_size: 56
    .language:       OpenCL C
    .language_version:
      - 2
      - 0
    .max_flat_workgroup_size: 256
    .name:           _ZN7rocprim17ROCPRIM_400000_NS6detail17trampoline_kernelINS0_14default_configENS1_27upper_bound_config_selectorIjlEEZNS1_14transform_implILb0ES3_S5_N6thrust23THRUST_200600_302600_NS17counting_iteratorIjNS8_11use_defaultESA_SA_EEPlZNS1_13binary_searchIS3_S5_PjSB_SC_NS1_21upper_bound_search_opENS8_6detail16wrapped_functionINS0_4lessIvEEbEEEE10hipError_tPvRmT1_T2_T3_mmT4_T5_P12ihipStream_tbEUlRKjE_EESL_SP_SQ_mSR_SU_bEUlT_E_NS1_11comp_targetILNS1_3genE8ELNS1_11target_archE1030ELNS1_3gpuE2ELNS1_3repE0EEENS1_30default_config_static_selectorELNS0_4arch9wavefront6targetE0EEEvSO_
    .private_segment_fixed_size: 0
    .sgpr_count:     0
    .sgpr_spill_count: 0
    .symbol:         _ZN7rocprim17ROCPRIM_400000_NS6detail17trampoline_kernelINS0_14default_configENS1_27upper_bound_config_selectorIjlEEZNS1_14transform_implILb0ES3_S5_N6thrust23THRUST_200600_302600_NS17counting_iteratorIjNS8_11use_defaultESA_SA_EEPlZNS1_13binary_searchIS3_S5_PjSB_SC_NS1_21upper_bound_search_opENS8_6detail16wrapped_functionINS0_4lessIvEEbEEEE10hipError_tPvRmT1_T2_T3_mmT4_T5_P12ihipStream_tbEUlRKjE_EESL_SP_SQ_mSR_SU_bEUlT_E_NS1_11comp_targetILNS1_3genE8ELNS1_11target_archE1030ELNS1_3gpuE2ELNS1_3repE0EEENS1_30default_config_static_selectorELNS0_4arch9wavefront6targetE0EEEvSO_.kd
    .uniform_work_group_size: 1
    .uses_dynamic_stack: false
    .vgpr_count:     0
    .vgpr_spill_count: 0
    .wavefront_size: 32
    .workgroup_processor_mode: 1
  - .args:
      - .offset:         0
        .size:           8
        .value_kind:     by_value
      - .address_space:  global
        .offset:         8
        .size:           8
        .value_kind:     global_buffer
      - .address_space:  global
        .offset:         16
        .size:           8
        .value_kind:     global_buffer
    .group_segment_fixed_size: 0
    .kernarg_segment_align: 8
    .kernarg_segment_size: 24
    .language:       OpenCL C
    .language_version:
      - 2
      - 0
    .max_flat_workgroup_size: 256
    .name:           _Z18upper_bound_kernelItEvmPT_Pl
    .private_segment_fixed_size: 0
    .sgpr_count:     19
    .sgpr_spill_count: 0
    .symbol:         _Z18upper_bound_kernelItEvmPT_Pl.kd
    .uniform_work_group_size: 1
    .uses_dynamic_stack: false
    .vgpr_count:     3
    .vgpr_spill_count: 0
    .wavefront_size: 32
    .workgroup_processor_mode: 1
  - .args:
      - .offset:         0
        .size:           56
        .value_kind:     by_value
    .group_segment_fixed_size: 0
    .kernarg_segment_align: 8
    .kernarg_segment_size: 56
    .language:       OpenCL C
    .language_version:
      - 2
      - 0
    .max_flat_workgroup_size: 128
    .name:           _ZN7rocprim17ROCPRIM_400000_NS6detail17trampoline_kernelINS0_14default_configENS1_27upper_bound_config_selectorItlEEZNS1_14transform_implILb0ES3_S5_N6thrust23THRUST_200600_302600_NS17counting_iteratorItNS8_11use_defaultESA_SA_EEPlZNS1_13binary_searchIS3_S5_PtSB_SC_NS1_21upper_bound_search_opENS8_6detail16wrapped_functionINS0_4lessIvEEbEEEE10hipError_tPvRmT1_T2_T3_mmT4_T5_P12ihipStream_tbEUlRKtE_EESL_SP_SQ_mSR_SU_bEUlT_E_NS1_11comp_targetILNS1_3genE0ELNS1_11target_archE4294967295ELNS1_3gpuE0ELNS1_3repE0EEENS1_30default_config_static_selectorELNS0_4arch9wavefront6targetE0EEEvSO_
    .private_segment_fixed_size: 0
    .sgpr_count:     0
    .sgpr_spill_count: 0
    .symbol:         _ZN7rocprim17ROCPRIM_400000_NS6detail17trampoline_kernelINS0_14default_configENS1_27upper_bound_config_selectorItlEEZNS1_14transform_implILb0ES3_S5_N6thrust23THRUST_200600_302600_NS17counting_iteratorItNS8_11use_defaultESA_SA_EEPlZNS1_13binary_searchIS3_S5_PtSB_SC_NS1_21upper_bound_search_opENS8_6detail16wrapped_functionINS0_4lessIvEEbEEEE10hipError_tPvRmT1_T2_T3_mmT4_T5_P12ihipStream_tbEUlRKtE_EESL_SP_SQ_mSR_SU_bEUlT_E_NS1_11comp_targetILNS1_3genE0ELNS1_11target_archE4294967295ELNS1_3gpuE0ELNS1_3repE0EEENS1_30default_config_static_selectorELNS0_4arch9wavefront6targetE0EEEvSO_.kd
    .uniform_work_group_size: 1
    .uses_dynamic_stack: false
    .vgpr_count:     0
    .vgpr_spill_count: 0
    .wavefront_size: 32
    .workgroup_processor_mode: 1
  - .args:
      - .offset:         0
        .size:           56
        .value_kind:     by_value
    .group_segment_fixed_size: 0
    .kernarg_segment_align: 8
    .kernarg_segment_size: 56
    .language:       OpenCL C
    .language_version:
      - 2
      - 0
    .max_flat_workgroup_size: 256
    .name:           _ZN7rocprim17ROCPRIM_400000_NS6detail17trampoline_kernelINS0_14default_configENS1_27upper_bound_config_selectorItlEEZNS1_14transform_implILb0ES3_S5_N6thrust23THRUST_200600_302600_NS17counting_iteratorItNS8_11use_defaultESA_SA_EEPlZNS1_13binary_searchIS3_S5_PtSB_SC_NS1_21upper_bound_search_opENS8_6detail16wrapped_functionINS0_4lessIvEEbEEEE10hipError_tPvRmT1_T2_T3_mmT4_T5_P12ihipStream_tbEUlRKtE_EESL_SP_SQ_mSR_SU_bEUlT_E_NS1_11comp_targetILNS1_3genE5ELNS1_11target_archE942ELNS1_3gpuE9ELNS1_3repE0EEENS1_30default_config_static_selectorELNS0_4arch9wavefront6targetE0EEEvSO_
    .private_segment_fixed_size: 0
    .sgpr_count:     0
    .sgpr_spill_count: 0
    .symbol:         _ZN7rocprim17ROCPRIM_400000_NS6detail17trampoline_kernelINS0_14default_configENS1_27upper_bound_config_selectorItlEEZNS1_14transform_implILb0ES3_S5_N6thrust23THRUST_200600_302600_NS17counting_iteratorItNS8_11use_defaultESA_SA_EEPlZNS1_13binary_searchIS3_S5_PtSB_SC_NS1_21upper_bound_search_opENS8_6detail16wrapped_functionINS0_4lessIvEEbEEEE10hipError_tPvRmT1_T2_T3_mmT4_T5_P12ihipStream_tbEUlRKtE_EESL_SP_SQ_mSR_SU_bEUlT_E_NS1_11comp_targetILNS1_3genE5ELNS1_11target_archE942ELNS1_3gpuE9ELNS1_3repE0EEENS1_30default_config_static_selectorELNS0_4arch9wavefront6targetE0EEEvSO_.kd
    .uniform_work_group_size: 1
    .uses_dynamic_stack: false
    .vgpr_count:     0
    .vgpr_spill_count: 0
    .wavefront_size: 32
    .workgroup_processor_mode: 1
  - .args:
      - .offset:         0
        .size:           56
        .value_kind:     by_value
    .group_segment_fixed_size: 0
    .kernarg_segment_align: 8
    .kernarg_segment_size: 56
    .language:       OpenCL C
    .language_version:
      - 2
      - 0
    .max_flat_workgroup_size: 256
    .name:           _ZN7rocprim17ROCPRIM_400000_NS6detail17trampoline_kernelINS0_14default_configENS1_27upper_bound_config_selectorItlEEZNS1_14transform_implILb0ES3_S5_N6thrust23THRUST_200600_302600_NS17counting_iteratorItNS8_11use_defaultESA_SA_EEPlZNS1_13binary_searchIS3_S5_PtSB_SC_NS1_21upper_bound_search_opENS8_6detail16wrapped_functionINS0_4lessIvEEbEEEE10hipError_tPvRmT1_T2_T3_mmT4_T5_P12ihipStream_tbEUlRKtE_EESL_SP_SQ_mSR_SU_bEUlT_E_NS1_11comp_targetILNS1_3genE4ELNS1_11target_archE910ELNS1_3gpuE8ELNS1_3repE0EEENS1_30default_config_static_selectorELNS0_4arch9wavefront6targetE0EEEvSO_
    .private_segment_fixed_size: 0
    .sgpr_count:     0
    .sgpr_spill_count: 0
    .symbol:         _ZN7rocprim17ROCPRIM_400000_NS6detail17trampoline_kernelINS0_14default_configENS1_27upper_bound_config_selectorItlEEZNS1_14transform_implILb0ES3_S5_N6thrust23THRUST_200600_302600_NS17counting_iteratorItNS8_11use_defaultESA_SA_EEPlZNS1_13binary_searchIS3_S5_PtSB_SC_NS1_21upper_bound_search_opENS8_6detail16wrapped_functionINS0_4lessIvEEbEEEE10hipError_tPvRmT1_T2_T3_mmT4_T5_P12ihipStream_tbEUlRKtE_EESL_SP_SQ_mSR_SU_bEUlT_E_NS1_11comp_targetILNS1_3genE4ELNS1_11target_archE910ELNS1_3gpuE8ELNS1_3repE0EEENS1_30default_config_static_selectorELNS0_4arch9wavefront6targetE0EEEvSO_.kd
    .uniform_work_group_size: 1
    .uses_dynamic_stack: false
    .vgpr_count:     0
    .vgpr_spill_count: 0
    .wavefront_size: 32
    .workgroup_processor_mode: 1
  - .args:
      - .offset:         0
        .size:           56
        .value_kind:     by_value
    .group_segment_fixed_size: 0
    .kernarg_segment_align: 8
    .kernarg_segment_size: 56
    .language:       OpenCL C
    .language_version:
      - 2
      - 0
    .max_flat_workgroup_size: 128
    .name:           _ZN7rocprim17ROCPRIM_400000_NS6detail17trampoline_kernelINS0_14default_configENS1_27upper_bound_config_selectorItlEEZNS1_14transform_implILb0ES3_S5_N6thrust23THRUST_200600_302600_NS17counting_iteratorItNS8_11use_defaultESA_SA_EEPlZNS1_13binary_searchIS3_S5_PtSB_SC_NS1_21upper_bound_search_opENS8_6detail16wrapped_functionINS0_4lessIvEEbEEEE10hipError_tPvRmT1_T2_T3_mmT4_T5_P12ihipStream_tbEUlRKtE_EESL_SP_SQ_mSR_SU_bEUlT_E_NS1_11comp_targetILNS1_3genE3ELNS1_11target_archE908ELNS1_3gpuE7ELNS1_3repE0EEENS1_30default_config_static_selectorELNS0_4arch9wavefront6targetE0EEEvSO_
    .private_segment_fixed_size: 0
    .sgpr_count:     0
    .sgpr_spill_count: 0
    .symbol:         _ZN7rocprim17ROCPRIM_400000_NS6detail17trampoline_kernelINS0_14default_configENS1_27upper_bound_config_selectorItlEEZNS1_14transform_implILb0ES3_S5_N6thrust23THRUST_200600_302600_NS17counting_iteratorItNS8_11use_defaultESA_SA_EEPlZNS1_13binary_searchIS3_S5_PtSB_SC_NS1_21upper_bound_search_opENS8_6detail16wrapped_functionINS0_4lessIvEEbEEEE10hipError_tPvRmT1_T2_T3_mmT4_T5_P12ihipStream_tbEUlRKtE_EESL_SP_SQ_mSR_SU_bEUlT_E_NS1_11comp_targetILNS1_3genE3ELNS1_11target_archE908ELNS1_3gpuE7ELNS1_3repE0EEENS1_30default_config_static_selectorELNS0_4arch9wavefront6targetE0EEEvSO_.kd
    .uniform_work_group_size: 1
    .uses_dynamic_stack: false
    .vgpr_count:     0
    .vgpr_spill_count: 0
    .wavefront_size: 32
    .workgroup_processor_mode: 1
  - .args:
      - .offset:         0
        .size:           56
        .value_kind:     by_value
    .group_segment_fixed_size: 0
    .kernarg_segment_align: 8
    .kernarg_segment_size: 56
    .language:       OpenCL C
    .language_version:
      - 2
      - 0
    .max_flat_workgroup_size: 256
    .name:           _ZN7rocprim17ROCPRIM_400000_NS6detail17trampoline_kernelINS0_14default_configENS1_27upper_bound_config_selectorItlEEZNS1_14transform_implILb0ES3_S5_N6thrust23THRUST_200600_302600_NS17counting_iteratorItNS8_11use_defaultESA_SA_EEPlZNS1_13binary_searchIS3_S5_PtSB_SC_NS1_21upper_bound_search_opENS8_6detail16wrapped_functionINS0_4lessIvEEbEEEE10hipError_tPvRmT1_T2_T3_mmT4_T5_P12ihipStream_tbEUlRKtE_EESL_SP_SQ_mSR_SU_bEUlT_E_NS1_11comp_targetILNS1_3genE2ELNS1_11target_archE906ELNS1_3gpuE6ELNS1_3repE0EEENS1_30default_config_static_selectorELNS0_4arch9wavefront6targetE0EEEvSO_
    .private_segment_fixed_size: 0
    .sgpr_count:     0
    .sgpr_spill_count: 0
    .symbol:         _ZN7rocprim17ROCPRIM_400000_NS6detail17trampoline_kernelINS0_14default_configENS1_27upper_bound_config_selectorItlEEZNS1_14transform_implILb0ES3_S5_N6thrust23THRUST_200600_302600_NS17counting_iteratorItNS8_11use_defaultESA_SA_EEPlZNS1_13binary_searchIS3_S5_PtSB_SC_NS1_21upper_bound_search_opENS8_6detail16wrapped_functionINS0_4lessIvEEbEEEE10hipError_tPvRmT1_T2_T3_mmT4_T5_P12ihipStream_tbEUlRKtE_EESL_SP_SQ_mSR_SU_bEUlT_E_NS1_11comp_targetILNS1_3genE2ELNS1_11target_archE906ELNS1_3gpuE6ELNS1_3repE0EEENS1_30default_config_static_selectorELNS0_4arch9wavefront6targetE0EEEvSO_.kd
    .uniform_work_group_size: 1
    .uses_dynamic_stack: false
    .vgpr_count:     0
    .vgpr_spill_count: 0
    .wavefront_size: 32
    .workgroup_processor_mode: 1
  - .args:
      - .offset:         0
        .size:           56
        .value_kind:     by_value
    .group_segment_fixed_size: 0
    .kernarg_segment_align: 8
    .kernarg_segment_size: 56
    .language:       OpenCL C
    .language_version:
      - 2
      - 0
    .max_flat_workgroup_size: 256
    .name:           _ZN7rocprim17ROCPRIM_400000_NS6detail17trampoline_kernelINS0_14default_configENS1_27upper_bound_config_selectorItlEEZNS1_14transform_implILb0ES3_S5_N6thrust23THRUST_200600_302600_NS17counting_iteratorItNS8_11use_defaultESA_SA_EEPlZNS1_13binary_searchIS3_S5_PtSB_SC_NS1_21upper_bound_search_opENS8_6detail16wrapped_functionINS0_4lessIvEEbEEEE10hipError_tPvRmT1_T2_T3_mmT4_T5_P12ihipStream_tbEUlRKtE_EESL_SP_SQ_mSR_SU_bEUlT_E_NS1_11comp_targetILNS1_3genE10ELNS1_11target_archE1201ELNS1_3gpuE5ELNS1_3repE0EEENS1_30default_config_static_selectorELNS0_4arch9wavefront6targetE0EEEvSO_
    .private_segment_fixed_size: 0
    .sgpr_count:     0
    .sgpr_spill_count: 0
    .symbol:         _ZN7rocprim17ROCPRIM_400000_NS6detail17trampoline_kernelINS0_14default_configENS1_27upper_bound_config_selectorItlEEZNS1_14transform_implILb0ES3_S5_N6thrust23THRUST_200600_302600_NS17counting_iteratorItNS8_11use_defaultESA_SA_EEPlZNS1_13binary_searchIS3_S5_PtSB_SC_NS1_21upper_bound_search_opENS8_6detail16wrapped_functionINS0_4lessIvEEbEEEE10hipError_tPvRmT1_T2_T3_mmT4_T5_P12ihipStream_tbEUlRKtE_EESL_SP_SQ_mSR_SU_bEUlT_E_NS1_11comp_targetILNS1_3genE10ELNS1_11target_archE1201ELNS1_3gpuE5ELNS1_3repE0EEENS1_30default_config_static_selectorELNS0_4arch9wavefront6targetE0EEEvSO_.kd
    .uniform_work_group_size: 1
    .uses_dynamic_stack: false
    .vgpr_count:     0
    .vgpr_spill_count: 0
    .wavefront_size: 32
    .workgroup_processor_mode: 1
  - .args:
      - .offset:         0
        .size:           56
        .value_kind:     by_value
    .group_segment_fixed_size: 0
    .kernarg_segment_align: 8
    .kernarg_segment_size: 56
    .language:       OpenCL C
    .language_version:
      - 2
      - 0
    .max_flat_workgroup_size: 256
    .name:           _ZN7rocprim17ROCPRIM_400000_NS6detail17trampoline_kernelINS0_14default_configENS1_27upper_bound_config_selectorItlEEZNS1_14transform_implILb0ES3_S5_N6thrust23THRUST_200600_302600_NS17counting_iteratorItNS8_11use_defaultESA_SA_EEPlZNS1_13binary_searchIS3_S5_PtSB_SC_NS1_21upper_bound_search_opENS8_6detail16wrapped_functionINS0_4lessIvEEbEEEE10hipError_tPvRmT1_T2_T3_mmT4_T5_P12ihipStream_tbEUlRKtE_EESL_SP_SQ_mSR_SU_bEUlT_E_NS1_11comp_targetILNS1_3genE10ELNS1_11target_archE1200ELNS1_3gpuE4ELNS1_3repE0EEENS1_30default_config_static_selectorELNS0_4arch9wavefront6targetE0EEEvSO_
    .private_segment_fixed_size: 0
    .sgpr_count:     0
    .sgpr_spill_count: 0
    .symbol:         _ZN7rocprim17ROCPRIM_400000_NS6detail17trampoline_kernelINS0_14default_configENS1_27upper_bound_config_selectorItlEEZNS1_14transform_implILb0ES3_S5_N6thrust23THRUST_200600_302600_NS17counting_iteratorItNS8_11use_defaultESA_SA_EEPlZNS1_13binary_searchIS3_S5_PtSB_SC_NS1_21upper_bound_search_opENS8_6detail16wrapped_functionINS0_4lessIvEEbEEEE10hipError_tPvRmT1_T2_T3_mmT4_T5_P12ihipStream_tbEUlRKtE_EESL_SP_SQ_mSR_SU_bEUlT_E_NS1_11comp_targetILNS1_3genE10ELNS1_11target_archE1200ELNS1_3gpuE4ELNS1_3repE0EEENS1_30default_config_static_selectorELNS0_4arch9wavefront6targetE0EEEvSO_.kd
    .uniform_work_group_size: 1
    .uses_dynamic_stack: false
    .vgpr_count:     0
    .vgpr_spill_count: 0
    .wavefront_size: 32
    .workgroup_processor_mode: 1
  - .args:
      - .offset:         0
        .size:           56
        .value_kind:     by_value
      - .offset:         56
        .size:           4
        .value_kind:     hidden_block_count_x
      - .offset:         60
        .size:           4
        .value_kind:     hidden_block_count_y
      - .offset:         64
        .size:           4
        .value_kind:     hidden_block_count_z
      - .offset:         68
        .size:           2
        .value_kind:     hidden_group_size_x
      - .offset:         70
        .size:           2
        .value_kind:     hidden_group_size_y
      - .offset:         72
        .size:           2
        .value_kind:     hidden_group_size_z
      - .offset:         74
        .size:           2
        .value_kind:     hidden_remainder_x
      - .offset:         76
        .size:           2
        .value_kind:     hidden_remainder_y
      - .offset:         78
        .size:           2
        .value_kind:     hidden_remainder_z
      - .offset:         96
        .size:           8
        .value_kind:     hidden_global_offset_x
      - .offset:         104
        .size:           8
        .value_kind:     hidden_global_offset_y
      - .offset:         112
        .size:           8
        .value_kind:     hidden_global_offset_z
      - .offset:         120
        .size:           2
        .value_kind:     hidden_grid_dims
    .group_segment_fixed_size: 0
    .kernarg_segment_align: 8
    .kernarg_segment_size: 312
    .language:       OpenCL C
    .language_version:
      - 2
      - 0
    .max_flat_workgroup_size: 64
    .name:           _ZN7rocprim17ROCPRIM_400000_NS6detail17trampoline_kernelINS0_14default_configENS1_27upper_bound_config_selectorItlEEZNS1_14transform_implILb0ES3_S5_N6thrust23THRUST_200600_302600_NS17counting_iteratorItNS8_11use_defaultESA_SA_EEPlZNS1_13binary_searchIS3_S5_PtSB_SC_NS1_21upper_bound_search_opENS8_6detail16wrapped_functionINS0_4lessIvEEbEEEE10hipError_tPvRmT1_T2_T3_mmT4_T5_P12ihipStream_tbEUlRKtE_EESL_SP_SQ_mSR_SU_bEUlT_E_NS1_11comp_targetILNS1_3genE9ELNS1_11target_archE1100ELNS1_3gpuE3ELNS1_3repE0EEENS1_30default_config_static_selectorELNS0_4arch9wavefront6targetE0EEEvSO_
    .private_segment_fixed_size: 0
    .sgpr_count:     29
    .sgpr_spill_count: 0
    .symbol:         _ZN7rocprim17ROCPRIM_400000_NS6detail17trampoline_kernelINS0_14default_configENS1_27upper_bound_config_selectorItlEEZNS1_14transform_implILb0ES3_S5_N6thrust23THRUST_200600_302600_NS17counting_iteratorItNS8_11use_defaultESA_SA_EEPlZNS1_13binary_searchIS3_S5_PtSB_SC_NS1_21upper_bound_search_opENS8_6detail16wrapped_functionINS0_4lessIvEEbEEEE10hipError_tPvRmT1_T2_T3_mmT4_T5_P12ihipStream_tbEUlRKtE_EESL_SP_SQ_mSR_SU_bEUlT_E_NS1_11comp_targetILNS1_3genE9ELNS1_11target_archE1100ELNS1_3gpuE3ELNS1_3repE0EEENS1_30default_config_static_selectorELNS0_4arch9wavefront6targetE0EEEvSO_.kd
    .uniform_work_group_size: 1
    .uses_dynamic_stack: false
    .vgpr_count:     41
    .vgpr_spill_count: 0
    .wavefront_size: 32
    .workgroup_processor_mode: 1
  - .args:
      - .offset:         0
        .size:           56
        .value_kind:     by_value
    .group_segment_fixed_size: 0
    .kernarg_segment_align: 8
    .kernarg_segment_size: 56
    .language:       OpenCL C
    .language_version:
      - 2
      - 0
    .max_flat_workgroup_size: 128
    .name:           _ZN7rocprim17ROCPRIM_400000_NS6detail17trampoline_kernelINS0_14default_configENS1_27upper_bound_config_selectorItlEEZNS1_14transform_implILb0ES3_S5_N6thrust23THRUST_200600_302600_NS17counting_iteratorItNS8_11use_defaultESA_SA_EEPlZNS1_13binary_searchIS3_S5_PtSB_SC_NS1_21upper_bound_search_opENS8_6detail16wrapped_functionINS0_4lessIvEEbEEEE10hipError_tPvRmT1_T2_T3_mmT4_T5_P12ihipStream_tbEUlRKtE_EESL_SP_SQ_mSR_SU_bEUlT_E_NS1_11comp_targetILNS1_3genE8ELNS1_11target_archE1030ELNS1_3gpuE2ELNS1_3repE0EEENS1_30default_config_static_selectorELNS0_4arch9wavefront6targetE0EEEvSO_
    .private_segment_fixed_size: 0
    .sgpr_count:     0
    .sgpr_spill_count: 0
    .symbol:         _ZN7rocprim17ROCPRIM_400000_NS6detail17trampoline_kernelINS0_14default_configENS1_27upper_bound_config_selectorItlEEZNS1_14transform_implILb0ES3_S5_N6thrust23THRUST_200600_302600_NS17counting_iteratorItNS8_11use_defaultESA_SA_EEPlZNS1_13binary_searchIS3_S5_PtSB_SC_NS1_21upper_bound_search_opENS8_6detail16wrapped_functionINS0_4lessIvEEbEEEE10hipError_tPvRmT1_T2_T3_mmT4_T5_P12ihipStream_tbEUlRKtE_EESL_SP_SQ_mSR_SU_bEUlT_E_NS1_11comp_targetILNS1_3genE8ELNS1_11target_archE1030ELNS1_3gpuE2ELNS1_3repE0EEENS1_30default_config_static_selectorELNS0_4arch9wavefront6targetE0EEEvSO_.kd
    .uniform_work_group_size: 1
    .uses_dynamic_stack: false
    .vgpr_count:     0
    .vgpr_spill_count: 0
    .wavefront_size: 32
    .workgroup_processor_mode: 1
  - .args:
      - .offset:         0
        .size:           8
        .value_kind:     by_value
      - .address_space:  global
        .offset:         8
        .size:           8
        .value_kind:     global_buffer
      - .address_space:  global
        .offset:         16
        .size:           8
        .value_kind:     global_buffer
    .group_segment_fixed_size: 0
    .kernarg_segment_align: 8
    .kernarg_segment_size: 24
    .language:       OpenCL C
    .language_version:
      - 2
      - 0
    .max_flat_workgroup_size: 256
    .name:           _Z18upper_bound_kernelIxEvmPT_Pl
    .private_segment_fixed_size: 0
    .sgpr_count:     19
    .sgpr_spill_count: 0
    .symbol:         _Z18upper_bound_kernelIxEvmPT_Pl.kd
    .uniform_work_group_size: 1
    .uses_dynamic_stack: false
    .vgpr_count:     3
    .vgpr_spill_count: 0
    .wavefront_size: 32
    .workgroup_processor_mode: 1
  - .args:
      - .offset:         0
        .size:           56
        .value_kind:     by_value
    .group_segment_fixed_size: 0
    .kernarg_segment_align: 8
    .kernarg_segment_size: 56
    .language:       OpenCL C
    .language_version:
      - 2
      - 0
    .max_flat_workgroup_size: 128
    .name:           _ZN7rocprim17ROCPRIM_400000_NS6detail17trampoline_kernelINS0_14default_configENS1_27upper_bound_config_selectorIxlEEZNS1_14transform_implILb0ES3_S5_N6thrust23THRUST_200600_302600_NS17counting_iteratorIxNS8_11use_defaultESA_SA_EEPlZNS1_13binary_searchIS3_S5_PxSB_SC_NS1_21upper_bound_search_opENS8_6detail16wrapped_functionINS0_4lessIvEEbEEEE10hipError_tPvRmT1_T2_T3_mmT4_T5_P12ihipStream_tbEUlRKxE_EESL_SP_SQ_mSR_SU_bEUlT_E_NS1_11comp_targetILNS1_3genE0ELNS1_11target_archE4294967295ELNS1_3gpuE0ELNS1_3repE0EEENS1_30default_config_static_selectorELNS0_4arch9wavefront6targetE0EEEvSO_
    .private_segment_fixed_size: 0
    .sgpr_count:     0
    .sgpr_spill_count: 0
    .symbol:         _ZN7rocprim17ROCPRIM_400000_NS6detail17trampoline_kernelINS0_14default_configENS1_27upper_bound_config_selectorIxlEEZNS1_14transform_implILb0ES3_S5_N6thrust23THRUST_200600_302600_NS17counting_iteratorIxNS8_11use_defaultESA_SA_EEPlZNS1_13binary_searchIS3_S5_PxSB_SC_NS1_21upper_bound_search_opENS8_6detail16wrapped_functionINS0_4lessIvEEbEEEE10hipError_tPvRmT1_T2_T3_mmT4_T5_P12ihipStream_tbEUlRKxE_EESL_SP_SQ_mSR_SU_bEUlT_E_NS1_11comp_targetILNS1_3genE0ELNS1_11target_archE4294967295ELNS1_3gpuE0ELNS1_3repE0EEENS1_30default_config_static_selectorELNS0_4arch9wavefront6targetE0EEEvSO_.kd
    .uniform_work_group_size: 1
    .uses_dynamic_stack: false
    .vgpr_count:     0
    .vgpr_spill_count: 0
    .wavefront_size: 32
    .workgroup_processor_mode: 1
  - .args:
      - .offset:         0
        .size:           56
        .value_kind:     by_value
    .group_segment_fixed_size: 0
    .kernarg_segment_align: 8
    .kernarg_segment_size: 56
    .language:       OpenCL C
    .language_version:
      - 2
      - 0
    .max_flat_workgroup_size: 64
    .name:           _ZN7rocprim17ROCPRIM_400000_NS6detail17trampoline_kernelINS0_14default_configENS1_27upper_bound_config_selectorIxlEEZNS1_14transform_implILb0ES3_S5_N6thrust23THRUST_200600_302600_NS17counting_iteratorIxNS8_11use_defaultESA_SA_EEPlZNS1_13binary_searchIS3_S5_PxSB_SC_NS1_21upper_bound_search_opENS8_6detail16wrapped_functionINS0_4lessIvEEbEEEE10hipError_tPvRmT1_T2_T3_mmT4_T5_P12ihipStream_tbEUlRKxE_EESL_SP_SQ_mSR_SU_bEUlT_E_NS1_11comp_targetILNS1_3genE5ELNS1_11target_archE942ELNS1_3gpuE9ELNS1_3repE0EEENS1_30default_config_static_selectorELNS0_4arch9wavefront6targetE0EEEvSO_
    .private_segment_fixed_size: 0
    .sgpr_count:     0
    .sgpr_spill_count: 0
    .symbol:         _ZN7rocprim17ROCPRIM_400000_NS6detail17trampoline_kernelINS0_14default_configENS1_27upper_bound_config_selectorIxlEEZNS1_14transform_implILb0ES3_S5_N6thrust23THRUST_200600_302600_NS17counting_iteratorIxNS8_11use_defaultESA_SA_EEPlZNS1_13binary_searchIS3_S5_PxSB_SC_NS1_21upper_bound_search_opENS8_6detail16wrapped_functionINS0_4lessIvEEbEEEE10hipError_tPvRmT1_T2_T3_mmT4_T5_P12ihipStream_tbEUlRKxE_EESL_SP_SQ_mSR_SU_bEUlT_E_NS1_11comp_targetILNS1_3genE5ELNS1_11target_archE942ELNS1_3gpuE9ELNS1_3repE0EEENS1_30default_config_static_selectorELNS0_4arch9wavefront6targetE0EEEvSO_.kd
    .uniform_work_group_size: 1
    .uses_dynamic_stack: false
    .vgpr_count:     0
    .vgpr_spill_count: 0
    .wavefront_size: 32
    .workgroup_processor_mode: 1
  - .args:
      - .offset:         0
        .size:           56
        .value_kind:     by_value
    .group_segment_fixed_size: 0
    .kernarg_segment_align: 8
    .kernarg_segment_size: 56
    .language:       OpenCL C
    .language_version:
      - 2
      - 0
    .max_flat_workgroup_size: 64
    .name:           _ZN7rocprim17ROCPRIM_400000_NS6detail17trampoline_kernelINS0_14default_configENS1_27upper_bound_config_selectorIxlEEZNS1_14transform_implILb0ES3_S5_N6thrust23THRUST_200600_302600_NS17counting_iteratorIxNS8_11use_defaultESA_SA_EEPlZNS1_13binary_searchIS3_S5_PxSB_SC_NS1_21upper_bound_search_opENS8_6detail16wrapped_functionINS0_4lessIvEEbEEEE10hipError_tPvRmT1_T2_T3_mmT4_T5_P12ihipStream_tbEUlRKxE_EESL_SP_SQ_mSR_SU_bEUlT_E_NS1_11comp_targetILNS1_3genE4ELNS1_11target_archE910ELNS1_3gpuE8ELNS1_3repE0EEENS1_30default_config_static_selectorELNS0_4arch9wavefront6targetE0EEEvSO_
    .private_segment_fixed_size: 0
    .sgpr_count:     0
    .sgpr_spill_count: 0
    .symbol:         _ZN7rocprim17ROCPRIM_400000_NS6detail17trampoline_kernelINS0_14default_configENS1_27upper_bound_config_selectorIxlEEZNS1_14transform_implILb0ES3_S5_N6thrust23THRUST_200600_302600_NS17counting_iteratorIxNS8_11use_defaultESA_SA_EEPlZNS1_13binary_searchIS3_S5_PxSB_SC_NS1_21upper_bound_search_opENS8_6detail16wrapped_functionINS0_4lessIvEEbEEEE10hipError_tPvRmT1_T2_T3_mmT4_T5_P12ihipStream_tbEUlRKxE_EESL_SP_SQ_mSR_SU_bEUlT_E_NS1_11comp_targetILNS1_3genE4ELNS1_11target_archE910ELNS1_3gpuE8ELNS1_3repE0EEENS1_30default_config_static_selectorELNS0_4arch9wavefront6targetE0EEEvSO_.kd
    .uniform_work_group_size: 1
    .uses_dynamic_stack: false
    .vgpr_count:     0
    .vgpr_spill_count: 0
    .wavefront_size: 32
    .workgroup_processor_mode: 1
  - .args:
      - .offset:         0
        .size:           56
        .value_kind:     by_value
    .group_segment_fixed_size: 0
    .kernarg_segment_align: 8
    .kernarg_segment_size: 56
    .language:       OpenCL C
    .language_version:
      - 2
      - 0
    .max_flat_workgroup_size: 128
    .name:           _ZN7rocprim17ROCPRIM_400000_NS6detail17trampoline_kernelINS0_14default_configENS1_27upper_bound_config_selectorIxlEEZNS1_14transform_implILb0ES3_S5_N6thrust23THRUST_200600_302600_NS17counting_iteratorIxNS8_11use_defaultESA_SA_EEPlZNS1_13binary_searchIS3_S5_PxSB_SC_NS1_21upper_bound_search_opENS8_6detail16wrapped_functionINS0_4lessIvEEbEEEE10hipError_tPvRmT1_T2_T3_mmT4_T5_P12ihipStream_tbEUlRKxE_EESL_SP_SQ_mSR_SU_bEUlT_E_NS1_11comp_targetILNS1_3genE3ELNS1_11target_archE908ELNS1_3gpuE7ELNS1_3repE0EEENS1_30default_config_static_selectorELNS0_4arch9wavefront6targetE0EEEvSO_
    .private_segment_fixed_size: 0
    .sgpr_count:     0
    .sgpr_spill_count: 0
    .symbol:         _ZN7rocprim17ROCPRIM_400000_NS6detail17trampoline_kernelINS0_14default_configENS1_27upper_bound_config_selectorIxlEEZNS1_14transform_implILb0ES3_S5_N6thrust23THRUST_200600_302600_NS17counting_iteratorIxNS8_11use_defaultESA_SA_EEPlZNS1_13binary_searchIS3_S5_PxSB_SC_NS1_21upper_bound_search_opENS8_6detail16wrapped_functionINS0_4lessIvEEbEEEE10hipError_tPvRmT1_T2_T3_mmT4_T5_P12ihipStream_tbEUlRKxE_EESL_SP_SQ_mSR_SU_bEUlT_E_NS1_11comp_targetILNS1_3genE3ELNS1_11target_archE908ELNS1_3gpuE7ELNS1_3repE0EEENS1_30default_config_static_selectorELNS0_4arch9wavefront6targetE0EEEvSO_.kd
    .uniform_work_group_size: 1
    .uses_dynamic_stack: false
    .vgpr_count:     0
    .vgpr_spill_count: 0
    .wavefront_size: 32
    .workgroup_processor_mode: 1
  - .args:
      - .offset:         0
        .size:           56
        .value_kind:     by_value
    .group_segment_fixed_size: 0
    .kernarg_segment_align: 8
    .kernarg_segment_size: 56
    .language:       OpenCL C
    .language_version:
      - 2
      - 0
    .max_flat_workgroup_size: 256
    .name:           _ZN7rocprim17ROCPRIM_400000_NS6detail17trampoline_kernelINS0_14default_configENS1_27upper_bound_config_selectorIxlEEZNS1_14transform_implILb0ES3_S5_N6thrust23THRUST_200600_302600_NS17counting_iteratorIxNS8_11use_defaultESA_SA_EEPlZNS1_13binary_searchIS3_S5_PxSB_SC_NS1_21upper_bound_search_opENS8_6detail16wrapped_functionINS0_4lessIvEEbEEEE10hipError_tPvRmT1_T2_T3_mmT4_T5_P12ihipStream_tbEUlRKxE_EESL_SP_SQ_mSR_SU_bEUlT_E_NS1_11comp_targetILNS1_3genE2ELNS1_11target_archE906ELNS1_3gpuE6ELNS1_3repE0EEENS1_30default_config_static_selectorELNS0_4arch9wavefront6targetE0EEEvSO_
    .private_segment_fixed_size: 0
    .sgpr_count:     0
    .sgpr_spill_count: 0
    .symbol:         _ZN7rocprim17ROCPRIM_400000_NS6detail17trampoline_kernelINS0_14default_configENS1_27upper_bound_config_selectorIxlEEZNS1_14transform_implILb0ES3_S5_N6thrust23THRUST_200600_302600_NS17counting_iteratorIxNS8_11use_defaultESA_SA_EEPlZNS1_13binary_searchIS3_S5_PxSB_SC_NS1_21upper_bound_search_opENS8_6detail16wrapped_functionINS0_4lessIvEEbEEEE10hipError_tPvRmT1_T2_T3_mmT4_T5_P12ihipStream_tbEUlRKxE_EESL_SP_SQ_mSR_SU_bEUlT_E_NS1_11comp_targetILNS1_3genE2ELNS1_11target_archE906ELNS1_3gpuE6ELNS1_3repE0EEENS1_30default_config_static_selectorELNS0_4arch9wavefront6targetE0EEEvSO_.kd
    .uniform_work_group_size: 1
    .uses_dynamic_stack: false
    .vgpr_count:     0
    .vgpr_spill_count: 0
    .wavefront_size: 32
    .workgroup_processor_mode: 1
  - .args:
      - .offset:         0
        .size:           56
        .value_kind:     by_value
    .group_segment_fixed_size: 0
    .kernarg_segment_align: 8
    .kernarg_segment_size: 56
    .language:       OpenCL C
    .language_version:
      - 2
      - 0
    .max_flat_workgroup_size: 128
    .name:           _ZN7rocprim17ROCPRIM_400000_NS6detail17trampoline_kernelINS0_14default_configENS1_27upper_bound_config_selectorIxlEEZNS1_14transform_implILb0ES3_S5_N6thrust23THRUST_200600_302600_NS17counting_iteratorIxNS8_11use_defaultESA_SA_EEPlZNS1_13binary_searchIS3_S5_PxSB_SC_NS1_21upper_bound_search_opENS8_6detail16wrapped_functionINS0_4lessIvEEbEEEE10hipError_tPvRmT1_T2_T3_mmT4_T5_P12ihipStream_tbEUlRKxE_EESL_SP_SQ_mSR_SU_bEUlT_E_NS1_11comp_targetILNS1_3genE10ELNS1_11target_archE1201ELNS1_3gpuE5ELNS1_3repE0EEENS1_30default_config_static_selectorELNS0_4arch9wavefront6targetE0EEEvSO_
    .private_segment_fixed_size: 0
    .sgpr_count:     0
    .sgpr_spill_count: 0
    .symbol:         _ZN7rocprim17ROCPRIM_400000_NS6detail17trampoline_kernelINS0_14default_configENS1_27upper_bound_config_selectorIxlEEZNS1_14transform_implILb0ES3_S5_N6thrust23THRUST_200600_302600_NS17counting_iteratorIxNS8_11use_defaultESA_SA_EEPlZNS1_13binary_searchIS3_S5_PxSB_SC_NS1_21upper_bound_search_opENS8_6detail16wrapped_functionINS0_4lessIvEEbEEEE10hipError_tPvRmT1_T2_T3_mmT4_T5_P12ihipStream_tbEUlRKxE_EESL_SP_SQ_mSR_SU_bEUlT_E_NS1_11comp_targetILNS1_3genE10ELNS1_11target_archE1201ELNS1_3gpuE5ELNS1_3repE0EEENS1_30default_config_static_selectorELNS0_4arch9wavefront6targetE0EEEvSO_.kd
    .uniform_work_group_size: 1
    .uses_dynamic_stack: false
    .vgpr_count:     0
    .vgpr_spill_count: 0
    .wavefront_size: 32
    .workgroup_processor_mode: 1
  - .args:
      - .offset:         0
        .size:           56
        .value_kind:     by_value
    .group_segment_fixed_size: 0
    .kernarg_segment_align: 8
    .kernarg_segment_size: 56
    .language:       OpenCL C
    .language_version:
      - 2
      - 0
    .max_flat_workgroup_size: 128
    .name:           _ZN7rocprim17ROCPRIM_400000_NS6detail17trampoline_kernelINS0_14default_configENS1_27upper_bound_config_selectorIxlEEZNS1_14transform_implILb0ES3_S5_N6thrust23THRUST_200600_302600_NS17counting_iteratorIxNS8_11use_defaultESA_SA_EEPlZNS1_13binary_searchIS3_S5_PxSB_SC_NS1_21upper_bound_search_opENS8_6detail16wrapped_functionINS0_4lessIvEEbEEEE10hipError_tPvRmT1_T2_T3_mmT4_T5_P12ihipStream_tbEUlRKxE_EESL_SP_SQ_mSR_SU_bEUlT_E_NS1_11comp_targetILNS1_3genE10ELNS1_11target_archE1200ELNS1_3gpuE4ELNS1_3repE0EEENS1_30default_config_static_selectorELNS0_4arch9wavefront6targetE0EEEvSO_
    .private_segment_fixed_size: 0
    .sgpr_count:     0
    .sgpr_spill_count: 0
    .symbol:         _ZN7rocprim17ROCPRIM_400000_NS6detail17trampoline_kernelINS0_14default_configENS1_27upper_bound_config_selectorIxlEEZNS1_14transform_implILb0ES3_S5_N6thrust23THRUST_200600_302600_NS17counting_iteratorIxNS8_11use_defaultESA_SA_EEPlZNS1_13binary_searchIS3_S5_PxSB_SC_NS1_21upper_bound_search_opENS8_6detail16wrapped_functionINS0_4lessIvEEbEEEE10hipError_tPvRmT1_T2_T3_mmT4_T5_P12ihipStream_tbEUlRKxE_EESL_SP_SQ_mSR_SU_bEUlT_E_NS1_11comp_targetILNS1_3genE10ELNS1_11target_archE1200ELNS1_3gpuE4ELNS1_3repE0EEENS1_30default_config_static_selectorELNS0_4arch9wavefront6targetE0EEEvSO_.kd
    .uniform_work_group_size: 1
    .uses_dynamic_stack: false
    .vgpr_count:     0
    .vgpr_spill_count: 0
    .wavefront_size: 32
    .workgroup_processor_mode: 1
  - .args:
      - .offset:         0
        .size:           56
        .value_kind:     by_value
      - .offset:         56
        .size:           4
        .value_kind:     hidden_block_count_x
      - .offset:         60
        .size:           4
        .value_kind:     hidden_block_count_y
      - .offset:         64
        .size:           4
        .value_kind:     hidden_block_count_z
      - .offset:         68
        .size:           2
        .value_kind:     hidden_group_size_x
      - .offset:         70
        .size:           2
        .value_kind:     hidden_group_size_y
      - .offset:         72
        .size:           2
        .value_kind:     hidden_group_size_z
      - .offset:         74
        .size:           2
        .value_kind:     hidden_remainder_x
      - .offset:         76
        .size:           2
        .value_kind:     hidden_remainder_y
      - .offset:         78
        .size:           2
        .value_kind:     hidden_remainder_z
      - .offset:         96
        .size:           8
        .value_kind:     hidden_global_offset_x
      - .offset:         104
        .size:           8
        .value_kind:     hidden_global_offset_y
      - .offset:         112
        .size:           8
        .value_kind:     hidden_global_offset_z
      - .offset:         120
        .size:           2
        .value_kind:     hidden_grid_dims
    .group_segment_fixed_size: 0
    .kernarg_segment_align: 8
    .kernarg_segment_size: 312
    .language:       OpenCL C
    .language_version:
      - 2
      - 0
    .max_flat_workgroup_size: 256
    .name:           _ZN7rocprim17ROCPRIM_400000_NS6detail17trampoline_kernelINS0_14default_configENS1_27upper_bound_config_selectorIxlEEZNS1_14transform_implILb0ES3_S5_N6thrust23THRUST_200600_302600_NS17counting_iteratorIxNS8_11use_defaultESA_SA_EEPlZNS1_13binary_searchIS3_S5_PxSB_SC_NS1_21upper_bound_search_opENS8_6detail16wrapped_functionINS0_4lessIvEEbEEEE10hipError_tPvRmT1_T2_T3_mmT4_T5_P12ihipStream_tbEUlRKxE_EESL_SP_SQ_mSR_SU_bEUlT_E_NS1_11comp_targetILNS1_3genE9ELNS1_11target_archE1100ELNS1_3gpuE3ELNS1_3repE0EEENS1_30default_config_static_selectorELNS0_4arch9wavefront6targetE0EEEvSO_
    .private_segment_fixed_size: 0
    .sgpr_count:     18
    .sgpr_spill_count: 0
    .symbol:         _ZN7rocprim17ROCPRIM_400000_NS6detail17trampoline_kernelINS0_14default_configENS1_27upper_bound_config_selectorIxlEEZNS1_14transform_implILb0ES3_S5_N6thrust23THRUST_200600_302600_NS17counting_iteratorIxNS8_11use_defaultESA_SA_EEPlZNS1_13binary_searchIS3_S5_PxSB_SC_NS1_21upper_bound_search_opENS8_6detail16wrapped_functionINS0_4lessIvEEbEEEE10hipError_tPvRmT1_T2_T3_mmT4_T5_P12ihipStream_tbEUlRKxE_EESL_SP_SQ_mSR_SU_bEUlT_E_NS1_11comp_targetILNS1_3genE9ELNS1_11target_archE1100ELNS1_3gpuE3ELNS1_3repE0EEENS1_30default_config_static_selectorELNS0_4arch9wavefront6targetE0EEEvSO_.kd
    .uniform_work_group_size: 1
    .uses_dynamic_stack: false
    .vgpr_count:     13
    .vgpr_spill_count: 0
    .wavefront_size: 32
    .workgroup_processor_mode: 1
  - .args:
      - .offset:         0
        .size:           56
        .value_kind:     by_value
    .group_segment_fixed_size: 0
    .kernarg_segment_align: 8
    .kernarg_segment_size: 56
    .language:       OpenCL C
    .language_version:
      - 2
      - 0
    .max_flat_workgroup_size: 256
    .name:           _ZN7rocprim17ROCPRIM_400000_NS6detail17trampoline_kernelINS0_14default_configENS1_27upper_bound_config_selectorIxlEEZNS1_14transform_implILb0ES3_S5_N6thrust23THRUST_200600_302600_NS17counting_iteratorIxNS8_11use_defaultESA_SA_EEPlZNS1_13binary_searchIS3_S5_PxSB_SC_NS1_21upper_bound_search_opENS8_6detail16wrapped_functionINS0_4lessIvEEbEEEE10hipError_tPvRmT1_T2_T3_mmT4_T5_P12ihipStream_tbEUlRKxE_EESL_SP_SQ_mSR_SU_bEUlT_E_NS1_11comp_targetILNS1_3genE8ELNS1_11target_archE1030ELNS1_3gpuE2ELNS1_3repE0EEENS1_30default_config_static_selectorELNS0_4arch9wavefront6targetE0EEEvSO_
    .private_segment_fixed_size: 0
    .sgpr_count:     0
    .sgpr_spill_count: 0
    .symbol:         _ZN7rocprim17ROCPRIM_400000_NS6detail17trampoline_kernelINS0_14default_configENS1_27upper_bound_config_selectorIxlEEZNS1_14transform_implILb0ES3_S5_N6thrust23THRUST_200600_302600_NS17counting_iteratorIxNS8_11use_defaultESA_SA_EEPlZNS1_13binary_searchIS3_S5_PxSB_SC_NS1_21upper_bound_search_opENS8_6detail16wrapped_functionINS0_4lessIvEEbEEEE10hipError_tPvRmT1_T2_T3_mmT4_T5_P12ihipStream_tbEUlRKxE_EESL_SP_SQ_mSR_SU_bEUlT_E_NS1_11comp_targetILNS1_3genE8ELNS1_11target_archE1030ELNS1_3gpuE2ELNS1_3repE0EEENS1_30default_config_static_selectorELNS0_4arch9wavefront6targetE0EEEvSO_.kd
    .uniform_work_group_size: 1
    .uses_dynamic_stack: false
    .vgpr_count:     0
    .vgpr_spill_count: 0
    .wavefront_size: 32
    .workgroup_processor_mode: 1
  - .args:
      - .offset:         0
        .size:           8
        .value_kind:     by_value
      - .address_space:  global
        .offset:         8
        .size:           8
        .value_kind:     global_buffer
      - .address_space:  global
        .offset:         16
        .size:           8
        .value_kind:     global_buffer
    .group_segment_fixed_size: 0
    .kernarg_segment_align: 8
    .kernarg_segment_size: 24
    .language:       OpenCL C
    .language_version:
      - 2
      - 0
    .max_flat_workgroup_size: 256
    .name:           _Z18upper_bound_kernelIiEvmPT_Pl
    .private_segment_fixed_size: 0
    .sgpr_count:     19
    .sgpr_spill_count: 0
    .symbol:         _Z18upper_bound_kernelIiEvmPT_Pl.kd
    .uniform_work_group_size: 1
    .uses_dynamic_stack: false
    .vgpr_count:     3
    .vgpr_spill_count: 0
    .wavefront_size: 32
    .workgroup_processor_mode: 1
  - .args:
      - .offset:         0
        .size:           56
        .value_kind:     by_value
    .group_segment_fixed_size: 0
    .kernarg_segment_align: 8
    .kernarg_segment_size: 56
    .language:       OpenCL C
    .language_version:
      - 2
      - 0
    .max_flat_workgroup_size: 256
    .name:           _ZN7rocprim17ROCPRIM_400000_NS6detail17trampoline_kernelINS0_14default_configENS1_27upper_bound_config_selectorIilEEZNS1_14transform_implILb0ES3_S5_N6thrust23THRUST_200600_302600_NS17counting_iteratorIiNS8_11use_defaultESA_SA_EEPlZNS1_13binary_searchIS3_S5_PiSB_SC_NS1_21upper_bound_search_opENS8_6detail16wrapped_functionINS0_4lessIvEEbEEEE10hipError_tPvRmT1_T2_T3_mmT4_T5_P12ihipStream_tbEUlRKiE_EESL_SP_SQ_mSR_SU_bEUlT_E_NS1_11comp_targetILNS1_3genE0ELNS1_11target_archE4294967295ELNS1_3gpuE0ELNS1_3repE0EEENS1_30default_config_static_selectorELNS0_4arch9wavefront6targetE0EEEvSO_
    .private_segment_fixed_size: 0
    .sgpr_count:     0
    .sgpr_spill_count: 0
    .symbol:         _ZN7rocprim17ROCPRIM_400000_NS6detail17trampoline_kernelINS0_14default_configENS1_27upper_bound_config_selectorIilEEZNS1_14transform_implILb0ES3_S5_N6thrust23THRUST_200600_302600_NS17counting_iteratorIiNS8_11use_defaultESA_SA_EEPlZNS1_13binary_searchIS3_S5_PiSB_SC_NS1_21upper_bound_search_opENS8_6detail16wrapped_functionINS0_4lessIvEEbEEEE10hipError_tPvRmT1_T2_T3_mmT4_T5_P12ihipStream_tbEUlRKiE_EESL_SP_SQ_mSR_SU_bEUlT_E_NS1_11comp_targetILNS1_3genE0ELNS1_11target_archE4294967295ELNS1_3gpuE0ELNS1_3repE0EEENS1_30default_config_static_selectorELNS0_4arch9wavefront6targetE0EEEvSO_.kd
    .uniform_work_group_size: 1
    .uses_dynamic_stack: false
    .vgpr_count:     0
    .vgpr_spill_count: 0
    .wavefront_size: 32
    .workgroup_processor_mode: 1
  - .args:
      - .offset:         0
        .size:           56
        .value_kind:     by_value
    .group_segment_fixed_size: 0
    .kernarg_segment_align: 8
    .kernarg_segment_size: 56
    .language:       OpenCL C
    .language_version:
      - 2
      - 0
    .max_flat_workgroup_size: 256
    .name:           _ZN7rocprim17ROCPRIM_400000_NS6detail17trampoline_kernelINS0_14default_configENS1_27upper_bound_config_selectorIilEEZNS1_14transform_implILb0ES3_S5_N6thrust23THRUST_200600_302600_NS17counting_iteratorIiNS8_11use_defaultESA_SA_EEPlZNS1_13binary_searchIS3_S5_PiSB_SC_NS1_21upper_bound_search_opENS8_6detail16wrapped_functionINS0_4lessIvEEbEEEE10hipError_tPvRmT1_T2_T3_mmT4_T5_P12ihipStream_tbEUlRKiE_EESL_SP_SQ_mSR_SU_bEUlT_E_NS1_11comp_targetILNS1_3genE5ELNS1_11target_archE942ELNS1_3gpuE9ELNS1_3repE0EEENS1_30default_config_static_selectorELNS0_4arch9wavefront6targetE0EEEvSO_
    .private_segment_fixed_size: 0
    .sgpr_count:     0
    .sgpr_spill_count: 0
    .symbol:         _ZN7rocprim17ROCPRIM_400000_NS6detail17trampoline_kernelINS0_14default_configENS1_27upper_bound_config_selectorIilEEZNS1_14transform_implILb0ES3_S5_N6thrust23THRUST_200600_302600_NS17counting_iteratorIiNS8_11use_defaultESA_SA_EEPlZNS1_13binary_searchIS3_S5_PiSB_SC_NS1_21upper_bound_search_opENS8_6detail16wrapped_functionINS0_4lessIvEEbEEEE10hipError_tPvRmT1_T2_T3_mmT4_T5_P12ihipStream_tbEUlRKiE_EESL_SP_SQ_mSR_SU_bEUlT_E_NS1_11comp_targetILNS1_3genE5ELNS1_11target_archE942ELNS1_3gpuE9ELNS1_3repE0EEENS1_30default_config_static_selectorELNS0_4arch9wavefront6targetE0EEEvSO_.kd
    .uniform_work_group_size: 1
    .uses_dynamic_stack: false
    .vgpr_count:     0
    .vgpr_spill_count: 0
    .wavefront_size: 32
    .workgroup_processor_mode: 1
  - .args:
      - .offset:         0
        .size:           56
        .value_kind:     by_value
    .group_segment_fixed_size: 0
    .kernarg_segment_align: 8
    .kernarg_segment_size: 56
    .language:       OpenCL C
    .language_version:
      - 2
      - 0
    .max_flat_workgroup_size: 256
    .name:           _ZN7rocprim17ROCPRIM_400000_NS6detail17trampoline_kernelINS0_14default_configENS1_27upper_bound_config_selectorIilEEZNS1_14transform_implILb0ES3_S5_N6thrust23THRUST_200600_302600_NS17counting_iteratorIiNS8_11use_defaultESA_SA_EEPlZNS1_13binary_searchIS3_S5_PiSB_SC_NS1_21upper_bound_search_opENS8_6detail16wrapped_functionINS0_4lessIvEEbEEEE10hipError_tPvRmT1_T2_T3_mmT4_T5_P12ihipStream_tbEUlRKiE_EESL_SP_SQ_mSR_SU_bEUlT_E_NS1_11comp_targetILNS1_3genE4ELNS1_11target_archE910ELNS1_3gpuE8ELNS1_3repE0EEENS1_30default_config_static_selectorELNS0_4arch9wavefront6targetE0EEEvSO_
    .private_segment_fixed_size: 0
    .sgpr_count:     0
    .sgpr_spill_count: 0
    .symbol:         _ZN7rocprim17ROCPRIM_400000_NS6detail17trampoline_kernelINS0_14default_configENS1_27upper_bound_config_selectorIilEEZNS1_14transform_implILb0ES3_S5_N6thrust23THRUST_200600_302600_NS17counting_iteratorIiNS8_11use_defaultESA_SA_EEPlZNS1_13binary_searchIS3_S5_PiSB_SC_NS1_21upper_bound_search_opENS8_6detail16wrapped_functionINS0_4lessIvEEbEEEE10hipError_tPvRmT1_T2_T3_mmT4_T5_P12ihipStream_tbEUlRKiE_EESL_SP_SQ_mSR_SU_bEUlT_E_NS1_11comp_targetILNS1_3genE4ELNS1_11target_archE910ELNS1_3gpuE8ELNS1_3repE0EEENS1_30default_config_static_selectorELNS0_4arch9wavefront6targetE0EEEvSO_.kd
    .uniform_work_group_size: 1
    .uses_dynamic_stack: false
    .vgpr_count:     0
    .vgpr_spill_count: 0
    .wavefront_size: 32
    .workgroup_processor_mode: 1
  - .args:
      - .offset:         0
        .size:           56
        .value_kind:     by_value
    .group_segment_fixed_size: 0
    .kernarg_segment_align: 8
    .kernarg_segment_size: 56
    .language:       OpenCL C
    .language_version:
      - 2
      - 0
    .max_flat_workgroup_size: 256
    .name:           _ZN7rocprim17ROCPRIM_400000_NS6detail17trampoline_kernelINS0_14default_configENS1_27upper_bound_config_selectorIilEEZNS1_14transform_implILb0ES3_S5_N6thrust23THRUST_200600_302600_NS17counting_iteratorIiNS8_11use_defaultESA_SA_EEPlZNS1_13binary_searchIS3_S5_PiSB_SC_NS1_21upper_bound_search_opENS8_6detail16wrapped_functionINS0_4lessIvEEbEEEE10hipError_tPvRmT1_T2_T3_mmT4_T5_P12ihipStream_tbEUlRKiE_EESL_SP_SQ_mSR_SU_bEUlT_E_NS1_11comp_targetILNS1_3genE3ELNS1_11target_archE908ELNS1_3gpuE7ELNS1_3repE0EEENS1_30default_config_static_selectorELNS0_4arch9wavefront6targetE0EEEvSO_
    .private_segment_fixed_size: 0
    .sgpr_count:     0
    .sgpr_spill_count: 0
    .symbol:         _ZN7rocprim17ROCPRIM_400000_NS6detail17trampoline_kernelINS0_14default_configENS1_27upper_bound_config_selectorIilEEZNS1_14transform_implILb0ES3_S5_N6thrust23THRUST_200600_302600_NS17counting_iteratorIiNS8_11use_defaultESA_SA_EEPlZNS1_13binary_searchIS3_S5_PiSB_SC_NS1_21upper_bound_search_opENS8_6detail16wrapped_functionINS0_4lessIvEEbEEEE10hipError_tPvRmT1_T2_T3_mmT4_T5_P12ihipStream_tbEUlRKiE_EESL_SP_SQ_mSR_SU_bEUlT_E_NS1_11comp_targetILNS1_3genE3ELNS1_11target_archE908ELNS1_3gpuE7ELNS1_3repE0EEENS1_30default_config_static_selectorELNS0_4arch9wavefront6targetE0EEEvSO_.kd
    .uniform_work_group_size: 1
    .uses_dynamic_stack: false
    .vgpr_count:     0
    .vgpr_spill_count: 0
    .wavefront_size: 32
    .workgroup_processor_mode: 1
  - .args:
      - .offset:         0
        .size:           56
        .value_kind:     by_value
    .group_segment_fixed_size: 0
    .kernarg_segment_align: 8
    .kernarg_segment_size: 56
    .language:       OpenCL C
    .language_version:
      - 2
      - 0
    .max_flat_workgroup_size: 256
    .name:           _ZN7rocprim17ROCPRIM_400000_NS6detail17trampoline_kernelINS0_14default_configENS1_27upper_bound_config_selectorIilEEZNS1_14transform_implILb0ES3_S5_N6thrust23THRUST_200600_302600_NS17counting_iteratorIiNS8_11use_defaultESA_SA_EEPlZNS1_13binary_searchIS3_S5_PiSB_SC_NS1_21upper_bound_search_opENS8_6detail16wrapped_functionINS0_4lessIvEEbEEEE10hipError_tPvRmT1_T2_T3_mmT4_T5_P12ihipStream_tbEUlRKiE_EESL_SP_SQ_mSR_SU_bEUlT_E_NS1_11comp_targetILNS1_3genE2ELNS1_11target_archE906ELNS1_3gpuE6ELNS1_3repE0EEENS1_30default_config_static_selectorELNS0_4arch9wavefront6targetE0EEEvSO_
    .private_segment_fixed_size: 0
    .sgpr_count:     0
    .sgpr_spill_count: 0
    .symbol:         _ZN7rocprim17ROCPRIM_400000_NS6detail17trampoline_kernelINS0_14default_configENS1_27upper_bound_config_selectorIilEEZNS1_14transform_implILb0ES3_S5_N6thrust23THRUST_200600_302600_NS17counting_iteratorIiNS8_11use_defaultESA_SA_EEPlZNS1_13binary_searchIS3_S5_PiSB_SC_NS1_21upper_bound_search_opENS8_6detail16wrapped_functionINS0_4lessIvEEbEEEE10hipError_tPvRmT1_T2_T3_mmT4_T5_P12ihipStream_tbEUlRKiE_EESL_SP_SQ_mSR_SU_bEUlT_E_NS1_11comp_targetILNS1_3genE2ELNS1_11target_archE906ELNS1_3gpuE6ELNS1_3repE0EEENS1_30default_config_static_selectorELNS0_4arch9wavefront6targetE0EEEvSO_.kd
    .uniform_work_group_size: 1
    .uses_dynamic_stack: false
    .vgpr_count:     0
    .vgpr_spill_count: 0
    .wavefront_size: 32
    .workgroup_processor_mode: 1
  - .args:
      - .offset:         0
        .size:           56
        .value_kind:     by_value
    .group_segment_fixed_size: 0
    .kernarg_segment_align: 8
    .kernarg_segment_size: 56
    .language:       OpenCL C
    .language_version:
      - 2
      - 0
    .max_flat_workgroup_size: 128
    .name:           _ZN7rocprim17ROCPRIM_400000_NS6detail17trampoline_kernelINS0_14default_configENS1_27upper_bound_config_selectorIilEEZNS1_14transform_implILb0ES3_S5_N6thrust23THRUST_200600_302600_NS17counting_iteratorIiNS8_11use_defaultESA_SA_EEPlZNS1_13binary_searchIS3_S5_PiSB_SC_NS1_21upper_bound_search_opENS8_6detail16wrapped_functionINS0_4lessIvEEbEEEE10hipError_tPvRmT1_T2_T3_mmT4_T5_P12ihipStream_tbEUlRKiE_EESL_SP_SQ_mSR_SU_bEUlT_E_NS1_11comp_targetILNS1_3genE10ELNS1_11target_archE1201ELNS1_3gpuE5ELNS1_3repE0EEENS1_30default_config_static_selectorELNS0_4arch9wavefront6targetE0EEEvSO_
    .private_segment_fixed_size: 0
    .sgpr_count:     0
    .sgpr_spill_count: 0
    .symbol:         _ZN7rocprim17ROCPRIM_400000_NS6detail17trampoline_kernelINS0_14default_configENS1_27upper_bound_config_selectorIilEEZNS1_14transform_implILb0ES3_S5_N6thrust23THRUST_200600_302600_NS17counting_iteratorIiNS8_11use_defaultESA_SA_EEPlZNS1_13binary_searchIS3_S5_PiSB_SC_NS1_21upper_bound_search_opENS8_6detail16wrapped_functionINS0_4lessIvEEbEEEE10hipError_tPvRmT1_T2_T3_mmT4_T5_P12ihipStream_tbEUlRKiE_EESL_SP_SQ_mSR_SU_bEUlT_E_NS1_11comp_targetILNS1_3genE10ELNS1_11target_archE1201ELNS1_3gpuE5ELNS1_3repE0EEENS1_30default_config_static_selectorELNS0_4arch9wavefront6targetE0EEEvSO_.kd
    .uniform_work_group_size: 1
    .uses_dynamic_stack: false
    .vgpr_count:     0
    .vgpr_spill_count: 0
    .wavefront_size: 32
    .workgroup_processor_mode: 1
  - .args:
      - .offset:         0
        .size:           56
        .value_kind:     by_value
    .group_segment_fixed_size: 0
    .kernarg_segment_align: 8
    .kernarg_segment_size: 56
    .language:       OpenCL C
    .language_version:
      - 2
      - 0
    .max_flat_workgroup_size: 128
    .name:           _ZN7rocprim17ROCPRIM_400000_NS6detail17trampoline_kernelINS0_14default_configENS1_27upper_bound_config_selectorIilEEZNS1_14transform_implILb0ES3_S5_N6thrust23THRUST_200600_302600_NS17counting_iteratorIiNS8_11use_defaultESA_SA_EEPlZNS1_13binary_searchIS3_S5_PiSB_SC_NS1_21upper_bound_search_opENS8_6detail16wrapped_functionINS0_4lessIvEEbEEEE10hipError_tPvRmT1_T2_T3_mmT4_T5_P12ihipStream_tbEUlRKiE_EESL_SP_SQ_mSR_SU_bEUlT_E_NS1_11comp_targetILNS1_3genE10ELNS1_11target_archE1200ELNS1_3gpuE4ELNS1_3repE0EEENS1_30default_config_static_selectorELNS0_4arch9wavefront6targetE0EEEvSO_
    .private_segment_fixed_size: 0
    .sgpr_count:     0
    .sgpr_spill_count: 0
    .symbol:         _ZN7rocprim17ROCPRIM_400000_NS6detail17trampoline_kernelINS0_14default_configENS1_27upper_bound_config_selectorIilEEZNS1_14transform_implILb0ES3_S5_N6thrust23THRUST_200600_302600_NS17counting_iteratorIiNS8_11use_defaultESA_SA_EEPlZNS1_13binary_searchIS3_S5_PiSB_SC_NS1_21upper_bound_search_opENS8_6detail16wrapped_functionINS0_4lessIvEEbEEEE10hipError_tPvRmT1_T2_T3_mmT4_T5_P12ihipStream_tbEUlRKiE_EESL_SP_SQ_mSR_SU_bEUlT_E_NS1_11comp_targetILNS1_3genE10ELNS1_11target_archE1200ELNS1_3gpuE4ELNS1_3repE0EEENS1_30default_config_static_selectorELNS0_4arch9wavefront6targetE0EEEvSO_.kd
    .uniform_work_group_size: 1
    .uses_dynamic_stack: false
    .vgpr_count:     0
    .vgpr_spill_count: 0
    .wavefront_size: 32
    .workgroup_processor_mode: 1
  - .args:
      - .offset:         0
        .size:           56
        .value_kind:     by_value
      - .offset:         56
        .size:           4
        .value_kind:     hidden_block_count_x
      - .offset:         60
        .size:           4
        .value_kind:     hidden_block_count_y
      - .offset:         64
        .size:           4
        .value_kind:     hidden_block_count_z
      - .offset:         68
        .size:           2
        .value_kind:     hidden_group_size_x
      - .offset:         70
        .size:           2
        .value_kind:     hidden_group_size_y
      - .offset:         72
        .size:           2
        .value_kind:     hidden_group_size_z
      - .offset:         74
        .size:           2
        .value_kind:     hidden_remainder_x
      - .offset:         76
        .size:           2
        .value_kind:     hidden_remainder_y
      - .offset:         78
        .size:           2
        .value_kind:     hidden_remainder_z
      - .offset:         96
        .size:           8
        .value_kind:     hidden_global_offset_x
      - .offset:         104
        .size:           8
        .value_kind:     hidden_global_offset_y
      - .offset:         112
        .size:           8
        .value_kind:     hidden_global_offset_z
      - .offset:         120
        .size:           2
        .value_kind:     hidden_grid_dims
    .group_segment_fixed_size: 0
    .kernarg_segment_align: 8
    .kernarg_segment_size: 312
    .language:       OpenCL C
    .language_version:
      - 2
      - 0
    .max_flat_workgroup_size: 256
    .name:           _ZN7rocprim17ROCPRIM_400000_NS6detail17trampoline_kernelINS0_14default_configENS1_27upper_bound_config_selectorIilEEZNS1_14transform_implILb0ES3_S5_N6thrust23THRUST_200600_302600_NS17counting_iteratorIiNS8_11use_defaultESA_SA_EEPlZNS1_13binary_searchIS3_S5_PiSB_SC_NS1_21upper_bound_search_opENS8_6detail16wrapped_functionINS0_4lessIvEEbEEEE10hipError_tPvRmT1_T2_T3_mmT4_T5_P12ihipStream_tbEUlRKiE_EESL_SP_SQ_mSR_SU_bEUlT_E_NS1_11comp_targetILNS1_3genE9ELNS1_11target_archE1100ELNS1_3gpuE3ELNS1_3repE0EEENS1_30default_config_static_selectorELNS0_4arch9wavefront6targetE0EEEvSO_
    .private_segment_fixed_size: 0
    .sgpr_count:     18
    .sgpr_spill_count: 0
    .symbol:         _ZN7rocprim17ROCPRIM_400000_NS6detail17trampoline_kernelINS0_14default_configENS1_27upper_bound_config_selectorIilEEZNS1_14transform_implILb0ES3_S5_N6thrust23THRUST_200600_302600_NS17counting_iteratorIiNS8_11use_defaultESA_SA_EEPlZNS1_13binary_searchIS3_S5_PiSB_SC_NS1_21upper_bound_search_opENS8_6detail16wrapped_functionINS0_4lessIvEEbEEEE10hipError_tPvRmT1_T2_T3_mmT4_T5_P12ihipStream_tbEUlRKiE_EESL_SP_SQ_mSR_SU_bEUlT_E_NS1_11comp_targetILNS1_3genE9ELNS1_11target_archE1100ELNS1_3gpuE3ELNS1_3repE0EEENS1_30default_config_static_selectorELNS0_4arch9wavefront6targetE0EEEvSO_.kd
    .uniform_work_group_size: 1
    .uses_dynamic_stack: false
    .vgpr_count:     11
    .vgpr_spill_count: 0
    .wavefront_size: 32
    .workgroup_processor_mode: 1
  - .args:
      - .offset:         0
        .size:           56
        .value_kind:     by_value
    .group_segment_fixed_size: 0
    .kernarg_segment_align: 8
    .kernarg_segment_size: 56
    .language:       OpenCL C
    .language_version:
      - 2
      - 0
    .max_flat_workgroup_size: 256
    .name:           _ZN7rocprim17ROCPRIM_400000_NS6detail17trampoline_kernelINS0_14default_configENS1_27upper_bound_config_selectorIilEEZNS1_14transform_implILb0ES3_S5_N6thrust23THRUST_200600_302600_NS17counting_iteratorIiNS8_11use_defaultESA_SA_EEPlZNS1_13binary_searchIS3_S5_PiSB_SC_NS1_21upper_bound_search_opENS8_6detail16wrapped_functionINS0_4lessIvEEbEEEE10hipError_tPvRmT1_T2_T3_mmT4_T5_P12ihipStream_tbEUlRKiE_EESL_SP_SQ_mSR_SU_bEUlT_E_NS1_11comp_targetILNS1_3genE8ELNS1_11target_archE1030ELNS1_3gpuE2ELNS1_3repE0EEENS1_30default_config_static_selectorELNS0_4arch9wavefront6targetE0EEEvSO_
    .private_segment_fixed_size: 0
    .sgpr_count:     0
    .sgpr_spill_count: 0
    .symbol:         _ZN7rocprim17ROCPRIM_400000_NS6detail17trampoline_kernelINS0_14default_configENS1_27upper_bound_config_selectorIilEEZNS1_14transform_implILb0ES3_S5_N6thrust23THRUST_200600_302600_NS17counting_iteratorIiNS8_11use_defaultESA_SA_EEPlZNS1_13binary_searchIS3_S5_PiSB_SC_NS1_21upper_bound_search_opENS8_6detail16wrapped_functionINS0_4lessIvEEbEEEE10hipError_tPvRmT1_T2_T3_mmT4_T5_P12ihipStream_tbEUlRKiE_EESL_SP_SQ_mSR_SU_bEUlT_E_NS1_11comp_targetILNS1_3genE8ELNS1_11target_archE1030ELNS1_3gpuE2ELNS1_3repE0EEENS1_30default_config_static_selectorELNS0_4arch9wavefront6targetE0EEEvSO_.kd
    .uniform_work_group_size: 1
    .uses_dynamic_stack: false
    .vgpr_count:     0
    .vgpr_spill_count: 0
    .wavefront_size: 32
    .workgroup_processor_mode: 1
  - .args:
      - .offset:         0
        .size:           8
        .value_kind:     by_value
      - .address_space:  global
        .offset:         8
        .size:           8
        .value_kind:     global_buffer
      - .address_space:  global
        .offset:         16
        .size:           8
        .value_kind:     global_buffer
    .group_segment_fixed_size: 0
    .kernarg_segment_align: 8
    .kernarg_segment_size: 24
    .language:       OpenCL C
    .language_version:
      - 2
      - 0
    .max_flat_workgroup_size: 256
    .name:           _Z18upper_bound_kernelIsEvmPT_Pl
    .private_segment_fixed_size: 0
    .sgpr_count:     19
    .sgpr_spill_count: 0
    .symbol:         _Z18upper_bound_kernelIsEvmPT_Pl.kd
    .uniform_work_group_size: 1
    .uses_dynamic_stack: false
    .vgpr_count:     3
    .vgpr_spill_count: 0
    .wavefront_size: 32
    .workgroup_processor_mode: 1
  - .args:
      - .offset:         0
        .size:           56
        .value_kind:     by_value
    .group_segment_fixed_size: 0
    .kernarg_segment_align: 8
    .kernarg_segment_size: 56
    .language:       OpenCL C
    .language_version:
      - 2
      - 0
    .max_flat_workgroup_size: 128
    .name:           _ZN7rocprim17ROCPRIM_400000_NS6detail17trampoline_kernelINS0_14default_configENS1_27upper_bound_config_selectorIslEEZNS1_14transform_implILb0ES3_S5_N6thrust23THRUST_200600_302600_NS17counting_iteratorIsNS8_11use_defaultESA_SA_EEPlZNS1_13binary_searchIS3_S5_PsSB_SC_NS1_21upper_bound_search_opENS8_6detail16wrapped_functionINS0_4lessIvEEbEEEE10hipError_tPvRmT1_T2_T3_mmT4_T5_P12ihipStream_tbEUlRKsE_EESL_SP_SQ_mSR_SU_bEUlT_E_NS1_11comp_targetILNS1_3genE0ELNS1_11target_archE4294967295ELNS1_3gpuE0ELNS1_3repE0EEENS1_30default_config_static_selectorELNS0_4arch9wavefront6targetE0EEEvSO_
    .private_segment_fixed_size: 0
    .sgpr_count:     0
    .sgpr_spill_count: 0
    .symbol:         _ZN7rocprim17ROCPRIM_400000_NS6detail17trampoline_kernelINS0_14default_configENS1_27upper_bound_config_selectorIslEEZNS1_14transform_implILb0ES3_S5_N6thrust23THRUST_200600_302600_NS17counting_iteratorIsNS8_11use_defaultESA_SA_EEPlZNS1_13binary_searchIS3_S5_PsSB_SC_NS1_21upper_bound_search_opENS8_6detail16wrapped_functionINS0_4lessIvEEbEEEE10hipError_tPvRmT1_T2_T3_mmT4_T5_P12ihipStream_tbEUlRKsE_EESL_SP_SQ_mSR_SU_bEUlT_E_NS1_11comp_targetILNS1_3genE0ELNS1_11target_archE4294967295ELNS1_3gpuE0ELNS1_3repE0EEENS1_30default_config_static_selectorELNS0_4arch9wavefront6targetE0EEEvSO_.kd
    .uniform_work_group_size: 1
    .uses_dynamic_stack: false
    .vgpr_count:     0
    .vgpr_spill_count: 0
    .wavefront_size: 32
    .workgroup_processor_mode: 1
  - .args:
      - .offset:         0
        .size:           56
        .value_kind:     by_value
    .group_segment_fixed_size: 0
    .kernarg_segment_align: 8
    .kernarg_segment_size: 56
    .language:       OpenCL C
    .language_version:
      - 2
      - 0
    .max_flat_workgroup_size: 256
    .name:           _ZN7rocprim17ROCPRIM_400000_NS6detail17trampoline_kernelINS0_14default_configENS1_27upper_bound_config_selectorIslEEZNS1_14transform_implILb0ES3_S5_N6thrust23THRUST_200600_302600_NS17counting_iteratorIsNS8_11use_defaultESA_SA_EEPlZNS1_13binary_searchIS3_S5_PsSB_SC_NS1_21upper_bound_search_opENS8_6detail16wrapped_functionINS0_4lessIvEEbEEEE10hipError_tPvRmT1_T2_T3_mmT4_T5_P12ihipStream_tbEUlRKsE_EESL_SP_SQ_mSR_SU_bEUlT_E_NS1_11comp_targetILNS1_3genE5ELNS1_11target_archE942ELNS1_3gpuE9ELNS1_3repE0EEENS1_30default_config_static_selectorELNS0_4arch9wavefront6targetE0EEEvSO_
    .private_segment_fixed_size: 0
    .sgpr_count:     0
    .sgpr_spill_count: 0
    .symbol:         _ZN7rocprim17ROCPRIM_400000_NS6detail17trampoline_kernelINS0_14default_configENS1_27upper_bound_config_selectorIslEEZNS1_14transform_implILb0ES3_S5_N6thrust23THRUST_200600_302600_NS17counting_iteratorIsNS8_11use_defaultESA_SA_EEPlZNS1_13binary_searchIS3_S5_PsSB_SC_NS1_21upper_bound_search_opENS8_6detail16wrapped_functionINS0_4lessIvEEbEEEE10hipError_tPvRmT1_T2_T3_mmT4_T5_P12ihipStream_tbEUlRKsE_EESL_SP_SQ_mSR_SU_bEUlT_E_NS1_11comp_targetILNS1_3genE5ELNS1_11target_archE942ELNS1_3gpuE9ELNS1_3repE0EEENS1_30default_config_static_selectorELNS0_4arch9wavefront6targetE0EEEvSO_.kd
    .uniform_work_group_size: 1
    .uses_dynamic_stack: false
    .vgpr_count:     0
    .vgpr_spill_count: 0
    .wavefront_size: 32
    .workgroup_processor_mode: 1
  - .args:
      - .offset:         0
        .size:           56
        .value_kind:     by_value
    .group_segment_fixed_size: 0
    .kernarg_segment_align: 8
    .kernarg_segment_size: 56
    .language:       OpenCL C
    .language_version:
      - 2
      - 0
    .max_flat_workgroup_size: 256
    .name:           _ZN7rocprim17ROCPRIM_400000_NS6detail17trampoline_kernelINS0_14default_configENS1_27upper_bound_config_selectorIslEEZNS1_14transform_implILb0ES3_S5_N6thrust23THRUST_200600_302600_NS17counting_iteratorIsNS8_11use_defaultESA_SA_EEPlZNS1_13binary_searchIS3_S5_PsSB_SC_NS1_21upper_bound_search_opENS8_6detail16wrapped_functionINS0_4lessIvEEbEEEE10hipError_tPvRmT1_T2_T3_mmT4_T5_P12ihipStream_tbEUlRKsE_EESL_SP_SQ_mSR_SU_bEUlT_E_NS1_11comp_targetILNS1_3genE4ELNS1_11target_archE910ELNS1_3gpuE8ELNS1_3repE0EEENS1_30default_config_static_selectorELNS0_4arch9wavefront6targetE0EEEvSO_
    .private_segment_fixed_size: 0
    .sgpr_count:     0
    .sgpr_spill_count: 0
    .symbol:         _ZN7rocprim17ROCPRIM_400000_NS6detail17trampoline_kernelINS0_14default_configENS1_27upper_bound_config_selectorIslEEZNS1_14transform_implILb0ES3_S5_N6thrust23THRUST_200600_302600_NS17counting_iteratorIsNS8_11use_defaultESA_SA_EEPlZNS1_13binary_searchIS3_S5_PsSB_SC_NS1_21upper_bound_search_opENS8_6detail16wrapped_functionINS0_4lessIvEEbEEEE10hipError_tPvRmT1_T2_T3_mmT4_T5_P12ihipStream_tbEUlRKsE_EESL_SP_SQ_mSR_SU_bEUlT_E_NS1_11comp_targetILNS1_3genE4ELNS1_11target_archE910ELNS1_3gpuE8ELNS1_3repE0EEENS1_30default_config_static_selectorELNS0_4arch9wavefront6targetE0EEEvSO_.kd
    .uniform_work_group_size: 1
    .uses_dynamic_stack: false
    .vgpr_count:     0
    .vgpr_spill_count: 0
    .wavefront_size: 32
    .workgroup_processor_mode: 1
  - .args:
      - .offset:         0
        .size:           56
        .value_kind:     by_value
    .group_segment_fixed_size: 0
    .kernarg_segment_align: 8
    .kernarg_segment_size: 56
    .language:       OpenCL C
    .language_version:
      - 2
      - 0
    .max_flat_workgroup_size: 128
    .name:           _ZN7rocprim17ROCPRIM_400000_NS6detail17trampoline_kernelINS0_14default_configENS1_27upper_bound_config_selectorIslEEZNS1_14transform_implILb0ES3_S5_N6thrust23THRUST_200600_302600_NS17counting_iteratorIsNS8_11use_defaultESA_SA_EEPlZNS1_13binary_searchIS3_S5_PsSB_SC_NS1_21upper_bound_search_opENS8_6detail16wrapped_functionINS0_4lessIvEEbEEEE10hipError_tPvRmT1_T2_T3_mmT4_T5_P12ihipStream_tbEUlRKsE_EESL_SP_SQ_mSR_SU_bEUlT_E_NS1_11comp_targetILNS1_3genE3ELNS1_11target_archE908ELNS1_3gpuE7ELNS1_3repE0EEENS1_30default_config_static_selectorELNS0_4arch9wavefront6targetE0EEEvSO_
    .private_segment_fixed_size: 0
    .sgpr_count:     0
    .sgpr_spill_count: 0
    .symbol:         _ZN7rocprim17ROCPRIM_400000_NS6detail17trampoline_kernelINS0_14default_configENS1_27upper_bound_config_selectorIslEEZNS1_14transform_implILb0ES3_S5_N6thrust23THRUST_200600_302600_NS17counting_iteratorIsNS8_11use_defaultESA_SA_EEPlZNS1_13binary_searchIS3_S5_PsSB_SC_NS1_21upper_bound_search_opENS8_6detail16wrapped_functionINS0_4lessIvEEbEEEE10hipError_tPvRmT1_T2_T3_mmT4_T5_P12ihipStream_tbEUlRKsE_EESL_SP_SQ_mSR_SU_bEUlT_E_NS1_11comp_targetILNS1_3genE3ELNS1_11target_archE908ELNS1_3gpuE7ELNS1_3repE0EEENS1_30default_config_static_selectorELNS0_4arch9wavefront6targetE0EEEvSO_.kd
    .uniform_work_group_size: 1
    .uses_dynamic_stack: false
    .vgpr_count:     0
    .vgpr_spill_count: 0
    .wavefront_size: 32
    .workgroup_processor_mode: 1
  - .args:
      - .offset:         0
        .size:           56
        .value_kind:     by_value
    .group_segment_fixed_size: 0
    .kernarg_segment_align: 8
    .kernarg_segment_size: 56
    .language:       OpenCL C
    .language_version:
      - 2
      - 0
    .max_flat_workgroup_size: 256
    .name:           _ZN7rocprim17ROCPRIM_400000_NS6detail17trampoline_kernelINS0_14default_configENS1_27upper_bound_config_selectorIslEEZNS1_14transform_implILb0ES3_S5_N6thrust23THRUST_200600_302600_NS17counting_iteratorIsNS8_11use_defaultESA_SA_EEPlZNS1_13binary_searchIS3_S5_PsSB_SC_NS1_21upper_bound_search_opENS8_6detail16wrapped_functionINS0_4lessIvEEbEEEE10hipError_tPvRmT1_T2_T3_mmT4_T5_P12ihipStream_tbEUlRKsE_EESL_SP_SQ_mSR_SU_bEUlT_E_NS1_11comp_targetILNS1_3genE2ELNS1_11target_archE906ELNS1_3gpuE6ELNS1_3repE0EEENS1_30default_config_static_selectorELNS0_4arch9wavefront6targetE0EEEvSO_
    .private_segment_fixed_size: 0
    .sgpr_count:     0
    .sgpr_spill_count: 0
    .symbol:         _ZN7rocprim17ROCPRIM_400000_NS6detail17trampoline_kernelINS0_14default_configENS1_27upper_bound_config_selectorIslEEZNS1_14transform_implILb0ES3_S5_N6thrust23THRUST_200600_302600_NS17counting_iteratorIsNS8_11use_defaultESA_SA_EEPlZNS1_13binary_searchIS3_S5_PsSB_SC_NS1_21upper_bound_search_opENS8_6detail16wrapped_functionINS0_4lessIvEEbEEEE10hipError_tPvRmT1_T2_T3_mmT4_T5_P12ihipStream_tbEUlRKsE_EESL_SP_SQ_mSR_SU_bEUlT_E_NS1_11comp_targetILNS1_3genE2ELNS1_11target_archE906ELNS1_3gpuE6ELNS1_3repE0EEENS1_30default_config_static_selectorELNS0_4arch9wavefront6targetE0EEEvSO_.kd
    .uniform_work_group_size: 1
    .uses_dynamic_stack: false
    .vgpr_count:     0
    .vgpr_spill_count: 0
    .wavefront_size: 32
    .workgroup_processor_mode: 1
  - .args:
      - .offset:         0
        .size:           56
        .value_kind:     by_value
    .group_segment_fixed_size: 0
    .kernarg_segment_align: 8
    .kernarg_segment_size: 56
    .language:       OpenCL C
    .language_version:
      - 2
      - 0
    .max_flat_workgroup_size: 256
    .name:           _ZN7rocprim17ROCPRIM_400000_NS6detail17trampoline_kernelINS0_14default_configENS1_27upper_bound_config_selectorIslEEZNS1_14transform_implILb0ES3_S5_N6thrust23THRUST_200600_302600_NS17counting_iteratorIsNS8_11use_defaultESA_SA_EEPlZNS1_13binary_searchIS3_S5_PsSB_SC_NS1_21upper_bound_search_opENS8_6detail16wrapped_functionINS0_4lessIvEEbEEEE10hipError_tPvRmT1_T2_T3_mmT4_T5_P12ihipStream_tbEUlRKsE_EESL_SP_SQ_mSR_SU_bEUlT_E_NS1_11comp_targetILNS1_3genE10ELNS1_11target_archE1201ELNS1_3gpuE5ELNS1_3repE0EEENS1_30default_config_static_selectorELNS0_4arch9wavefront6targetE0EEEvSO_
    .private_segment_fixed_size: 0
    .sgpr_count:     0
    .sgpr_spill_count: 0
    .symbol:         _ZN7rocprim17ROCPRIM_400000_NS6detail17trampoline_kernelINS0_14default_configENS1_27upper_bound_config_selectorIslEEZNS1_14transform_implILb0ES3_S5_N6thrust23THRUST_200600_302600_NS17counting_iteratorIsNS8_11use_defaultESA_SA_EEPlZNS1_13binary_searchIS3_S5_PsSB_SC_NS1_21upper_bound_search_opENS8_6detail16wrapped_functionINS0_4lessIvEEbEEEE10hipError_tPvRmT1_T2_T3_mmT4_T5_P12ihipStream_tbEUlRKsE_EESL_SP_SQ_mSR_SU_bEUlT_E_NS1_11comp_targetILNS1_3genE10ELNS1_11target_archE1201ELNS1_3gpuE5ELNS1_3repE0EEENS1_30default_config_static_selectorELNS0_4arch9wavefront6targetE0EEEvSO_.kd
    .uniform_work_group_size: 1
    .uses_dynamic_stack: false
    .vgpr_count:     0
    .vgpr_spill_count: 0
    .wavefront_size: 32
    .workgroup_processor_mode: 1
  - .args:
      - .offset:         0
        .size:           56
        .value_kind:     by_value
    .group_segment_fixed_size: 0
    .kernarg_segment_align: 8
    .kernarg_segment_size: 56
    .language:       OpenCL C
    .language_version:
      - 2
      - 0
    .max_flat_workgroup_size: 256
    .name:           _ZN7rocprim17ROCPRIM_400000_NS6detail17trampoline_kernelINS0_14default_configENS1_27upper_bound_config_selectorIslEEZNS1_14transform_implILb0ES3_S5_N6thrust23THRUST_200600_302600_NS17counting_iteratorIsNS8_11use_defaultESA_SA_EEPlZNS1_13binary_searchIS3_S5_PsSB_SC_NS1_21upper_bound_search_opENS8_6detail16wrapped_functionINS0_4lessIvEEbEEEE10hipError_tPvRmT1_T2_T3_mmT4_T5_P12ihipStream_tbEUlRKsE_EESL_SP_SQ_mSR_SU_bEUlT_E_NS1_11comp_targetILNS1_3genE10ELNS1_11target_archE1200ELNS1_3gpuE4ELNS1_3repE0EEENS1_30default_config_static_selectorELNS0_4arch9wavefront6targetE0EEEvSO_
    .private_segment_fixed_size: 0
    .sgpr_count:     0
    .sgpr_spill_count: 0
    .symbol:         _ZN7rocprim17ROCPRIM_400000_NS6detail17trampoline_kernelINS0_14default_configENS1_27upper_bound_config_selectorIslEEZNS1_14transform_implILb0ES3_S5_N6thrust23THRUST_200600_302600_NS17counting_iteratorIsNS8_11use_defaultESA_SA_EEPlZNS1_13binary_searchIS3_S5_PsSB_SC_NS1_21upper_bound_search_opENS8_6detail16wrapped_functionINS0_4lessIvEEbEEEE10hipError_tPvRmT1_T2_T3_mmT4_T5_P12ihipStream_tbEUlRKsE_EESL_SP_SQ_mSR_SU_bEUlT_E_NS1_11comp_targetILNS1_3genE10ELNS1_11target_archE1200ELNS1_3gpuE4ELNS1_3repE0EEENS1_30default_config_static_selectorELNS0_4arch9wavefront6targetE0EEEvSO_.kd
    .uniform_work_group_size: 1
    .uses_dynamic_stack: false
    .vgpr_count:     0
    .vgpr_spill_count: 0
    .wavefront_size: 32
    .workgroup_processor_mode: 1
  - .args:
      - .offset:         0
        .size:           56
        .value_kind:     by_value
      - .offset:         56
        .size:           4
        .value_kind:     hidden_block_count_x
      - .offset:         60
        .size:           4
        .value_kind:     hidden_block_count_y
      - .offset:         64
        .size:           4
        .value_kind:     hidden_block_count_z
      - .offset:         68
        .size:           2
        .value_kind:     hidden_group_size_x
      - .offset:         70
        .size:           2
        .value_kind:     hidden_group_size_y
      - .offset:         72
        .size:           2
        .value_kind:     hidden_group_size_z
      - .offset:         74
        .size:           2
        .value_kind:     hidden_remainder_x
      - .offset:         76
        .size:           2
        .value_kind:     hidden_remainder_y
      - .offset:         78
        .size:           2
        .value_kind:     hidden_remainder_z
      - .offset:         96
        .size:           8
        .value_kind:     hidden_global_offset_x
      - .offset:         104
        .size:           8
        .value_kind:     hidden_global_offset_y
      - .offset:         112
        .size:           8
        .value_kind:     hidden_global_offset_z
      - .offset:         120
        .size:           2
        .value_kind:     hidden_grid_dims
    .group_segment_fixed_size: 0
    .kernarg_segment_align: 8
    .kernarg_segment_size: 312
    .language:       OpenCL C
    .language_version:
      - 2
      - 0
    .max_flat_workgroup_size: 64
    .name:           _ZN7rocprim17ROCPRIM_400000_NS6detail17trampoline_kernelINS0_14default_configENS1_27upper_bound_config_selectorIslEEZNS1_14transform_implILb0ES3_S5_N6thrust23THRUST_200600_302600_NS17counting_iteratorIsNS8_11use_defaultESA_SA_EEPlZNS1_13binary_searchIS3_S5_PsSB_SC_NS1_21upper_bound_search_opENS8_6detail16wrapped_functionINS0_4lessIvEEbEEEE10hipError_tPvRmT1_T2_T3_mmT4_T5_P12ihipStream_tbEUlRKsE_EESL_SP_SQ_mSR_SU_bEUlT_E_NS1_11comp_targetILNS1_3genE9ELNS1_11target_archE1100ELNS1_3gpuE3ELNS1_3repE0EEENS1_30default_config_static_selectorELNS0_4arch9wavefront6targetE0EEEvSO_
    .private_segment_fixed_size: 0
    .sgpr_count:     29
    .sgpr_spill_count: 0
    .symbol:         _ZN7rocprim17ROCPRIM_400000_NS6detail17trampoline_kernelINS0_14default_configENS1_27upper_bound_config_selectorIslEEZNS1_14transform_implILb0ES3_S5_N6thrust23THRUST_200600_302600_NS17counting_iteratorIsNS8_11use_defaultESA_SA_EEPlZNS1_13binary_searchIS3_S5_PsSB_SC_NS1_21upper_bound_search_opENS8_6detail16wrapped_functionINS0_4lessIvEEbEEEE10hipError_tPvRmT1_T2_T3_mmT4_T5_P12ihipStream_tbEUlRKsE_EESL_SP_SQ_mSR_SU_bEUlT_E_NS1_11comp_targetILNS1_3genE9ELNS1_11target_archE1100ELNS1_3gpuE3ELNS1_3repE0EEENS1_30default_config_static_selectorELNS0_4arch9wavefront6targetE0EEEvSO_.kd
    .uniform_work_group_size: 1
    .uses_dynamic_stack: false
    .vgpr_count:     41
    .vgpr_spill_count: 0
    .wavefront_size: 32
    .workgroup_processor_mode: 1
  - .args:
      - .offset:         0
        .size:           56
        .value_kind:     by_value
    .group_segment_fixed_size: 0
    .kernarg_segment_align: 8
    .kernarg_segment_size: 56
    .language:       OpenCL C
    .language_version:
      - 2
      - 0
    .max_flat_workgroup_size: 128
    .name:           _ZN7rocprim17ROCPRIM_400000_NS6detail17trampoline_kernelINS0_14default_configENS1_27upper_bound_config_selectorIslEEZNS1_14transform_implILb0ES3_S5_N6thrust23THRUST_200600_302600_NS17counting_iteratorIsNS8_11use_defaultESA_SA_EEPlZNS1_13binary_searchIS3_S5_PsSB_SC_NS1_21upper_bound_search_opENS8_6detail16wrapped_functionINS0_4lessIvEEbEEEE10hipError_tPvRmT1_T2_T3_mmT4_T5_P12ihipStream_tbEUlRKsE_EESL_SP_SQ_mSR_SU_bEUlT_E_NS1_11comp_targetILNS1_3genE8ELNS1_11target_archE1030ELNS1_3gpuE2ELNS1_3repE0EEENS1_30default_config_static_selectorELNS0_4arch9wavefront6targetE0EEEvSO_
    .private_segment_fixed_size: 0
    .sgpr_count:     0
    .sgpr_spill_count: 0
    .symbol:         _ZN7rocprim17ROCPRIM_400000_NS6detail17trampoline_kernelINS0_14default_configENS1_27upper_bound_config_selectorIslEEZNS1_14transform_implILb0ES3_S5_N6thrust23THRUST_200600_302600_NS17counting_iteratorIsNS8_11use_defaultESA_SA_EEPlZNS1_13binary_searchIS3_S5_PsSB_SC_NS1_21upper_bound_search_opENS8_6detail16wrapped_functionINS0_4lessIvEEbEEEE10hipError_tPvRmT1_T2_T3_mmT4_T5_P12ihipStream_tbEUlRKsE_EESL_SP_SQ_mSR_SU_bEUlT_E_NS1_11comp_targetILNS1_3genE8ELNS1_11target_archE1030ELNS1_3gpuE2ELNS1_3repE0EEENS1_30default_config_static_selectorELNS0_4arch9wavefront6targetE0EEEvSO_.kd
    .uniform_work_group_size: 1
    .uses_dynamic_stack: false
    .vgpr_count:     0
    .vgpr_spill_count: 0
    .wavefront_size: 32
    .workgroup_processor_mode: 1
  - .args:
      - .offset:         0
        .size:           16
        .value_kind:     by_value
      - .offset:         16
        .size:           8
        .value_kind:     by_value
      - .offset:         24
        .size:           8
        .value_kind:     by_value
    .group_segment_fixed_size: 0
    .kernarg_segment_align: 8
    .kernarg_segment_size: 32
    .language:       OpenCL C
    .language_version:
      - 2
      - 0
    .max_flat_workgroup_size: 256
    .name:           _ZN6thrust23THRUST_200600_302600_NS11hip_rocprim14__parallel_for6kernelILj256ENS1_20__uninitialized_fill7functorINS0_10device_ptrIbEEbEEmLj1EEEvT0_T1_SA_
    .private_segment_fixed_size: 0
    .sgpr_count:     18
    .sgpr_spill_count: 0
    .symbol:         _ZN6thrust23THRUST_200600_302600_NS11hip_rocprim14__parallel_for6kernelILj256ENS1_20__uninitialized_fill7functorINS0_10device_ptrIbEEbEEmLj1EEEvT0_T1_SA_.kd
    .uniform_work_group_size: 1
    .uses_dynamic_stack: false
    .vgpr_count:     3
    .vgpr_spill_count: 0
    .wavefront_size: 32
    .workgroup_processor_mode: 1
  - .args:
      - .offset:         0
        .size:           8
        .value_kind:     by_value
      - .address_space:  global
        .offset:         8
        .size:           8
        .value_kind:     global_buffer
      - .address_space:  global
        .offset:         16
        .size:           8
        .value_kind:     global_buffer
    .group_segment_fixed_size: 0
    .kernarg_segment_align: 8
    .kernarg_segment_size: 24
    .language:       OpenCL C
    .language_version:
      - 2
      - 0
    .max_flat_workgroup_size: 256
    .name:           _Z20binary_search_kernelIdEvmPT_Pb
    .private_segment_fixed_size: 0
    .sgpr_count:     20
    .sgpr_spill_count: 0
    .symbol:         _Z20binary_search_kernelIdEvmPT_Pb.kd
    .uniform_work_group_size: 1
    .uses_dynamic_stack: false
    .vgpr_count:     7
    .vgpr_spill_count: 0
    .wavefront_size: 32
    .workgroup_processor_mode: 1
  - .args:
      - .offset:         0
        .size:           56
        .value_kind:     by_value
    .group_segment_fixed_size: 0
    .kernarg_segment_align: 8
    .kernarg_segment_size: 56
    .language:       OpenCL C
    .language_version:
      - 2
      - 0
    .max_flat_workgroup_size: 128
    .name:           _ZN7rocprim17ROCPRIM_400000_NS6detail17trampoline_kernelINS0_14default_configENS1_29binary_search_config_selectorIdbEEZNS1_14transform_implILb0ES3_S5_N6thrust23THRUST_200600_302600_NS17counting_iteratorIdNS8_11use_defaultESA_SA_EEPbZNS1_13binary_searchIS3_S5_PdSB_SC_NS1_16binary_search_opENS8_6detail16wrapped_functionINS0_4lessIvEEbEEEE10hipError_tPvRmT1_T2_T3_mmT4_T5_P12ihipStream_tbEUlRKdE_EESL_SP_SQ_mSR_SU_bEUlT_E_NS1_11comp_targetILNS1_3genE0ELNS1_11target_archE4294967295ELNS1_3gpuE0ELNS1_3repE0EEENS1_30default_config_static_selectorELNS0_4arch9wavefront6targetE0EEEvSO_
    .private_segment_fixed_size: 0
    .sgpr_count:     0
    .sgpr_spill_count: 0
    .symbol:         _ZN7rocprim17ROCPRIM_400000_NS6detail17trampoline_kernelINS0_14default_configENS1_29binary_search_config_selectorIdbEEZNS1_14transform_implILb0ES3_S5_N6thrust23THRUST_200600_302600_NS17counting_iteratorIdNS8_11use_defaultESA_SA_EEPbZNS1_13binary_searchIS3_S5_PdSB_SC_NS1_16binary_search_opENS8_6detail16wrapped_functionINS0_4lessIvEEbEEEE10hipError_tPvRmT1_T2_T3_mmT4_T5_P12ihipStream_tbEUlRKdE_EESL_SP_SQ_mSR_SU_bEUlT_E_NS1_11comp_targetILNS1_3genE0ELNS1_11target_archE4294967295ELNS1_3gpuE0ELNS1_3repE0EEENS1_30default_config_static_selectorELNS0_4arch9wavefront6targetE0EEEvSO_.kd
    .uniform_work_group_size: 1
    .uses_dynamic_stack: false
    .vgpr_count:     0
    .vgpr_spill_count: 0
    .wavefront_size: 32
    .workgroup_processor_mode: 1
  - .args:
      - .offset:         0
        .size:           56
        .value_kind:     by_value
    .group_segment_fixed_size: 0
    .kernarg_segment_align: 8
    .kernarg_segment_size: 56
    .language:       OpenCL C
    .language_version:
      - 2
      - 0
    .max_flat_workgroup_size: 256
    .name:           _ZN7rocprim17ROCPRIM_400000_NS6detail17trampoline_kernelINS0_14default_configENS1_29binary_search_config_selectorIdbEEZNS1_14transform_implILb0ES3_S5_N6thrust23THRUST_200600_302600_NS17counting_iteratorIdNS8_11use_defaultESA_SA_EEPbZNS1_13binary_searchIS3_S5_PdSB_SC_NS1_16binary_search_opENS8_6detail16wrapped_functionINS0_4lessIvEEbEEEE10hipError_tPvRmT1_T2_T3_mmT4_T5_P12ihipStream_tbEUlRKdE_EESL_SP_SQ_mSR_SU_bEUlT_E_NS1_11comp_targetILNS1_3genE5ELNS1_11target_archE942ELNS1_3gpuE9ELNS1_3repE0EEENS1_30default_config_static_selectorELNS0_4arch9wavefront6targetE0EEEvSO_
    .private_segment_fixed_size: 0
    .sgpr_count:     0
    .sgpr_spill_count: 0
    .symbol:         _ZN7rocprim17ROCPRIM_400000_NS6detail17trampoline_kernelINS0_14default_configENS1_29binary_search_config_selectorIdbEEZNS1_14transform_implILb0ES3_S5_N6thrust23THRUST_200600_302600_NS17counting_iteratorIdNS8_11use_defaultESA_SA_EEPbZNS1_13binary_searchIS3_S5_PdSB_SC_NS1_16binary_search_opENS8_6detail16wrapped_functionINS0_4lessIvEEbEEEE10hipError_tPvRmT1_T2_T3_mmT4_T5_P12ihipStream_tbEUlRKdE_EESL_SP_SQ_mSR_SU_bEUlT_E_NS1_11comp_targetILNS1_3genE5ELNS1_11target_archE942ELNS1_3gpuE9ELNS1_3repE0EEENS1_30default_config_static_selectorELNS0_4arch9wavefront6targetE0EEEvSO_.kd
    .uniform_work_group_size: 1
    .uses_dynamic_stack: false
    .vgpr_count:     0
    .vgpr_spill_count: 0
    .wavefront_size: 32
    .workgroup_processor_mode: 1
  - .args:
      - .offset:         0
        .size:           56
        .value_kind:     by_value
    .group_segment_fixed_size: 0
    .kernarg_segment_align: 8
    .kernarg_segment_size: 56
    .language:       OpenCL C
    .language_version:
      - 2
      - 0
    .max_flat_workgroup_size: 64
    .name:           _ZN7rocprim17ROCPRIM_400000_NS6detail17trampoline_kernelINS0_14default_configENS1_29binary_search_config_selectorIdbEEZNS1_14transform_implILb0ES3_S5_N6thrust23THRUST_200600_302600_NS17counting_iteratorIdNS8_11use_defaultESA_SA_EEPbZNS1_13binary_searchIS3_S5_PdSB_SC_NS1_16binary_search_opENS8_6detail16wrapped_functionINS0_4lessIvEEbEEEE10hipError_tPvRmT1_T2_T3_mmT4_T5_P12ihipStream_tbEUlRKdE_EESL_SP_SQ_mSR_SU_bEUlT_E_NS1_11comp_targetILNS1_3genE4ELNS1_11target_archE910ELNS1_3gpuE8ELNS1_3repE0EEENS1_30default_config_static_selectorELNS0_4arch9wavefront6targetE0EEEvSO_
    .private_segment_fixed_size: 0
    .sgpr_count:     0
    .sgpr_spill_count: 0
    .symbol:         _ZN7rocprim17ROCPRIM_400000_NS6detail17trampoline_kernelINS0_14default_configENS1_29binary_search_config_selectorIdbEEZNS1_14transform_implILb0ES3_S5_N6thrust23THRUST_200600_302600_NS17counting_iteratorIdNS8_11use_defaultESA_SA_EEPbZNS1_13binary_searchIS3_S5_PdSB_SC_NS1_16binary_search_opENS8_6detail16wrapped_functionINS0_4lessIvEEbEEEE10hipError_tPvRmT1_T2_T3_mmT4_T5_P12ihipStream_tbEUlRKdE_EESL_SP_SQ_mSR_SU_bEUlT_E_NS1_11comp_targetILNS1_3genE4ELNS1_11target_archE910ELNS1_3gpuE8ELNS1_3repE0EEENS1_30default_config_static_selectorELNS0_4arch9wavefront6targetE0EEEvSO_.kd
    .uniform_work_group_size: 1
    .uses_dynamic_stack: false
    .vgpr_count:     0
    .vgpr_spill_count: 0
    .wavefront_size: 32
    .workgroup_processor_mode: 1
  - .args:
      - .offset:         0
        .size:           56
        .value_kind:     by_value
    .group_segment_fixed_size: 0
    .kernarg_segment_align: 8
    .kernarg_segment_size: 56
    .language:       OpenCL C
    .language_version:
      - 2
      - 0
    .max_flat_workgroup_size: 128
    .name:           _ZN7rocprim17ROCPRIM_400000_NS6detail17trampoline_kernelINS0_14default_configENS1_29binary_search_config_selectorIdbEEZNS1_14transform_implILb0ES3_S5_N6thrust23THRUST_200600_302600_NS17counting_iteratorIdNS8_11use_defaultESA_SA_EEPbZNS1_13binary_searchIS3_S5_PdSB_SC_NS1_16binary_search_opENS8_6detail16wrapped_functionINS0_4lessIvEEbEEEE10hipError_tPvRmT1_T2_T3_mmT4_T5_P12ihipStream_tbEUlRKdE_EESL_SP_SQ_mSR_SU_bEUlT_E_NS1_11comp_targetILNS1_3genE3ELNS1_11target_archE908ELNS1_3gpuE7ELNS1_3repE0EEENS1_30default_config_static_selectorELNS0_4arch9wavefront6targetE0EEEvSO_
    .private_segment_fixed_size: 0
    .sgpr_count:     0
    .sgpr_spill_count: 0
    .symbol:         _ZN7rocprim17ROCPRIM_400000_NS6detail17trampoline_kernelINS0_14default_configENS1_29binary_search_config_selectorIdbEEZNS1_14transform_implILb0ES3_S5_N6thrust23THRUST_200600_302600_NS17counting_iteratorIdNS8_11use_defaultESA_SA_EEPbZNS1_13binary_searchIS3_S5_PdSB_SC_NS1_16binary_search_opENS8_6detail16wrapped_functionINS0_4lessIvEEbEEEE10hipError_tPvRmT1_T2_T3_mmT4_T5_P12ihipStream_tbEUlRKdE_EESL_SP_SQ_mSR_SU_bEUlT_E_NS1_11comp_targetILNS1_3genE3ELNS1_11target_archE908ELNS1_3gpuE7ELNS1_3repE0EEENS1_30default_config_static_selectorELNS0_4arch9wavefront6targetE0EEEvSO_.kd
    .uniform_work_group_size: 1
    .uses_dynamic_stack: false
    .vgpr_count:     0
    .vgpr_spill_count: 0
    .wavefront_size: 32
    .workgroup_processor_mode: 1
  - .args:
      - .offset:         0
        .size:           56
        .value_kind:     by_value
    .group_segment_fixed_size: 0
    .kernarg_segment_align: 8
    .kernarg_segment_size: 56
    .language:       OpenCL C
    .language_version:
      - 2
      - 0
    .max_flat_workgroup_size: 256
    .name:           _ZN7rocprim17ROCPRIM_400000_NS6detail17trampoline_kernelINS0_14default_configENS1_29binary_search_config_selectorIdbEEZNS1_14transform_implILb0ES3_S5_N6thrust23THRUST_200600_302600_NS17counting_iteratorIdNS8_11use_defaultESA_SA_EEPbZNS1_13binary_searchIS3_S5_PdSB_SC_NS1_16binary_search_opENS8_6detail16wrapped_functionINS0_4lessIvEEbEEEE10hipError_tPvRmT1_T2_T3_mmT4_T5_P12ihipStream_tbEUlRKdE_EESL_SP_SQ_mSR_SU_bEUlT_E_NS1_11comp_targetILNS1_3genE2ELNS1_11target_archE906ELNS1_3gpuE6ELNS1_3repE0EEENS1_30default_config_static_selectorELNS0_4arch9wavefront6targetE0EEEvSO_
    .private_segment_fixed_size: 0
    .sgpr_count:     0
    .sgpr_spill_count: 0
    .symbol:         _ZN7rocprim17ROCPRIM_400000_NS6detail17trampoline_kernelINS0_14default_configENS1_29binary_search_config_selectorIdbEEZNS1_14transform_implILb0ES3_S5_N6thrust23THRUST_200600_302600_NS17counting_iteratorIdNS8_11use_defaultESA_SA_EEPbZNS1_13binary_searchIS3_S5_PdSB_SC_NS1_16binary_search_opENS8_6detail16wrapped_functionINS0_4lessIvEEbEEEE10hipError_tPvRmT1_T2_T3_mmT4_T5_P12ihipStream_tbEUlRKdE_EESL_SP_SQ_mSR_SU_bEUlT_E_NS1_11comp_targetILNS1_3genE2ELNS1_11target_archE906ELNS1_3gpuE6ELNS1_3repE0EEENS1_30default_config_static_selectorELNS0_4arch9wavefront6targetE0EEEvSO_.kd
    .uniform_work_group_size: 1
    .uses_dynamic_stack: false
    .vgpr_count:     0
    .vgpr_spill_count: 0
    .wavefront_size: 32
    .workgroup_processor_mode: 1
  - .args:
      - .offset:         0
        .size:           56
        .value_kind:     by_value
    .group_segment_fixed_size: 0
    .kernarg_segment_align: 8
    .kernarg_segment_size: 56
    .language:       OpenCL C
    .language_version:
      - 2
      - 0
    .max_flat_workgroup_size: 256
    .name:           _ZN7rocprim17ROCPRIM_400000_NS6detail17trampoline_kernelINS0_14default_configENS1_29binary_search_config_selectorIdbEEZNS1_14transform_implILb0ES3_S5_N6thrust23THRUST_200600_302600_NS17counting_iteratorIdNS8_11use_defaultESA_SA_EEPbZNS1_13binary_searchIS3_S5_PdSB_SC_NS1_16binary_search_opENS8_6detail16wrapped_functionINS0_4lessIvEEbEEEE10hipError_tPvRmT1_T2_T3_mmT4_T5_P12ihipStream_tbEUlRKdE_EESL_SP_SQ_mSR_SU_bEUlT_E_NS1_11comp_targetILNS1_3genE10ELNS1_11target_archE1201ELNS1_3gpuE5ELNS1_3repE0EEENS1_30default_config_static_selectorELNS0_4arch9wavefront6targetE0EEEvSO_
    .private_segment_fixed_size: 0
    .sgpr_count:     0
    .sgpr_spill_count: 0
    .symbol:         _ZN7rocprim17ROCPRIM_400000_NS6detail17trampoline_kernelINS0_14default_configENS1_29binary_search_config_selectorIdbEEZNS1_14transform_implILb0ES3_S5_N6thrust23THRUST_200600_302600_NS17counting_iteratorIdNS8_11use_defaultESA_SA_EEPbZNS1_13binary_searchIS3_S5_PdSB_SC_NS1_16binary_search_opENS8_6detail16wrapped_functionINS0_4lessIvEEbEEEE10hipError_tPvRmT1_T2_T3_mmT4_T5_P12ihipStream_tbEUlRKdE_EESL_SP_SQ_mSR_SU_bEUlT_E_NS1_11comp_targetILNS1_3genE10ELNS1_11target_archE1201ELNS1_3gpuE5ELNS1_3repE0EEENS1_30default_config_static_selectorELNS0_4arch9wavefront6targetE0EEEvSO_.kd
    .uniform_work_group_size: 1
    .uses_dynamic_stack: false
    .vgpr_count:     0
    .vgpr_spill_count: 0
    .wavefront_size: 32
    .workgroup_processor_mode: 1
  - .args:
      - .offset:         0
        .size:           56
        .value_kind:     by_value
    .group_segment_fixed_size: 0
    .kernarg_segment_align: 8
    .kernarg_segment_size: 56
    .language:       OpenCL C
    .language_version:
      - 2
      - 0
    .max_flat_workgroup_size: 128
    .name:           _ZN7rocprim17ROCPRIM_400000_NS6detail17trampoline_kernelINS0_14default_configENS1_29binary_search_config_selectorIdbEEZNS1_14transform_implILb0ES3_S5_N6thrust23THRUST_200600_302600_NS17counting_iteratorIdNS8_11use_defaultESA_SA_EEPbZNS1_13binary_searchIS3_S5_PdSB_SC_NS1_16binary_search_opENS8_6detail16wrapped_functionINS0_4lessIvEEbEEEE10hipError_tPvRmT1_T2_T3_mmT4_T5_P12ihipStream_tbEUlRKdE_EESL_SP_SQ_mSR_SU_bEUlT_E_NS1_11comp_targetILNS1_3genE10ELNS1_11target_archE1200ELNS1_3gpuE4ELNS1_3repE0EEENS1_30default_config_static_selectorELNS0_4arch9wavefront6targetE0EEEvSO_
    .private_segment_fixed_size: 0
    .sgpr_count:     0
    .sgpr_spill_count: 0
    .symbol:         _ZN7rocprim17ROCPRIM_400000_NS6detail17trampoline_kernelINS0_14default_configENS1_29binary_search_config_selectorIdbEEZNS1_14transform_implILb0ES3_S5_N6thrust23THRUST_200600_302600_NS17counting_iteratorIdNS8_11use_defaultESA_SA_EEPbZNS1_13binary_searchIS3_S5_PdSB_SC_NS1_16binary_search_opENS8_6detail16wrapped_functionINS0_4lessIvEEbEEEE10hipError_tPvRmT1_T2_T3_mmT4_T5_P12ihipStream_tbEUlRKdE_EESL_SP_SQ_mSR_SU_bEUlT_E_NS1_11comp_targetILNS1_3genE10ELNS1_11target_archE1200ELNS1_3gpuE4ELNS1_3repE0EEENS1_30default_config_static_selectorELNS0_4arch9wavefront6targetE0EEEvSO_.kd
    .uniform_work_group_size: 1
    .uses_dynamic_stack: false
    .vgpr_count:     0
    .vgpr_spill_count: 0
    .wavefront_size: 32
    .workgroup_processor_mode: 1
  - .args:
      - .offset:         0
        .size:           56
        .value_kind:     by_value
      - .offset:         56
        .size:           4
        .value_kind:     hidden_block_count_x
      - .offset:         60
        .size:           4
        .value_kind:     hidden_block_count_y
      - .offset:         64
        .size:           4
        .value_kind:     hidden_block_count_z
      - .offset:         68
        .size:           2
        .value_kind:     hidden_group_size_x
      - .offset:         70
        .size:           2
        .value_kind:     hidden_group_size_y
      - .offset:         72
        .size:           2
        .value_kind:     hidden_group_size_z
      - .offset:         74
        .size:           2
        .value_kind:     hidden_remainder_x
      - .offset:         76
        .size:           2
        .value_kind:     hidden_remainder_y
      - .offset:         78
        .size:           2
        .value_kind:     hidden_remainder_z
      - .offset:         96
        .size:           8
        .value_kind:     hidden_global_offset_x
      - .offset:         104
        .size:           8
        .value_kind:     hidden_global_offset_y
      - .offset:         112
        .size:           8
        .value_kind:     hidden_global_offset_z
      - .offset:         120
        .size:           2
        .value_kind:     hidden_grid_dims
    .group_segment_fixed_size: 0
    .kernarg_segment_align: 8
    .kernarg_segment_size: 312
    .language:       OpenCL C
    .language_version:
      - 2
      - 0
    .max_flat_workgroup_size: 64
    .name:           _ZN7rocprim17ROCPRIM_400000_NS6detail17trampoline_kernelINS0_14default_configENS1_29binary_search_config_selectorIdbEEZNS1_14transform_implILb0ES3_S5_N6thrust23THRUST_200600_302600_NS17counting_iteratorIdNS8_11use_defaultESA_SA_EEPbZNS1_13binary_searchIS3_S5_PdSB_SC_NS1_16binary_search_opENS8_6detail16wrapped_functionINS0_4lessIvEEbEEEE10hipError_tPvRmT1_T2_T3_mmT4_T5_P12ihipStream_tbEUlRKdE_EESL_SP_SQ_mSR_SU_bEUlT_E_NS1_11comp_targetILNS1_3genE9ELNS1_11target_archE1100ELNS1_3gpuE3ELNS1_3repE0EEENS1_30default_config_static_selectorELNS0_4arch9wavefront6targetE0EEEvSO_
    .private_segment_fixed_size: 0
    .sgpr_count:     30
    .sgpr_spill_count: 0
    .symbol:         _ZN7rocprim17ROCPRIM_400000_NS6detail17trampoline_kernelINS0_14default_configENS1_29binary_search_config_selectorIdbEEZNS1_14transform_implILb0ES3_S5_N6thrust23THRUST_200600_302600_NS17counting_iteratorIdNS8_11use_defaultESA_SA_EEPbZNS1_13binary_searchIS3_S5_PdSB_SC_NS1_16binary_search_opENS8_6detail16wrapped_functionINS0_4lessIvEEbEEEE10hipError_tPvRmT1_T2_T3_mmT4_T5_P12ihipStream_tbEUlRKdE_EESL_SP_SQ_mSR_SU_bEUlT_E_NS1_11comp_targetILNS1_3genE9ELNS1_11target_archE1100ELNS1_3gpuE3ELNS1_3repE0EEENS1_30default_config_static_selectorELNS0_4arch9wavefront6targetE0EEEvSO_.kd
    .uniform_work_group_size: 1
    .uses_dynamic_stack: false
    .vgpr_count:     27
    .vgpr_spill_count: 0
    .wavefront_size: 32
    .workgroup_processor_mode: 1
  - .args:
      - .offset:         0
        .size:           56
        .value_kind:     by_value
    .group_segment_fixed_size: 0
    .kernarg_segment_align: 8
    .kernarg_segment_size: 56
    .language:       OpenCL C
    .language_version:
      - 2
      - 0
    .max_flat_workgroup_size: 256
    .name:           _ZN7rocprim17ROCPRIM_400000_NS6detail17trampoline_kernelINS0_14default_configENS1_29binary_search_config_selectorIdbEEZNS1_14transform_implILb0ES3_S5_N6thrust23THRUST_200600_302600_NS17counting_iteratorIdNS8_11use_defaultESA_SA_EEPbZNS1_13binary_searchIS3_S5_PdSB_SC_NS1_16binary_search_opENS8_6detail16wrapped_functionINS0_4lessIvEEbEEEE10hipError_tPvRmT1_T2_T3_mmT4_T5_P12ihipStream_tbEUlRKdE_EESL_SP_SQ_mSR_SU_bEUlT_E_NS1_11comp_targetILNS1_3genE8ELNS1_11target_archE1030ELNS1_3gpuE2ELNS1_3repE0EEENS1_30default_config_static_selectorELNS0_4arch9wavefront6targetE0EEEvSO_
    .private_segment_fixed_size: 0
    .sgpr_count:     0
    .sgpr_spill_count: 0
    .symbol:         _ZN7rocprim17ROCPRIM_400000_NS6detail17trampoline_kernelINS0_14default_configENS1_29binary_search_config_selectorIdbEEZNS1_14transform_implILb0ES3_S5_N6thrust23THRUST_200600_302600_NS17counting_iteratorIdNS8_11use_defaultESA_SA_EEPbZNS1_13binary_searchIS3_S5_PdSB_SC_NS1_16binary_search_opENS8_6detail16wrapped_functionINS0_4lessIvEEbEEEE10hipError_tPvRmT1_T2_T3_mmT4_T5_P12ihipStream_tbEUlRKdE_EESL_SP_SQ_mSR_SU_bEUlT_E_NS1_11comp_targetILNS1_3genE8ELNS1_11target_archE1030ELNS1_3gpuE2ELNS1_3repE0EEENS1_30default_config_static_selectorELNS0_4arch9wavefront6targetE0EEEvSO_.kd
    .uniform_work_group_size: 1
    .uses_dynamic_stack: false
    .vgpr_count:     0
    .vgpr_spill_count: 0
    .wavefront_size: 32
    .workgroup_processor_mode: 1
  - .args:
      - .offset:         0
        .size:           8
        .value_kind:     by_value
      - .address_space:  global
        .offset:         8
        .size:           8
        .value_kind:     global_buffer
      - .address_space:  global
        .offset:         16
        .size:           8
        .value_kind:     global_buffer
    .group_segment_fixed_size: 0
    .kernarg_segment_align: 8
    .kernarg_segment_size: 24
    .language:       OpenCL C
    .language_version:
      - 2
      - 0
    .max_flat_workgroup_size: 256
    .name:           _Z20binary_search_kernelIfEvmPT_Pb
    .private_segment_fixed_size: 0
    .sgpr_count:     20
    .sgpr_spill_count: 0
    .symbol:         _Z20binary_search_kernelIfEvmPT_Pb.kd
    .uniform_work_group_size: 1
    .uses_dynamic_stack: false
    .vgpr_count:     6
    .vgpr_spill_count: 0
    .wavefront_size: 32
    .workgroup_processor_mode: 1
  - .args:
      - .offset:         0
        .size:           56
        .value_kind:     by_value
    .group_segment_fixed_size: 0
    .kernarg_segment_align: 8
    .kernarg_segment_size: 56
    .language:       OpenCL C
    .language_version:
      - 2
      - 0
    .max_flat_workgroup_size: 256
    .name:           _ZN7rocprim17ROCPRIM_400000_NS6detail17trampoline_kernelINS0_14default_configENS1_29binary_search_config_selectorIfbEEZNS1_14transform_implILb0ES3_S5_N6thrust23THRUST_200600_302600_NS17counting_iteratorIfNS8_11use_defaultESA_SA_EEPbZNS1_13binary_searchIS3_S5_PfSB_SC_NS1_16binary_search_opENS8_6detail16wrapped_functionINS0_4lessIvEEbEEEE10hipError_tPvRmT1_T2_T3_mmT4_T5_P12ihipStream_tbEUlRKfE_EESL_SP_SQ_mSR_SU_bEUlT_E_NS1_11comp_targetILNS1_3genE0ELNS1_11target_archE4294967295ELNS1_3gpuE0ELNS1_3repE0EEENS1_30default_config_static_selectorELNS0_4arch9wavefront6targetE0EEEvSO_
    .private_segment_fixed_size: 0
    .sgpr_count:     0
    .sgpr_spill_count: 0
    .symbol:         _ZN7rocprim17ROCPRIM_400000_NS6detail17trampoline_kernelINS0_14default_configENS1_29binary_search_config_selectorIfbEEZNS1_14transform_implILb0ES3_S5_N6thrust23THRUST_200600_302600_NS17counting_iteratorIfNS8_11use_defaultESA_SA_EEPbZNS1_13binary_searchIS3_S5_PfSB_SC_NS1_16binary_search_opENS8_6detail16wrapped_functionINS0_4lessIvEEbEEEE10hipError_tPvRmT1_T2_T3_mmT4_T5_P12ihipStream_tbEUlRKfE_EESL_SP_SQ_mSR_SU_bEUlT_E_NS1_11comp_targetILNS1_3genE0ELNS1_11target_archE4294967295ELNS1_3gpuE0ELNS1_3repE0EEENS1_30default_config_static_selectorELNS0_4arch9wavefront6targetE0EEEvSO_.kd
    .uniform_work_group_size: 1
    .uses_dynamic_stack: false
    .vgpr_count:     0
    .vgpr_spill_count: 0
    .wavefront_size: 32
    .workgroup_processor_mode: 1
  - .args:
      - .offset:         0
        .size:           56
        .value_kind:     by_value
    .group_segment_fixed_size: 0
    .kernarg_segment_align: 8
    .kernarg_segment_size: 56
    .language:       OpenCL C
    .language_version:
      - 2
      - 0
    .max_flat_workgroup_size: 128
    .name:           _ZN7rocprim17ROCPRIM_400000_NS6detail17trampoline_kernelINS0_14default_configENS1_29binary_search_config_selectorIfbEEZNS1_14transform_implILb0ES3_S5_N6thrust23THRUST_200600_302600_NS17counting_iteratorIfNS8_11use_defaultESA_SA_EEPbZNS1_13binary_searchIS3_S5_PfSB_SC_NS1_16binary_search_opENS8_6detail16wrapped_functionINS0_4lessIvEEbEEEE10hipError_tPvRmT1_T2_T3_mmT4_T5_P12ihipStream_tbEUlRKfE_EESL_SP_SQ_mSR_SU_bEUlT_E_NS1_11comp_targetILNS1_3genE5ELNS1_11target_archE942ELNS1_3gpuE9ELNS1_3repE0EEENS1_30default_config_static_selectorELNS0_4arch9wavefront6targetE0EEEvSO_
    .private_segment_fixed_size: 0
    .sgpr_count:     0
    .sgpr_spill_count: 0
    .symbol:         _ZN7rocprim17ROCPRIM_400000_NS6detail17trampoline_kernelINS0_14default_configENS1_29binary_search_config_selectorIfbEEZNS1_14transform_implILb0ES3_S5_N6thrust23THRUST_200600_302600_NS17counting_iteratorIfNS8_11use_defaultESA_SA_EEPbZNS1_13binary_searchIS3_S5_PfSB_SC_NS1_16binary_search_opENS8_6detail16wrapped_functionINS0_4lessIvEEbEEEE10hipError_tPvRmT1_T2_T3_mmT4_T5_P12ihipStream_tbEUlRKfE_EESL_SP_SQ_mSR_SU_bEUlT_E_NS1_11comp_targetILNS1_3genE5ELNS1_11target_archE942ELNS1_3gpuE9ELNS1_3repE0EEENS1_30default_config_static_selectorELNS0_4arch9wavefront6targetE0EEEvSO_.kd
    .uniform_work_group_size: 1
    .uses_dynamic_stack: false
    .vgpr_count:     0
    .vgpr_spill_count: 0
    .wavefront_size: 32
    .workgroup_processor_mode: 1
  - .args:
      - .offset:         0
        .size:           56
        .value_kind:     by_value
    .group_segment_fixed_size: 0
    .kernarg_segment_align: 8
    .kernarg_segment_size: 56
    .language:       OpenCL C
    .language_version:
      - 2
      - 0
    .max_flat_workgroup_size: 256
    .name:           _ZN7rocprim17ROCPRIM_400000_NS6detail17trampoline_kernelINS0_14default_configENS1_29binary_search_config_selectorIfbEEZNS1_14transform_implILb0ES3_S5_N6thrust23THRUST_200600_302600_NS17counting_iteratorIfNS8_11use_defaultESA_SA_EEPbZNS1_13binary_searchIS3_S5_PfSB_SC_NS1_16binary_search_opENS8_6detail16wrapped_functionINS0_4lessIvEEbEEEE10hipError_tPvRmT1_T2_T3_mmT4_T5_P12ihipStream_tbEUlRKfE_EESL_SP_SQ_mSR_SU_bEUlT_E_NS1_11comp_targetILNS1_3genE4ELNS1_11target_archE910ELNS1_3gpuE8ELNS1_3repE0EEENS1_30default_config_static_selectorELNS0_4arch9wavefront6targetE0EEEvSO_
    .private_segment_fixed_size: 0
    .sgpr_count:     0
    .sgpr_spill_count: 0
    .symbol:         _ZN7rocprim17ROCPRIM_400000_NS6detail17trampoline_kernelINS0_14default_configENS1_29binary_search_config_selectorIfbEEZNS1_14transform_implILb0ES3_S5_N6thrust23THRUST_200600_302600_NS17counting_iteratorIfNS8_11use_defaultESA_SA_EEPbZNS1_13binary_searchIS3_S5_PfSB_SC_NS1_16binary_search_opENS8_6detail16wrapped_functionINS0_4lessIvEEbEEEE10hipError_tPvRmT1_T2_T3_mmT4_T5_P12ihipStream_tbEUlRKfE_EESL_SP_SQ_mSR_SU_bEUlT_E_NS1_11comp_targetILNS1_3genE4ELNS1_11target_archE910ELNS1_3gpuE8ELNS1_3repE0EEENS1_30default_config_static_selectorELNS0_4arch9wavefront6targetE0EEEvSO_.kd
    .uniform_work_group_size: 1
    .uses_dynamic_stack: false
    .vgpr_count:     0
    .vgpr_spill_count: 0
    .wavefront_size: 32
    .workgroup_processor_mode: 1
  - .args:
      - .offset:         0
        .size:           56
        .value_kind:     by_value
    .group_segment_fixed_size: 0
    .kernarg_segment_align: 8
    .kernarg_segment_size: 56
    .language:       OpenCL C
    .language_version:
      - 2
      - 0
    .max_flat_workgroup_size: 256
    .name:           _ZN7rocprim17ROCPRIM_400000_NS6detail17trampoline_kernelINS0_14default_configENS1_29binary_search_config_selectorIfbEEZNS1_14transform_implILb0ES3_S5_N6thrust23THRUST_200600_302600_NS17counting_iteratorIfNS8_11use_defaultESA_SA_EEPbZNS1_13binary_searchIS3_S5_PfSB_SC_NS1_16binary_search_opENS8_6detail16wrapped_functionINS0_4lessIvEEbEEEE10hipError_tPvRmT1_T2_T3_mmT4_T5_P12ihipStream_tbEUlRKfE_EESL_SP_SQ_mSR_SU_bEUlT_E_NS1_11comp_targetILNS1_3genE3ELNS1_11target_archE908ELNS1_3gpuE7ELNS1_3repE0EEENS1_30default_config_static_selectorELNS0_4arch9wavefront6targetE0EEEvSO_
    .private_segment_fixed_size: 0
    .sgpr_count:     0
    .sgpr_spill_count: 0
    .symbol:         _ZN7rocprim17ROCPRIM_400000_NS6detail17trampoline_kernelINS0_14default_configENS1_29binary_search_config_selectorIfbEEZNS1_14transform_implILb0ES3_S5_N6thrust23THRUST_200600_302600_NS17counting_iteratorIfNS8_11use_defaultESA_SA_EEPbZNS1_13binary_searchIS3_S5_PfSB_SC_NS1_16binary_search_opENS8_6detail16wrapped_functionINS0_4lessIvEEbEEEE10hipError_tPvRmT1_T2_T3_mmT4_T5_P12ihipStream_tbEUlRKfE_EESL_SP_SQ_mSR_SU_bEUlT_E_NS1_11comp_targetILNS1_3genE3ELNS1_11target_archE908ELNS1_3gpuE7ELNS1_3repE0EEENS1_30default_config_static_selectorELNS0_4arch9wavefront6targetE0EEEvSO_.kd
    .uniform_work_group_size: 1
    .uses_dynamic_stack: false
    .vgpr_count:     0
    .vgpr_spill_count: 0
    .wavefront_size: 32
    .workgroup_processor_mode: 1
  - .args:
      - .offset:         0
        .size:           56
        .value_kind:     by_value
    .group_segment_fixed_size: 0
    .kernarg_segment_align: 8
    .kernarg_segment_size: 56
    .language:       OpenCL C
    .language_version:
      - 2
      - 0
    .max_flat_workgroup_size: 256
    .name:           _ZN7rocprim17ROCPRIM_400000_NS6detail17trampoline_kernelINS0_14default_configENS1_29binary_search_config_selectorIfbEEZNS1_14transform_implILb0ES3_S5_N6thrust23THRUST_200600_302600_NS17counting_iteratorIfNS8_11use_defaultESA_SA_EEPbZNS1_13binary_searchIS3_S5_PfSB_SC_NS1_16binary_search_opENS8_6detail16wrapped_functionINS0_4lessIvEEbEEEE10hipError_tPvRmT1_T2_T3_mmT4_T5_P12ihipStream_tbEUlRKfE_EESL_SP_SQ_mSR_SU_bEUlT_E_NS1_11comp_targetILNS1_3genE2ELNS1_11target_archE906ELNS1_3gpuE6ELNS1_3repE0EEENS1_30default_config_static_selectorELNS0_4arch9wavefront6targetE0EEEvSO_
    .private_segment_fixed_size: 0
    .sgpr_count:     0
    .sgpr_spill_count: 0
    .symbol:         _ZN7rocprim17ROCPRIM_400000_NS6detail17trampoline_kernelINS0_14default_configENS1_29binary_search_config_selectorIfbEEZNS1_14transform_implILb0ES3_S5_N6thrust23THRUST_200600_302600_NS17counting_iteratorIfNS8_11use_defaultESA_SA_EEPbZNS1_13binary_searchIS3_S5_PfSB_SC_NS1_16binary_search_opENS8_6detail16wrapped_functionINS0_4lessIvEEbEEEE10hipError_tPvRmT1_T2_T3_mmT4_T5_P12ihipStream_tbEUlRKfE_EESL_SP_SQ_mSR_SU_bEUlT_E_NS1_11comp_targetILNS1_3genE2ELNS1_11target_archE906ELNS1_3gpuE6ELNS1_3repE0EEENS1_30default_config_static_selectorELNS0_4arch9wavefront6targetE0EEEvSO_.kd
    .uniform_work_group_size: 1
    .uses_dynamic_stack: false
    .vgpr_count:     0
    .vgpr_spill_count: 0
    .wavefront_size: 32
    .workgroup_processor_mode: 1
  - .args:
      - .offset:         0
        .size:           56
        .value_kind:     by_value
    .group_segment_fixed_size: 0
    .kernarg_segment_align: 8
    .kernarg_segment_size: 56
    .language:       OpenCL C
    .language_version:
      - 2
      - 0
    .max_flat_workgroup_size: 128
    .name:           _ZN7rocprim17ROCPRIM_400000_NS6detail17trampoline_kernelINS0_14default_configENS1_29binary_search_config_selectorIfbEEZNS1_14transform_implILb0ES3_S5_N6thrust23THRUST_200600_302600_NS17counting_iteratorIfNS8_11use_defaultESA_SA_EEPbZNS1_13binary_searchIS3_S5_PfSB_SC_NS1_16binary_search_opENS8_6detail16wrapped_functionINS0_4lessIvEEbEEEE10hipError_tPvRmT1_T2_T3_mmT4_T5_P12ihipStream_tbEUlRKfE_EESL_SP_SQ_mSR_SU_bEUlT_E_NS1_11comp_targetILNS1_3genE10ELNS1_11target_archE1201ELNS1_3gpuE5ELNS1_3repE0EEENS1_30default_config_static_selectorELNS0_4arch9wavefront6targetE0EEEvSO_
    .private_segment_fixed_size: 0
    .sgpr_count:     0
    .sgpr_spill_count: 0
    .symbol:         _ZN7rocprim17ROCPRIM_400000_NS6detail17trampoline_kernelINS0_14default_configENS1_29binary_search_config_selectorIfbEEZNS1_14transform_implILb0ES3_S5_N6thrust23THRUST_200600_302600_NS17counting_iteratorIfNS8_11use_defaultESA_SA_EEPbZNS1_13binary_searchIS3_S5_PfSB_SC_NS1_16binary_search_opENS8_6detail16wrapped_functionINS0_4lessIvEEbEEEE10hipError_tPvRmT1_T2_T3_mmT4_T5_P12ihipStream_tbEUlRKfE_EESL_SP_SQ_mSR_SU_bEUlT_E_NS1_11comp_targetILNS1_3genE10ELNS1_11target_archE1201ELNS1_3gpuE5ELNS1_3repE0EEENS1_30default_config_static_selectorELNS0_4arch9wavefront6targetE0EEEvSO_.kd
    .uniform_work_group_size: 1
    .uses_dynamic_stack: false
    .vgpr_count:     0
    .vgpr_spill_count: 0
    .wavefront_size: 32
    .workgroup_processor_mode: 1
  - .args:
      - .offset:         0
        .size:           56
        .value_kind:     by_value
    .group_segment_fixed_size: 0
    .kernarg_segment_align: 8
    .kernarg_segment_size: 56
    .language:       OpenCL C
    .language_version:
      - 2
      - 0
    .max_flat_workgroup_size: 128
    .name:           _ZN7rocprim17ROCPRIM_400000_NS6detail17trampoline_kernelINS0_14default_configENS1_29binary_search_config_selectorIfbEEZNS1_14transform_implILb0ES3_S5_N6thrust23THRUST_200600_302600_NS17counting_iteratorIfNS8_11use_defaultESA_SA_EEPbZNS1_13binary_searchIS3_S5_PfSB_SC_NS1_16binary_search_opENS8_6detail16wrapped_functionINS0_4lessIvEEbEEEE10hipError_tPvRmT1_T2_T3_mmT4_T5_P12ihipStream_tbEUlRKfE_EESL_SP_SQ_mSR_SU_bEUlT_E_NS1_11comp_targetILNS1_3genE10ELNS1_11target_archE1200ELNS1_3gpuE4ELNS1_3repE0EEENS1_30default_config_static_selectorELNS0_4arch9wavefront6targetE0EEEvSO_
    .private_segment_fixed_size: 0
    .sgpr_count:     0
    .sgpr_spill_count: 0
    .symbol:         _ZN7rocprim17ROCPRIM_400000_NS6detail17trampoline_kernelINS0_14default_configENS1_29binary_search_config_selectorIfbEEZNS1_14transform_implILb0ES3_S5_N6thrust23THRUST_200600_302600_NS17counting_iteratorIfNS8_11use_defaultESA_SA_EEPbZNS1_13binary_searchIS3_S5_PfSB_SC_NS1_16binary_search_opENS8_6detail16wrapped_functionINS0_4lessIvEEbEEEE10hipError_tPvRmT1_T2_T3_mmT4_T5_P12ihipStream_tbEUlRKfE_EESL_SP_SQ_mSR_SU_bEUlT_E_NS1_11comp_targetILNS1_3genE10ELNS1_11target_archE1200ELNS1_3gpuE4ELNS1_3repE0EEENS1_30default_config_static_selectorELNS0_4arch9wavefront6targetE0EEEvSO_.kd
    .uniform_work_group_size: 1
    .uses_dynamic_stack: false
    .vgpr_count:     0
    .vgpr_spill_count: 0
    .wavefront_size: 32
    .workgroup_processor_mode: 1
  - .args:
      - .offset:         0
        .size:           56
        .value_kind:     by_value
      - .offset:         56
        .size:           4
        .value_kind:     hidden_block_count_x
      - .offset:         60
        .size:           4
        .value_kind:     hidden_block_count_y
      - .offset:         64
        .size:           4
        .value_kind:     hidden_block_count_z
      - .offset:         68
        .size:           2
        .value_kind:     hidden_group_size_x
      - .offset:         70
        .size:           2
        .value_kind:     hidden_group_size_y
      - .offset:         72
        .size:           2
        .value_kind:     hidden_group_size_z
      - .offset:         74
        .size:           2
        .value_kind:     hidden_remainder_x
      - .offset:         76
        .size:           2
        .value_kind:     hidden_remainder_y
      - .offset:         78
        .size:           2
        .value_kind:     hidden_remainder_z
      - .offset:         96
        .size:           8
        .value_kind:     hidden_global_offset_x
      - .offset:         104
        .size:           8
        .value_kind:     hidden_global_offset_y
      - .offset:         112
        .size:           8
        .value_kind:     hidden_global_offset_z
      - .offset:         120
        .size:           2
        .value_kind:     hidden_grid_dims
    .group_segment_fixed_size: 0
    .kernarg_segment_align: 8
    .kernarg_segment_size: 312
    .language:       OpenCL C
    .language_version:
      - 2
      - 0
    .max_flat_workgroup_size: 256
    .name:           _ZN7rocprim17ROCPRIM_400000_NS6detail17trampoline_kernelINS0_14default_configENS1_29binary_search_config_selectorIfbEEZNS1_14transform_implILb0ES3_S5_N6thrust23THRUST_200600_302600_NS17counting_iteratorIfNS8_11use_defaultESA_SA_EEPbZNS1_13binary_searchIS3_S5_PfSB_SC_NS1_16binary_search_opENS8_6detail16wrapped_functionINS0_4lessIvEEbEEEE10hipError_tPvRmT1_T2_T3_mmT4_T5_P12ihipStream_tbEUlRKfE_EESL_SP_SQ_mSR_SU_bEUlT_E_NS1_11comp_targetILNS1_3genE9ELNS1_11target_archE1100ELNS1_3gpuE3ELNS1_3repE0EEENS1_30default_config_static_selectorELNS0_4arch9wavefront6targetE0EEEvSO_
    .private_segment_fixed_size: 0
    .sgpr_count:     18
    .sgpr_spill_count: 0
    .symbol:         _ZN7rocprim17ROCPRIM_400000_NS6detail17trampoline_kernelINS0_14default_configENS1_29binary_search_config_selectorIfbEEZNS1_14transform_implILb0ES3_S5_N6thrust23THRUST_200600_302600_NS17counting_iteratorIfNS8_11use_defaultESA_SA_EEPbZNS1_13binary_searchIS3_S5_PfSB_SC_NS1_16binary_search_opENS8_6detail16wrapped_functionINS0_4lessIvEEbEEEE10hipError_tPvRmT1_T2_T3_mmT4_T5_P12ihipStream_tbEUlRKfE_EESL_SP_SQ_mSR_SU_bEUlT_E_NS1_11comp_targetILNS1_3genE9ELNS1_11target_archE1100ELNS1_3gpuE3ELNS1_3repE0EEENS1_30default_config_static_selectorELNS0_4arch9wavefront6targetE0EEEvSO_.kd
    .uniform_work_group_size: 1
    .uses_dynamic_stack: false
    .vgpr_count:     12
    .vgpr_spill_count: 0
    .wavefront_size: 32
    .workgroup_processor_mode: 1
  - .args:
      - .offset:         0
        .size:           56
        .value_kind:     by_value
    .group_segment_fixed_size: 0
    .kernarg_segment_align: 8
    .kernarg_segment_size: 56
    .language:       OpenCL C
    .language_version:
      - 2
      - 0
    .max_flat_workgroup_size: 256
    .name:           _ZN7rocprim17ROCPRIM_400000_NS6detail17trampoline_kernelINS0_14default_configENS1_29binary_search_config_selectorIfbEEZNS1_14transform_implILb0ES3_S5_N6thrust23THRUST_200600_302600_NS17counting_iteratorIfNS8_11use_defaultESA_SA_EEPbZNS1_13binary_searchIS3_S5_PfSB_SC_NS1_16binary_search_opENS8_6detail16wrapped_functionINS0_4lessIvEEbEEEE10hipError_tPvRmT1_T2_T3_mmT4_T5_P12ihipStream_tbEUlRKfE_EESL_SP_SQ_mSR_SU_bEUlT_E_NS1_11comp_targetILNS1_3genE8ELNS1_11target_archE1030ELNS1_3gpuE2ELNS1_3repE0EEENS1_30default_config_static_selectorELNS0_4arch9wavefront6targetE0EEEvSO_
    .private_segment_fixed_size: 0
    .sgpr_count:     0
    .sgpr_spill_count: 0
    .symbol:         _ZN7rocprim17ROCPRIM_400000_NS6detail17trampoline_kernelINS0_14default_configENS1_29binary_search_config_selectorIfbEEZNS1_14transform_implILb0ES3_S5_N6thrust23THRUST_200600_302600_NS17counting_iteratorIfNS8_11use_defaultESA_SA_EEPbZNS1_13binary_searchIS3_S5_PfSB_SC_NS1_16binary_search_opENS8_6detail16wrapped_functionINS0_4lessIvEEbEEEE10hipError_tPvRmT1_T2_T3_mmT4_T5_P12ihipStream_tbEUlRKfE_EESL_SP_SQ_mSR_SU_bEUlT_E_NS1_11comp_targetILNS1_3genE8ELNS1_11target_archE1030ELNS1_3gpuE2ELNS1_3repE0EEENS1_30default_config_static_selectorELNS0_4arch9wavefront6targetE0EEEvSO_.kd
    .uniform_work_group_size: 1
    .uses_dynamic_stack: false
    .vgpr_count:     0
    .vgpr_spill_count: 0
    .wavefront_size: 32
    .workgroup_processor_mode: 1
  - .args:
      - .offset:         0
        .size:           8
        .value_kind:     by_value
      - .address_space:  global
        .offset:         8
        .size:           8
        .value_kind:     global_buffer
      - .address_space:  global
        .offset:         16
        .size:           8
        .value_kind:     global_buffer
    .group_segment_fixed_size: 0
    .kernarg_segment_align: 8
    .kernarg_segment_size: 24
    .language:       OpenCL C
    .language_version:
      - 2
      - 0
    .max_flat_workgroup_size: 256
    .name:           _Z20binary_search_kernelIyEvmPT_Pb
    .private_segment_fixed_size: 0
    .sgpr_count:     20
    .sgpr_spill_count: 0
    .symbol:         _Z20binary_search_kernelIyEvmPT_Pb.kd
    .uniform_work_group_size: 1
    .uses_dynamic_stack: false
    .vgpr_count:     2
    .vgpr_spill_count: 0
    .wavefront_size: 32
    .workgroup_processor_mode: 1
  - .args:
      - .offset:         0
        .size:           56
        .value_kind:     by_value
    .group_segment_fixed_size: 0
    .kernarg_segment_align: 8
    .kernarg_segment_size: 56
    .language:       OpenCL C
    .language_version:
      - 2
      - 0
    .max_flat_workgroup_size: 256
    .name:           _ZN7rocprim17ROCPRIM_400000_NS6detail17trampoline_kernelINS0_14default_configENS1_29binary_search_config_selectorIybEEZNS1_14transform_implILb0ES3_S5_N6thrust23THRUST_200600_302600_NS17counting_iteratorIyNS8_11use_defaultESA_SA_EEPbZNS1_13binary_searchIS3_S5_PySB_SC_NS1_16binary_search_opENS8_6detail16wrapped_functionINS0_4lessIvEEbEEEE10hipError_tPvRmT1_T2_T3_mmT4_T5_P12ihipStream_tbEUlRKyE_EESL_SP_SQ_mSR_SU_bEUlT_E_NS1_11comp_targetILNS1_3genE0ELNS1_11target_archE4294967295ELNS1_3gpuE0ELNS1_3repE0EEENS1_30default_config_static_selectorELNS0_4arch9wavefront6targetE0EEEvSO_
    .private_segment_fixed_size: 0
    .sgpr_count:     0
    .sgpr_spill_count: 0
    .symbol:         _ZN7rocprim17ROCPRIM_400000_NS6detail17trampoline_kernelINS0_14default_configENS1_29binary_search_config_selectorIybEEZNS1_14transform_implILb0ES3_S5_N6thrust23THRUST_200600_302600_NS17counting_iteratorIyNS8_11use_defaultESA_SA_EEPbZNS1_13binary_searchIS3_S5_PySB_SC_NS1_16binary_search_opENS8_6detail16wrapped_functionINS0_4lessIvEEbEEEE10hipError_tPvRmT1_T2_T3_mmT4_T5_P12ihipStream_tbEUlRKyE_EESL_SP_SQ_mSR_SU_bEUlT_E_NS1_11comp_targetILNS1_3genE0ELNS1_11target_archE4294967295ELNS1_3gpuE0ELNS1_3repE0EEENS1_30default_config_static_selectorELNS0_4arch9wavefront6targetE0EEEvSO_.kd
    .uniform_work_group_size: 1
    .uses_dynamic_stack: false
    .vgpr_count:     0
    .vgpr_spill_count: 0
    .wavefront_size: 32
    .workgroup_processor_mode: 1
  - .args:
      - .offset:         0
        .size:           56
        .value_kind:     by_value
    .group_segment_fixed_size: 0
    .kernarg_segment_align: 8
    .kernarg_segment_size: 56
    .language:       OpenCL C
    .language_version:
      - 2
      - 0
    .max_flat_workgroup_size: 64
    .name:           _ZN7rocprim17ROCPRIM_400000_NS6detail17trampoline_kernelINS0_14default_configENS1_29binary_search_config_selectorIybEEZNS1_14transform_implILb0ES3_S5_N6thrust23THRUST_200600_302600_NS17counting_iteratorIyNS8_11use_defaultESA_SA_EEPbZNS1_13binary_searchIS3_S5_PySB_SC_NS1_16binary_search_opENS8_6detail16wrapped_functionINS0_4lessIvEEbEEEE10hipError_tPvRmT1_T2_T3_mmT4_T5_P12ihipStream_tbEUlRKyE_EESL_SP_SQ_mSR_SU_bEUlT_E_NS1_11comp_targetILNS1_3genE5ELNS1_11target_archE942ELNS1_3gpuE9ELNS1_3repE0EEENS1_30default_config_static_selectorELNS0_4arch9wavefront6targetE0EEEvSO_
    .private_segment_fixed_size: 0
    .sgpr_count:     0
    .sgpr_spill_count: 0
    .symbol:         _ZN7rocprim17ROCPRIM_400000_NS6detail17trampoline_kernelINS0_14default_configENS1_29binary_search_config_selectorIybEEZNS1_14transform_implILb0ES3_S5_N6thrust23THRUST_200600_302600_NS17counting_iteratorIyNS8_11use_defaultESA_SA_EEPbZNS1_13binary_searchIS3_S5_PySB_SC_NS1_16binary_search_opENS8_6detail16wrapped_functionINS0_4lessIvEEbEEEE10hipError_tPvRmT1_T2_T3_mmT4_T5_P12ihipStream_tbEUlRKyE_EESL_SP_SQ_mSR_SU_bEUlT_E_NS1_11comp_targetILNS1_3genE5ELNS1_11target_archE942ELNS1_3gpuE9ELNS1_3repE0EEENS1_30default_config_static_selectorELNS0_4arch9wavefront6targetE0EEEvSO_.kd
    .uniform_work_group_size: 1
    .uses_dynamic_stack: false
    .vgpr_count:     0
    .vgpr_spill_count: 0
    .wavefront_size: 32
    .workgroup_processor_mode: 1
  - .args:
      - .offset:         0
        .size:           56
        .value_kind:     by_value
    .group_segment_fixed_size: 0
    .kernarg_segment_align: 8
    .kernarg_segment_size: 56
    .language:       OpenCL C
    .language_version:
      - 2
      - 0
    .max_flat_workgroup_size: 64
    .name:           _ZN7rocprim17ROCPRIM_400000_NS6detail17trampoline_kernelINS0_14default_configENS1_29binary_search_config_selectorIybEEZNS1_14transform_implILb0ES3_S5_N6thrust23THRUST_200600_302600_NS17counting_iteratorIyNS8_11use_defaultESA_SA_EEPbZNS1_13binary_searchIS3_S5_PySB_SC_NS1_16binary_search_opENS8_6detail16wrapped_functionINS0_4lessIvEEbEEEE10hipError_tPvRmT1_T2_T3_mmT4_T5_P12ihipStream_tbEUlRKyE_EESL_SP_SQ_mSR_SU_bEUlT_E_NS1_11comp_targetILNS1_3genE4ELNS1_11target_archE910ELNS1_3gpuE8ELNS1_3repE0EEENS1_30default_config_static_selectorELNS0_4arch9wavefront6targetE0EEEvSO_
    .private_segment_fixed_size: 0
    .sgpr_count:     0
    .sgpr_spill_count: 0
    .symbol:         _ZN7rocprim17ROCPRIM_400000_NS6detail17trampoline_kernelINS0_14default_configENS1_29binary_search_config_selectorIybEEZNS1_14transform_implILb0ES3_S5_N6thrust23THRUST_200600_302600_NS17counting_iteratorIyNS8_11use_defaultESA_SA_EEPbZNS1_13binary_searchIS3_S5_PySB_SC_NS1_16binary_search_opENS8_6detail16wrapped_functionINS0_4lessIvEEbEEEE10hipError_tPvRmT1_T2_T3_mmT4_T5_P12ihipStream_tbEUlRKyE_EESL_SP_SQ_mSR_SU_bEUlT_E_NS1_11comp_targetILNS1_3genE4ELNS1_11target_archE910ELNS1_3gpuE8ELNS1_3repE0EEENS1_30default_config_static_selectorELNS0_4arch9wavefront6targetE0EEEvSO_.kd
    .uniform_work_group_size: 1
    .uses_dynamic_stack: false
    .vgpr_count:     0
    .vgpr_spill_count: 0
    .wavefront_size: 32
    .workgroup_processor_mode: 1
  - .args:
      - .offset:         0
        .size:           56
        .value_kind:     by_value
    .group_segment_fixed_size: 0
    .kernarg_segment_align: 8
    .kernarg_segment_size: 56
    .language:       OpenCL C
    .language_version:
      - 2
      - 0
    .max_flat_workgroup_size: 256
    .name:           _ZN7rocprim17ROCPRIM_400000_NS6detail17trampoline_kernelINS0_14default_configENS1_29binary_search_config_selectorIybEEZNS1_14transform_implILb0ES3_S5_N6thrust23THRUST_200600_302600_NS17counting_iteratorIyNS8_11use_defaultESA_SA_EEPbZNS1_13binary_searchIS3_S5_PySB_SC_NS1_16binary_search_opENS8_6detail16wrapped_functionINS0_4lessIvEEbEEEE10hipError_tPvRmT1_T2_T3_mmT4_T5_P12ihipStream_tbEUlRKyE_EESL_SP_SQ_mSR_SU_bEUlT_E_NS1_11comp_targetILNS1_3genE3ELNS1_11target_archE908ELNS1_3gpuE7ELNS1_3repE0EEENS1_30default_config_static_selectorELNS0_4arch9wavefront6targetE0EEEvSO_
    .private_segment_fixed_size: 0
    .sgpr_count:     0
    .sgpr_spill_count: 0
    .symbol:         _ZN7rocprim17ROCPRIM_400000_NS6detail17trampoline_kernelINS0_14default_configENS1_29binary_search_config_selectorIybEEZNS1_14transform_implILb0ES3_S5_N6thrust23THRUST_200600_302600_NS17counting_iteratorIyNS8_11use_defaultESA_SA_EEPbZNS1_13binary_searchIS3_S5_PySB_SC_NS1_16binary_search_opENS8_6detail16wrapped_functionINS0_4lessIvEEbEEEE10hipError_tPvRmT1_T2_T3_mmT4_T5_P12ihipStream_tbEUlRKyE_EESL_SP_SQ_mSR_SU_bEUlT_E_NS1_11comp_targetILNS1_3genE3ELNS1_11target_archE908ELNS1_3gpuE7ELNS1_3repE0EEENS1_30default_config_static_selectorELNS0_4arch9wavefront6targetE0EEEvSO_.kd
    .uniform_work_group_size: 1
    .uses_dynamic_stack: false
    .vgpr_count:     0
    .vgpr_spill_count: 0
    .wavefront_size: 32
    .workgroup_processor_mode: 1
  - .args:
      - .offset:         0
        .size:           56
        .value_kind:     by_value
    .group_segment_fixed_size: 0
    .kernarg_segment_align: 8
    .kernarg_segment_size: 56
    .language:       OpenCL C
    .language_version:
      - 2
      - 0
    .max_flat_workgroup_size: 256
    .name:           _ZN7rocprim17ROCPRIM_400000_NS6detail17trampoline_kernelINS0_14default_configENS1_29binary_search_config_selectorIybEEZNS1_14transform_implILb0ES3_S5_N6thrust23THRUST_200600_302600_NS17counting_iteratorIyNS8_11use_defaultESA_SA_EEPbZNS1_13binary_searchIS3_S5_PySB_SC_NS1_16binary_search_opENS8_6detail16wrapped_functionINS0_4lessIvEEbEEEE10hipError_tPvRmT1_T2_T3_mmT4_T5_P12ihipStream_tbEUlRKyE_EESL_SP_SQ_mSR_SU_bEUlT_E_NS1_11comp_targetILNS1_3genE2ELNS1_11target_archE906ELNS1_3gpuE6ELNS1_3repE0EEENS1_30default_config_static_selectorELNS0_4arch9wavefront6targetE0EEEvSO_
    .private_segment_fixed_size: 0
    .sgpr_count:     0
    .sgpr_spill_count: 0
    .symbol:         _ZN7rocprim17ROCPRIM_400000_NS6detail17trampoline_kernelINS0_14default_configENS1_29binary_search_config_selectorIybEEZNS1_14transform_implILb0ES3_S5_N6thrust23THRUST_200600_302600_NS17counting_iteratorIyNS8_11use_defaultESA_SA_EEPbZNS1_13binary_searchIS3_S5_PySB_SC_NS1_16binary_search_opENS8_6detail16wrapped_functionINS0_4lessIvEEbEEEE10hipError_tPvRmT1_T2_T3_mmT4_T5_P12ihipStream_tbEUlRKyE_EESL_SP_SQ_mSR_SU_bEUlT_E_NS1_11comp_targetILNS1_3genE2ELNS1_11target_archE906ELNS1_3gpuE6ELNS1_3repE0EEENS1_30default_config_static_selectorELNS0_4arch9wavefront6targetE0EEEvSO_.kd
    .uniform_work_group_size: 1
    .uses_dynamic_stack: false
    .vgpr_count:     0
    .vgpr_spill_count: 0
    .wavefront_size: 32
    .workgroup_processor_mode: 1
  - .args:
      - .offset:         0
        .size:           56
        .value_kind:     by_value
    .group_segment_fixed_size: 0
    .kernarg_segment_align: 8
    .kernarg_segment_size: 56
    .language:       OpenCL C
    .language_version:
      - 2
      - 0
    .max_flat_workgroup_size: 256
    .name:           _ZN7rocprim17ROCPRIM_400000_NS6detail17trampoline_kernelINS0_14default_configENS1_29binary_search_config_selectorIybEEZNS1_14transform_implILb0ES3_S5_N6thrust23THRUST_200600_302600_NS17counting_iteratorIyNS8_11use_defaultESA_SA_EEPbZNS1_13binary_searchIS3_S5_PySB_SC_NS1_16binary_search_opENS8_6detail16wrapped_functionINS0_4lessIvEEbEEEE10hipError_tPvRmT1_T2_T3_mmT4_T5_P12ihipStream_tbEUlRKyE_EESL_SP_SQ_mSR_SU_bEUlT_E_NS1_11comp_targetILNS1_3genE10ELNS1_11target_archE1201ELNS1_3gpuE5ELNS1_3repE0EEENS1_30default_config_static_selectorELNS0_4arch9wavefront6targetE0EEEvSO_
    .private_segment_fixed_size: 0
    .sgpr_count:     0
    .sgpr_spill_count: 0
    .symbol:         _ZN7rocprim17ROCPRIM_400000_NS6detail17trampoline_kernelINS0_14default_configENS1_29binary_search_config_selectorIybEEZNS1_14transform_implILb0ES3_S5_N6thrust23THRUST_200600_302600_NS17counting_iteratorIyNS8_11use_defaultESA_SA_EEPbZNS1_13binary_searchIS3_S5_PySB_SC_NS1_16binary_search_opENS8_6detail16wrapped_functionINS0_4lessIvEEbEEEE10hipError_tPvRmT1_T2_T3_mmT4_T5_P12ihipStream_tbEUlRKyE_EESL_SP_SQ_mSR_SU_bEUlT_E_NS1_11comp_targetILNS1_3genE10ELNS1_11target_archE1201ELNS1_3gpuE5ELNS1_3repE0EEENS1_30default_config_static_selectorELNS0_4arch9wavefront6targetE0EEEvSO_.kd
    .uniform_work_group_size: 1
    .uses_dynamic_stack: false
    .vgpr_count:     0
    .vgpr_spill_count: 0
    .wavefront_size: 32
    .workgroup_processor_mode: 1
  - .args:
      - .offset:         0
        .size:           56
        .value_kind:     by_value
    .group_segment_fixed_size: 0
    .kernarg_segment_align: 8
    .kernarg_segment_size: 56
    .language:       OpenCL C
    .language_version:
      - 2
      - 0
    .max_flat_workgroup_size: 128
    .name:           _ZN7rocprim17ROCPRIM_400000_NS6detail17trampoline_kernelINS0_14default_configENS1_29binary_search_config_selectorIybEEZNS1_14transform_implILb0ES3_S5_N6thrust23THRUST_200600_302600_NS17counting_iteratorIyNS8_11use_defaultESA_SA_EEPbZNS1_13binary_searchIS3_S5_PySB_SC_NS1_16binary_search_opENS8_6detail16wrapped_functionINS0_4lessIvEEbEEEE10hipError_tPvRmT1_T2_T3_mmT4_T5_P12ihipStream_tbEUlRKyE_EESL_SP_SQ_mSR_SU_bEUlT_E_NS1_11comp_targetILNS1_3genE10ELNS1_11target_archE1200ELNS1_3gpuE4ELNS1_3repE0EEENS1_30default_config_static_selectorELNS0_4arch9wavefront6targetE0EEEvSO_
    .private_segment_fixed_size: 0
    .sgpr_count:     0
    .sgpr_spill_count: 0
    .symbol:         _ZN7rocprim17ROCPRIM_400000_NS6detail17trampoline_kernelINS0_14default_configENS1_29binary_search_config_selectorIybEEZNS1_14transform_implILb0ES3_S5_N6thrust23THRUST_200600_302600_NS17counting_iteratorIyNS8_11use_defaultESA_SA_EEPbZNS1_13binary_searchIS3_S5_PySB_SC_NS1_16binary_search_opENS8_6detail16wrapped_functionINS0_4lessIvEEbEEEE10hipError_tPvRmT1_T2_T3_mmT4_T5_P12ihipStream_tbEUlRKyE_EESL_SP_SQ_mSR_SU_bEUlT_E_NS1_11comp_targetILNS1_3genE10ELNS1_11target_archE1200ELNS1_3gpuE4ELNS1_3repE0EEENS1_30default_config_static_selectorELNS0_4arch9wavefront6targetE0EEEvSO_.kd
    .uniform_work_group_size: 1
    .uses_dynamic_stack: false
    .vgpr_count:     0
    .vgpr_spill_count: 0
    .wavefront_size: 32
    .workgroup_processor_mode: 1
  - .args:
      - .offset:         0
        .size:           56
        .value_kind:     by_value
      - .offset:         56
        .size:           4
        .value_kind:     hidden_block_count_x
      - .offset:         60
        .size:           4
        .value_kind:     hidden_block_count_y
      - .offset:         64
        .size:           4
        .value_kind:     hidden_block_count_z
      - .offset:         68
        .size:           2
        .value_kind:     hidden_group_size_x
      - .offset:         70
        .size:           2
        .value_kind:     hidden_group_size_y
      - .offset:         72
        .size:           2
        .value_kind:     hidden_group_size_z
      - .offset:         74
        .size:           2
        .value_kind:     hidden_remainder_x
      - .offset:         76
        .size:           2
        .value_kind:     hidden_remainder_y
      - .offset:         78
        .size:           2
        .value_kind:     hidden_remainder_z
      - .offset:         96
        .size:           8
        .value_kind:     hidden_global_offset_x
      - .offset:         104
        .size:           8
        .value_kind:     hidden_global_offset_y
      - .offset:         112
        .size:           8
        .value_kind:     hidden_global_offset_z
      - .offset:         120
        .size:           2
        .value_kind:     hidden_grid_dims
    .group_segment_fixed_size: 0
    .kernarg_segment_align: 8
    .kernarg_segment_size: 312
    .language:       OpenCL C
    .language_version:
      - 2
      - 0
    .max_flat_workgroup_size: 64
    .name:           _ZN7rocprim17ROCPRIM_400000_NS6detail17trampoline_kernelINS0_14default_configENS1_29binary_search_config_selectorIybEEZNS1_14transform_implILb0ES3_S5_N6thrust23THRUST_200600_302600_NS17counting_iteratorIyNS8_11use_defaultESA_SA_EEPbZNS1_13binary_searchIS3_S5_PySB_SC_NS1_16binary_search_opENS8_6detail16wrapped_functionINS0_4lessIvEEbEEEE10hipError_tPvRmT1_T2_T3_mmT4_T5_P12ihipStream_tbEUlRKyE_EESL_SP_SQ_mSR_SU_bEUlT_E_NS1_11comp_targetILNS1_3genE9ELNS1_11target_archE1100ELNS1_3gpuE3ELNS1_3repE0EEENS1_30default_config_static_selectorELNS0_4arch9wavefront6targetE0EEEvSO_
    .private_segment_fixed_size: 0
    .sgpr_count:     32
    .sgpr_spill_count: 0
    .symbol:         _ZN7rocprim17ROCPRIM_400000_NS6detail17trampoline_kernelINS0_14default_configENS1_29binary_search_config_selectorIybEEZNS1_14transform_implILb0ES3_S5_N6thrust23THRUST_200600_302600_NS17counting_iteratorIyNS8_11use_defaultESA_SA_EEPbZNS1_13binary_searchIS3_S5_PySB_SC_NS1_16binary_search_opENS8_6detail16wrapped_functionINS0_4lessIvEEbEEEE10hipError_tPvRmT1_T2_T3_mmT4_T5_P12ihipStream_tbEUlRKyE_EESL_SP_SQ_mSR_SU_bEUlT_E_NS1_11comp_targetILNS1_3genE9ELNS1_11target_archE1100ELNS1_3gpuE3ELNS1_3repE0EEENS1_30default_config_static_selectorELNS0_4arch9wavefront6targetE0EEEvSO_.kd
    .uniform_work_group_size: 1
    .uses_dynamic_stack: false
    .vgpr_count:     27
    .vgpr_spill_count: 0
    .wavefront_size: 32
    .workgroup_processor_mode: 1
  - .args:
      - .offset:         0
        .size:           56
        .value_kind:     by_value
    .group_segment_fixed_size: 0
    .kernarg_segment_align: 8
    .kernarg_segment_size: 56
    .language:       OpenCL C
    .language_version:
      - 2
      - 0
    .max_flat_workgroup_size: 256
    .name:           _ZN7rocprim17ROCPRIM_400000_NS6detail17trampoline_kernelINS0_14default_configENS1_29binary_search_config_selectorIybEEZNS1_14transform_implILb0ES3_S5_N6thrust23THRUST_200600_302600_NS17counting_iteratorIyNS8_11use_defaultESA_SA_EEPbZNS1_13binary_searchIS3_S5_PySB_SC_NS1_16binary_search_opENS8_6detail16wrapped_functionINS0_4lessIvEEbEEEE10hipError_tPvRmT1_T2_T3_mmT4_T5_P12ihipStream_tbEUlRKyE_EESL_SP_SQ_mSR_SU_bEUlT_E_NS1_11comp_targetILNS1_3genE8ELNS1_11target_archE1030ELNS1_3gpuE2ELNS1_3repE0EEENS1_30default_config_static_selectorELNS0_4arch9wavefront6targetE0EEEvSO_
    .private_segment_fixed_size: 0
    .sgpr_count:     0
    .sgpr_spill_count: 0
    .symbol:         _ZN7rocprim17ROCPRIM_400000_NS6detail17trampoline_kernelINS0_14default_configENS1_29binary_search_config_selectorIybEEZNS1_14transform_implILb0ES3_S5_N6thrust23THRUST_200600_302600_NS17counting_iteratorIyNS8_11use_defaultESA_SA_EEPbZNS1_13binary_searchIS3_S5_PySB_SC_NS1_16binary_search_opENS8_6detail16wrapped_functionINS0_4lessIvEEbEEEE10hipError_tPvRmT1_T2_T3_mmT4_T5_P12ihipStream_tbEUlRKyE_EESL_SP_SQ_mSR_SU_bEUlT_E_NS1_11comp_targetILNS1_3genE8ELNS1_11target_archE1030ELNS1_3gpuE2ELNS1_3repE0EEENS1_30default_config_static_selectorELNS0_4arch9wavefront6targetE0EEEvSO_.kd
    .uniform_work_group_size: 1
    .uses_dynamic_stack: false
    .vgpr_count:     0
    .vgpr_spill_count: 0
    .wavefront_size: 32
    .workgroup_processor_mode: 1
  - .args:
      - .offset:         0
        .size:           8
        .value_kind:     by_value
      - .address_space:  global
        .offset:         8
        .size:           8
        .value_kind:     global_buffer
      - .address_space:  global
        .offset:         16
        .size:           8
        .value_kind:     global_buffer
    .group_segment_fixed_size: 0
    .kernarg_segment_align: 8
    .kernarg_segment_size: 24
    .language:       OpenCL C
    .language_version:
      - 2
      - 0
    .max_flat_workgroup_size: 256
    .name:           _Z20binary_search_kernelIjEvmPT_Pb
    .private_segment_fixed_size: 0
    .sgpr_count:     20
    .sgpr_spill_count: 0
    .symbol:         _Z20binary_search_kernelIjEvmPT_Pb.kd
    .uniform_work_group_size: 1
    .uses_dynamic_stack: false
    .vgpr_count:     2
    .vgpr_spill_count: 0
    .wavefront_size: 32
    .workgroup_processor_mode: 1
  - .args:
      - .offset:         0
        .size:           56
        .value_kind:     by_value
    .group_segment_fixed_size: 0
    .kernarg_segment_align: 8
    .kernarg_segment_size: 56
    .language:       OpenCL C
    .language_version:
      - 2
      - 0
    .max_flat_workgroup_size: 256
    .name:           _ZN7rocprim17ROCPRIM_400000_NS6detail17trampoline_kernelINS0_14default_configENS1_29binary_search_config_selectorIjbEEZNS1_14transform_implILb0ES3_S5_N6thrust23THRUST_200600_302600_NS17counting_iteratorIjNS8_11use_defaultESA_SA_EEPbZNS1_13binary_searchIS3_S5_PjSB_SC_NS1_16binary_search_opENS8_6detail16wrapped_functionINS0_4lessIvEEbEEEE10hipError_tPvRmT1_T2_T3_mmT4_T5_P12ihipStream_tbEUlRKjE_EESL_SP_SQ_mSR_SU_bEUlT_E_NS1_11comp_targetILNS1_3genE0ELNS1_11target_archE4294967295ELNS1_3gpuE0ELNS1_3repE0EEENS1_30default_config_static_selectorELNS0_4arch9wavefront6targetE0EEEvSO_
    .private_segment_fixed_size: 0
    .sgpr_count:     0
    .sgpr_spill_count: 0
    .symbol:         _ZN7rocprim17ROCPRIM_400000_NS6detail17trampoline_kernelINS0_14default_configENS1_29binary_search_config_selectorIjbEEZNS1_14transform_implILb0ES3_S5_N6thrust23THRUST_200600_302600_NS17counting_iteratorIjNS8_11use_defaultESA_SA_EEPbZNS1_13binary_searchIS3_S5_PjSB_SC_NS1_16binary_search_opENS8_6detail16wrapped_functionINS0_4lessIvEEbEEEE10hipError_tPvRmT1_T2_T3_mmT4_T5_P12ihipStream_tbEUlRKjE_EESL_SP_SQ_mSR_SU_bEUlT_E_NS1_11comp_targetILNS1_3genE0ELNS1_11target_archE4294967295ELNS1_3gpuE0ELNS1_3repE0EEENS1_30default_config_static_selectorELNS0_4arch9wavefront6targetE0EEEvSO_.kd
    .uniform_work_group_size: 1
    .uses_dynamic_stack: false
    .vgpr_count:     0
    .vgpr_spill_count: 0
    .wavefront_size: 32
    .workgroup_processor_mode: 1
  - .args:
      - .offset:         0
        .size:           56
        .value_kind:     by_value
    .group_segment_fixed_size: 0
    .kernarg_segment_align: 8
    .kernarg_segment_size: 56
    .language:       OpenCL C
    .language_version:
      - 2
      - 0
    .max_flat_workgroup_size: 256
    .name:           _ZN7rocprim17ROCPRIM_400000_NS6detail17trampoline_kernelINS0_14default_configENS1_29binary_search_config_selectorIjbEEZNS1_14transform_implILb0ES3_S5_N6thrust23THRUST_200600_302600_NS17counting_iteratorIjNS8_11use_defaultESA_SA_EEPbZNS1_13binary_searchIS3_S5_PjSB_SC_NS1_16binary_search_opENS8_6detail16wrapped_functionINS0_4lessIvEEbEEEE10hipError_tPvRmT1_T2_T3_mmT4_T5_P12ihipStream_tbEUlRKjE_EESL_SP_SQ_mSR_SU_bEUlT_E_NS1_11comp_targetILNS1_3genE5ELNS1_11target_archE942ELNS1_3gpuE9ELNS1_3repE0EEENS1_30default_config_static_selectorELNS0_4arch9wavefront6targetE0EEEvSO_
    .private_segment_fixed_size: 0
    .sgpr_count:     0
    .sgpr_spill_count: 0
    .symbol:         _ZN7rocprim17ROCPRIM_400000_NS6detail17trampoline_kernelINS0_14default_configENS1_29binary_search_config_selectorIjbEEZNS1_14transform_implILb0ES3_S5_N6thrust23THRUST_200600_302600_NS17counting_iteratorIjNS8_11use_defaultESA_SA_EEPbZNS1_13binary_searchIS3_S5_PjSB_SC_NS1_16binary_search_opENS8_6detail16wrapped_functionINS0_4lessIvEEbEEEE10hipError_tPvRmT1_T2_T3_mmT4_T5_P12ihipStream_tbEUlRKjE_EESL_SP_SQ_mSR_SU_bEUlT_E_NS1_11comp_targetILNS1_3genE5ELNS1_11target_archE942ELNS1_3gpuE9ELNS1_3repE0EEENS1_30default_config_static_selectorELNS0_4arch9wavefront6targetE0EEEvSO_.kd
    .uniform_work_group_size: 1
    .uses_dynamic_stack: false
    .vgpr_count:     0
    .vgpr_spill_count: 0
    .wavefront_size: 32
    .workgroup_processor_mode: 1
  - .args:
      - .offset:         0
        .size:           56
        .value_kind:     by_value
    .group_segment_fixed_size: 0
    .kernarg_segment_align: 8
    .kernarg_segment_size: 56
    .language:       OpenCL C
    .language_version:
      - 2
      - 0
    .max_flat_workgroup_size: 256
    .name:           _ZN7rocprim17ROCPRIM_400000_NS6detail17trampoline_kernelINS0_14default_configENS1_29binary_search_config_selectorIjbEEZNS1_14transform_implILb0ES3_S5_N6thrust23THRUST_200600_302600_NS17counting_iteratorIjNS8_11use_defaultESA_SA_EEPbZNS1_13binary_searchIS3_S5_PjSB_SC_NS1_16binary_search_opENS8_6detail16wrapped_functionINS0_4lessIvEEbEEEE10hipError_tPvRmT1_T2_T3_mmT4_T5_P12ihipStream_tbEUlRKjE_EESL_SP_SQ_mSR_SU_bEUlT_E_NS1_11comp_targetILNS1_3genE4ELNS1_11target_archE910ELNS1_3gpuE8ELNS1_3repE0EEENS1_30default_config_static_selectorELNS0_4arch9wavefront6targetE0EEEvSO_
    .private_segment_fixed_size: 0
    .sgpr_count:     0
    .sgpr_spill_count: 0
    .symbol:         _ZN7rocprim17ROCPRIM_400000_NS6detail17trampoline_kernelINS0_14default_configENS1_29binary_search_config_selectorIjbEEZNS1_14transform_implILb0ES3_S5_N6thrust23THRUST_200600_302600_NS17counting_iteratorIjNS8_11use_defaultESA_SA_EEPbZNS1_13binary_searchIS3_S5_PjSB_SC_NS1_16binary_search_opENS8_6detail16wrapped_functionINS0_4lessIvEEbEEEE10hipError_tPvRmT1_T2_T3_mmT4_T5_P12ihipStream_tbEUlRKjE_EESL_SP_SQ_mSR_SU_bEUlT_E_NS1_11comp_targetILNS1_3genE4ELNS1_11target_archE910ELNS1_3gpuE8ELNS1_3repE0EEENS1_30default_config_static_selectorELNS0_4arch9wavefront6targetE0EEEvSO_.kd
    .uniform_work_group_size: 1
    .uses_dynamic_stack: false
    .vgpr_count:     0
    .vgpr_spill_count: 0
    .wavefront_size: 32
    .workgroup_processor_mode: 1
  - .args:
      - .offset:         0
        .size:           56
        .value_kind:     by_value
    .group_segment_fixed_size: 0
    .kernarg_segment_align: 8
    .kernarg_segment_size: 56
    .language:       OpenCL C
    .language_version:
      - 2
      - 0
    .max_flat_workgroup_size: 256
    .name:           _ZN7rocprim17ROCPRIM_400000_NS6detail17trampoline_kernelINS0_14default_configENS1_29binary_search_config_selectorIjbEEZNS1_14transform_implILb0ES3_S5_N6thrust23THRUST_200600_302600_NS17counting_iteratorIjNS8_11use_defaultESA_SA_EEPbZNS1_13binary_searchIS3_S5_PjSB_SC_NS1_16binary_search_opENS8_6detail16wrapped_functionINS0_4lessIvEEbEEEE10hipError_tPvRmT1_T2_T3_mmT4_T5_P12ihipStream_tbEUlRKjE_EESL_SP_SQ_mSR_SU_bEUlT_E_NS1_11comp_targetILNS1_3genE3ELNS1_11target_archE908ELNS1_3gpuE7ELNS1_3repE0EEENS1_30default_config_static_selectorELNS0_4arch9wavefront6targetE0EEEvSO_
    .private_segment_fixed_size: 0
    .sgpr_count:     0
    .sgpr_spill_count: 0
    .symbol:         _ZN7rocprim17ROCPRIM_400000_NS6detail17trampoline_kernelINS0_14default_configENS1_29binary_search_config_selectorIjbEEZNS1_14transform_implILb0ES3_S5_N6thrust23THRUST_200600_302600_NS17counting_iteratorIjNS8_11use_defaultESA_SA_EEPbZNS1_13binary_searchIS3_S5_PjSB_SC_NS1_16binary_search_opENS8_6detail16wrapped_functionINS0_4lessIvEEbEEEE10hipError_tPvRmT1_T2_T3_mmT4_T5_P12ihipStream_tbEUlRKjE_EESL_SP_SQ_mSR_SU_bEUlT_E_NS1_11comp_targetILNS1_3genE3ELNS1_11target_archE908ELNS1_3gpuE7ELNS1_3repE0EEENS1_30default_config_static_selectorELNS0_4arch9wavefront6targetE0EEEvSO_.kd
    .uniform_work_group_size: 1
    .uses_dynamic_stack: false
    .vgpr_count:     0
    .vgpr_spill_count: 0
    .wavefront_size: 32
    .workgroup_processor_mode: 1
  - .args:
      - .offset:         0
        .size:           56
        .value_kind:     by_value
    .group_segment_fixed_size: 0
    .kernarg_segment_align: 8
    .kernarg_segment_size: 56
    .language:       OpenCL C
    .language_version:
      - 2
      - 0
    .max_flat_workgroup_size: 256
    .name:           _ZN7rocprim17ROCPRIM_400000_NS6detail17trampoline_kernelINS0_14default_configENS1_29binary_search_config_selectorIjbEEZNS1_14transform_implILb0ES3_S5_N6thrust23THRUST_200600_302600_NS17counting_iteratorIjNS8_11use_defaultESA_SA_EEPbZNS1_13binary_searchIS3_S5_PjSB_SC_NS1_16binary_search_opENS8_6detail16wrapped_functionINS0_4lessIvEEbEEEE10hipError_tPvRmT1_T2_T3_mmT4_T5_P12ihipStream_tbEUlRKjE_EESL_SP_SQ_mSR_SU_bEUlT_E_NS1_11comp_targetILNS1_3genE2ELNS1_11target_archE906ELNS1_3gpuE6ELNS1_3repE0EEENS1_30default_config_static_selectorELNS0_4arch9wavefront6targetE0EEEvSO_
    .private_segment_fixed_size: 0
    .sgpr_count:     0
    .sgpr_spill_count: 0
    .symbol:         _ZN7rocprim17ROCPRIM_400000_NS6detail17trampoline_kernelINS0_14default_configENS1_29binary_search_config_selectorIjbEEZNS1_14transform_implILb0ES3_S5_N6thrust23THRUST_200600_302600_NS17counting_iteratorIjNS8_11use_defaultESA_SA_EEPbZNS1_13binary_searchIS3_S5_PjSB_SC_NS1_16binary_search_opENS8_6detail16wrapped_functionINS0_4lessIvEEbEEEE10hipError_tPvRmT1_T2_T3_mmT4_T5_P12ihipStream_tbEUlRKjE_EESL_SP_SQ_mSR_SU_bEUlT_E_NS1_11comp_targetILNS1_3genE2ELNS1_11target_archE906ELNS1_3gpuE6ELNS1_3repE0EEENS1_30default_config_static_selectorELNS0_4arch9wavefront6targetE0EEEvSO_.kd
    .uniform_work_group_size: 1
    .uses_dynamic_stack: false
    .vgpr_count:     0
    .vgpr_spill_count: 0
    .wavefront_size: 32
    .workgroup_processor_mode: 1
  - .args:
      - .offset:         0
        .size:           56
        .value_kind:     by_value
    .group_segment_fixed_size: 0
    .kernarg_segment_align: 8
    .kernarg_segment_size: 56
    .language:       OpenCL C
    .language_version:
      - 2
      - 0
    .max_flat_workgroup_size: 128
    .name:           _ZN7rocprim17ROCPRIM_400000_NS6detail17trampoline_kernelINS0_14default_configENS1_29binary_search_config_selectorIjbEEZNS1_14transform_implILb0ES3_S5_N6thrust23THRUST_200600_302600_NS17counting_iteratorIjNS8_11use_defaultESA_SA_EEPbZNS1_13binary_searchIS3_S5_PjSB_SC_NS1_16binary_search_opENS8_6detail16wrapped_functionINS0_4lessIvEEbEEEE10hipError_tPvRmT1_T2_T3_mmT4_T5_P12ihipStream_tbEUlRKjE_EESL_SP_SQ_mSR_SU_bEUlT_E_NS1_11comp_targetILNS1_3genE10ELNS1_11target_archE1201ELNS1_3gpuE5ELNS1_3repE0EEENS1_30default_config_static_selectorELNS0_4arch9wavefront6targetE0EEEvSO_
    .private_segment_fixed_size: 0
    .sgpr_count:     0
    .sgpr_spill_count: 0
    .symbol:         _ZN7rocprim17ROCPRIM_400000_NS6detail17trampoline_kernelINS0_14default_configENS1_29binary_search_config_selectorIjbEEZNS1_14transform_implILb0ES3_S5_N6thrust23THRUST_200600_302600_NS17counting_iteratorIjNS8_11use_defaultESA_SA_EEPbZNS1_13binary_searchIS3_S5_PjSB_SC_NS1_16binary_search_opENS8_6detail16wrapped_functionINS0_4lessIvEEbEEEE10hipError_tPvRmT1_T2_T3_mmT4_T5_P12ihipStream_tbEUlRKjE_EESL_SP_SQ_mSR_SU_bEUlT_E_NS1_11comp_targetILNS1_3genE10ELNS1_11target_archE1201ELNS1_3gpuE5ELNS1_3repE0EEENS1_30default_config_static_selectorELNS0_4arch9wavefront6targetE0EEEvSO_.kd
    .uniform_work_group_size: 1
    .uses_dynamic_stack: false
    .vgpr_count:     0
    .vgpr_spill_count: 0
    .wavefront_size: 32
    .workgroup_processor_mode: 1
  - .args:
      - .offset:         0
        .size:           56
        .value_kind:     by_value
    .group_segment_fixed_size: 0
    .kernarg_segment_align: 8
    .kernarg_segment_size: 56
    .language:       OpenCL C
    .language_version:
      - 2
      - 0
    .max_flat_workgroup_size: 128
    .name:           _ZN7rocprim17ROCPRIM_400000_NS6detail17trampoline_kernelINS0_14default_configENS1_29binary_search_config_selectorIjbEEZNS1_14transform_implILb0ES3_S5_N6thrust23THRUST_200600_302600_NS17counting_iteratorIjNS8_11use_defaultESA_SA_EEPbZNS1_13binary_searchIS3_S5_PjSB_SC_NS1_16binary_search_opENS8_6detail16wrapped_functionINS0_4lessIvEEbEEEE10hipError_tPvRmT1_T2_T3_mmT4_T5_P12ihipStream_tbEUlRKjE_EESL_SP_SQ_mSR_SU_bEUlT_E_NS1_11comp_targetILNS1_3genE10ELNS1_11target_archE1200ELNS1_3gpuE4ELNS1_3repE0EEENS1_30default_config_static_selectorELNS0_4arch9wavefront6targetE0EEEvSO_
    .private_segment_fixed_size: 0
    .sgpr_count:     0
    .sgpr_spill_count: 0
    .symbol:         _ZN7rocprim17ROCPRIM_400000_NS6detail17trampoline_kernelINS0_14default_configENS1_29binary_search_config_selectorIjbEEZNS1_14transform_implILb0ES3_S5_N6thrust23THRUST_200600_302600_NS17counting_iteratorIjNS8_11use_defaultESA_SA_EEPbZNS1_13binary_searchIS3_S5_PjSB_SC_NS1_16binary_search_opENS8_6detail16wrapped_functionINS0_4lessIvEEbEEEE10hipError_tPvRmT1_T2_T3_mmT4_T5_P12ihipStream_tbEUlRKjE_EESL_SP_SQ_mSR_SU_bEUlT_E_NS1_11comp_targetILNS1_3genE10ELNS1_11target_archE1200ELNS1_3gpuE4ELNS1_3repE0EEENS1_30default_config_static_selectorELNS0_4arch9wavefront6targetE0EEEvSO_.kd
    .uniform_work_group_size: 1
    .uses_dynamic_stack: false
    .vgpr_count:     0
    .vgpr_spill_count: 0
    .wavefront_size: 32
    .workgroup_processor_mode: 1
  - .args:
      - .offset:         0
        .size:           56
        .value_kind:     by_value
      - .offset:         56
        .size:           4
        .value_kind:     hidden_block_count_x
      - .offset:         60
        .size:           4
        .value_kind:     hidden_block_count_y
      - .offset:         64
        .size:           4
        .value_kind:     hidden_block_count_z
      - .offset:         68
        .size:           2
        .value_kind:     hidden_group_size_x
      - .offset:         70
        .size:           2
        .value_kind:     hidden_group_size_y
      - .offset:         72
        .size:           2
        .value_kind:     hidden_group_size_z
      - .offset:         74
        .size:           2
        .value_kind:     hidden_remainder_x
      - .offset:         76
        .size:           2
        .value_kind:     hidden_remainder_y
      - .offset:         78
        .size:           2
        .value_kind:     hidden_remainder_z
      - .offset:         96
        .size:           8
        .value_kind:     hidden_global_offset_x
      - .offset:         104
        .size:           8
        .value_kind:     hidden_global_offset_y
      - .offset:         112
        .size:           8
        .value_kind:     hidden_global_offset_z
      - .offset:         120
        .size:           2
        .value_kind:     hidden_grid_dims
    .group_segment_fixed_size: 0
    .kernarg_segment_align: 8
    .kernarg_segment_size: 312
    .language:       OpenCL C
    .language_version:
      - 2
      - 0
    .max_flat_workgroup_size: 256
    .name:           _ZN7rocprim17ROCPRIM_400000_NS6detail17trampoline_kernelINS0_14default_configENS1_29binary_search_config_selectorIjbEEZNS1_14transform_implILb0ES3_S5_N6thrust23THRUST_200600_302600_NS17counting_iteratorIjNS8_11use_defaultESA_SA_EEPbZNS1_13binary_searchIS3_S5_PjSB_SC_NS1_16binary_search_opENS8_6detail16wrapped_functionINS0_4lessIvEEbEEEE10hipError_tPvRmT1_T2_T3_mmT4_T5_P12ihipStream_tbEUlRKjE_EESL_SP_SQ_mSR_SU_bEUlT_E_NS1_11comp_targetILNS1_3genE9ELNS1_11target_archE1100ELNS1_3gpuE3ELNS1_3repE0EEENS1_30default_config_static_selectorELNS0_4arch9wavefront6targetE0EEEvSO_
    .private_segment_fixed_size: 0
    .sgpr_count:     18
    .sgpr_spill_count: 0
    .symbol:         _ZN7rocprim17ROCPRIM_400000_NS6detail17trampoline_kernelINS0_14default_configENS1_29binary_search_config_selectorIjbEEZNS1_14transform_implILb0ES3_S5_N6thrust23THRUST_200600_302600_NS17counting_iteratorIjNS8_11use_defaultESA_SA_EEPbZNS1_13binary_searchIS3_S5_PjSB_SC_NS1_16binary_search_opENS8_6detail16wrapped_functionINS0_4lessIvEEbEEEE10hipError_tPvRmT1_T2_T3_mmT4_T5_P12ihipStream_tbEUlRKjE_EESL_SP_SQ_mSR_SU_bEUlT_E_NS1_11comp_targetILNS1_3genE9ELNS1_11target_archE1100ELNS1_3gpuE3ELNS1_3repE0EEENS1_30default_config_static_selectorELNS0_4arch9wavefront6targetE0EEEvSO_.kd
    .uniform_work_group_size: 1
    .uses_dynamic_stack: false
    .vgpr_count:     11
    .vgpr_spill_count: 0
    .wavefront_size: 32
    .workgroup_processor_mode: 1
  - .args:
      - .offset:         0
        .size:           56
        .value_kind:     by_value
    .group_segment_fixed_size: 0
    .kernarg_segment_align: 8
    .kernarg_segment_size: 56
    .language:       OpenCL C
    .language_version:
      - 2
      - 0
    .max_flat_workgroup_size: 256
    .name:           _ZN7rocprim17ROCPRIM_400000_NS6detail17trampoline_kernelINS0_14default_configENS1_29binary_search_config_selectorIjbEEZNS1_14transform_implILb0ES3_S5_N6thrust23THRUST_200600_302600_NS17counting_iteratorIjNS8_11use_defaultESA_SA_EEPbZNS1_13binary_searchIS3_S5_PjSB_SC_NS1_16binary_search_opENS8_6detail16wrapped_functionINS0_4lessIvEEbEEEE10hipError_tPvRmT1_T2_T3_mmT4_T5_P12ihipStream_tbEUlRKjE_EESL_SP_SQ_mSR_SU_bEUlT_E_NS1_11comp_targetILNS1_3genE8ELNS1_11target_archE1030ELNS1_3gpuE2ELNS1_3repE0EEENS1_30default_config_static_selectorELNS0_4arch9wavefront6targetE0EEEvSO_
    .private_segment_fixed_size: 0
    .sgpr_count:     0
    .sgpr_spill_count: 0
    .symbol:         _ZN7rocprim17ROCPRIM_400000_NS6detail17trampoline_kernelINS0_14default_configENS1_29binary_search_config_selectorIjbEEZNS1_14transform_implILb0ES3_S5_N6thrust23THRUST_200600_302600_NS17counting_iteratorIjNS8_11use_defaultESA_SA_EEPbZNS1_13binary_searchIS3_S5_PjSB_SC_NS1_16binary_search_opENS8_6detail16wrapped_functionINS0_4lessIvEEbEEEE10hipError_tPvRmT1_T2_T3_mmT4_T5_P12ihipStream_tbEUlRKjE_EESL_SP_SQ_mSR_SU_bEUlT_E_NS1_11comp_targetILNS1_3genE8ELNS1_11target_archE1030ELNS1_3gpuE2ELNS1_3repE0EEENS1_30default_config_static_selectorELNS0_4arch9wavefront6targetE0EEEvSO_.kd
    .uniform_work_group_size: 1
    .uses_dynamic_stack: false
    .vgpr_count:     0
    .vgpr_spill_count: 0
    .wavefront_size: 32
    .workgroup_processor_mode: 1
  - .args:
      - .offset:         0
        .size:           8
        .value_kind:     by_value
      - .address_space:  global
        .offset:         8
        .size:           8
        .value_kind:     global_buffer
      - .address_space:  global
        .offset:         16
        .size:           8
        .value_kind:     global_buffer
    .group_segment_fixed_size: 0
    .kernarg_segment_align: 8
    .kernarg_segment_size: 24
    .language:       OpenCL C
    .language_version:
      - 2
      - 0
    .max_flat_workgroup_size: 256
    .name:           _Z20binary_search_kernelItEvmPT_Pb
    .private_segment_fixed_size: 0
    .sgpr_count:     20
    .sgpr_spill_count: 0
    .symbol:         _Z20binary_search_kernelItEvmPT_Pb.kd
    .uniform_work_group_size: 1
    .uses_dynamic_stack: false
    .vgpr_count:     2
    .vgpr_spill_count: 0
    .wavefront_size: 32
    .workgroup_processor_mode: 1
  - .args:
      - .offset:         0
        .size:           56
        .value_kind:     by_value
    .group_segment_fixed_size: 0
    .kernarg_segment_align: 8
    .kernarg_segment_size: 56
    .language:       OpenCL C
    .language_version:
      - 2
      - 0
    .max_flat_workgroup_size: 128
    .name:           _ZN7rocprim17ROCPRIM_400000_NS6detail17trampoline_kernelINS0_14default_configENS1_29binary_search_config_selectorItbEEZNS1_14transform_implILb0ES3_S5_N6thrust23THRUST_200600_302600_NS17counting_iteratorItNS8_11use_defaultESA_SA_EEPbZNS1_13binary_searchIS3_S5_PtSB_SC_NS1_16binary_search_opENS8_6detail16wrapped_functionINS0_4lessIvEEbEEEE10hipError_tPvRmT1_T2_T3_mmT4_T5_P12ihipStream_tbEUlRKtE_EESL_SP_SQ_mSR_SU_bEUlT_E_NS1_11comp_targetILNS1_3genE0ELNS1_11target_archE4294967295ELNS1_3gpuE0ELNS1_3repE0EEENS1_30default_config_static_selectorELNS0_4arch9wavefront6targetE0EEEvSO_
    .private_segment_fixed_size: 0
    .sgpr_count:     0
    .sgpr_spill_count: 0
    .symbol:         _ZN7rocprim17ROCPRIM_400000_NS6detail17trampoline_kernelINS0_14default_configENS1_29binary_search_config_selectorItbEEZNS1_14transform_implILb0ES3_S5_N6thrust23THRUST_200600_302600_NS17counting_iteratorItNS8_11use_defaultESA_SA_EEPbZNS1_13binary_searchIS3_S5_PtSB_SC_NS1_16binary_search_opENS8_6detail16wrapped_functionINS0_4lessIvEEbEEEE10hipError_tPvRmT1_T2_T3_mmT4_T5_P12ihipStream_tbEUlRKtE_EESL_SP_SQ_mSR_SU_bEUlT_E_NS1_11comp_targetILNS1_3genE0ELNS1_11target_archE4294967295ELNS1_3gpuE0ELNS1_3repE0EEENS1_30default_config_static_selectorELNS0_4arch9wavefront6targetE0EEEvSO_.kd
    .uniform_work_group_size: 1
    .uses_dynamic_stack: false
    .vgpr_count:     0
    .vgpr_spill_count: 0
    .wavefront_size: 32
    .workgroup_processor_mode: 1
  - .args:
      - .offset:         0
        .size:           56
        .value_kind:     by_value
    .group_segment_fixed_size: 0
    .kernarg_segment_align: 8
    .kernarg_segment_size: 56
    .language:       OpenCL C
    .language_version:
      - 2
      - 0
    .max_flat_workgroup_size: 256
    .name:           _ZN7rocprim17ROCPRIM_400000_NS6detail17trampoline_kernelINS0_14default_configENS1_29binary_search_config_selectorItbEEZNS1_14transform_implILb0ES3_S5_N6thrust23THRUST_200600_302600_NS17counting_iteratorItNS8_11use_defaultESA_SA_EEPbZNS1_13binary_searchIS3_S5_PtSB_SC_NS1_16binary_search_opENS8_6detail16wrapped_functionINS0_4lessIvEEbEEEE10hipError_tPvRmT1_T2_T3_mmT4_T5_P12ihipStream_tbEUlRKtE_EESL_SP_SQ_mSR_SU_bEUlT_E_NS1_11comp_targetILNS1_3genE5ELNS1_11target_archE942ELNS1_3gpuE9ELNS1_3repE0EEENS1_30default_config_static_selectorELNS0_4arch9wavefront6targetE0EEEvSO_
    .private_segment_fixed_size: 0
    .sgpr_count:     0
    .sgpr_spill_count: 0
    .symbol:         _ZN7rocprim17ROCPRIM_400000_NS6detail17trampoline_kernelINS0_14default_configENS1_29binary_search_config_selectorItbEEZNS1_14transform_implILb0ES3_S5_N6thrust23THRUST_200600_302600_NS17counting_iteratorItNS8_11use_defaultESA_SA_EEPbZNS1_13binary_searchIS3_S5_PtSB_SC_NS1_16binary_search_opENS8_6detail16wrapped_functionINS0_4lessIvEEbEEEE10hipError_tPvRmT1_T2_T3_mmT4_T5_P12ihipStream_tbEUlRKtE_EESL_SP_SQ_mSR_SU_bEUlT_E_NS1_11comp_targetILNS1_3genE5ELNS1_11target_archE942ELNS1_3gpuE9ELNS1_3repE0EEENS1_30default_config_static_selectorELNS0_4arch9wavefront6targetE0EEEvSO_.kd
    .uniform_work_group_size: 1
    .uses_dynamic_stack: false
    .vgpr_count:     0
    .vgpr_spill_count: 0
    .wavefront_size: 32
    .workgroup_processor_mode: 1
  - .args:
      - .offset:         0
        .size:           56
        .value_kind:     by_value
    .group_segment_fixed_size: 0
    .kernarg_segment_align: 8
    .kernarg_segment_size: 56
    .language:       OpenCL C
    .language_version:
      - 2
      - 0
    .max_flat_workgroup_size: 256
    .name:           _ZN7rocprim17ROCPRIM_400000_NS6detail17trampoline_kernelINS0_14default_configENS1_29binary_search_config_selectorItbEEZNS1_14transform_implILb0ES3_S5_N6thrust23THRUST_200600_302600_NS17counting_iteratorItNS8_11use_defaultESA_SA_EEPbZNS1_13binary_searchIS3_S5_PtSB_SC_NS1_16binary_search_opENS8_6detail16wrapped_functionINS0_4lessIvEEbEEEE10hipError_tPvRmT1_T2_T3_mmT4_T5_P12ihipStream_tbEUlRKtE_EESL_SP_SQ_mSR_SU_bEUlT_E_NS1_11comp_targetILNS1_3genE4ELNS1_11target_archE910ELNS1_3gpuE8ELNS1_3repE0EEENS1_30default_config_static_selectorELNS0_4arch9wavefront6targetE0EEEvSO_
    .private_segment_fixed_size: 0
    .sgpr_count:     0
    .sgpr_spill_count: 0
    .symbol:         _ZN7rocprim17ROCPRIM_400000_NS6detail17trampoline_kernelINS0_14default_configENS1_29binary_search_config_selectorItbEEZNS1_14transform_implILb0ES3_S5_N6thrust23THRUST_200600_302600_NS17counting_iteratorItNS8_11use_defaultESA_SA_EEPbZNS1_13binary_searchIS3_S5_PtSB_SC_NS1_16binary_search_opENS8_6detail16wrapped_functionINS0_4lessIvEEbEEEE10hipError_tPvRmT1_T2_T3_mmT4_T5_P12ihipStream_tbEUlRKtE_EESL_SP_SQ_mSR_SU_bEUlT_E_NS1_11comp_targetILNS1_3genE4ELNS1_11target_archE910ELNS1_3gpuE8ELNS1_3repE0EEENS1_30default_config_static_selectorELNS0_4arch9wavefront6targetE0EEEvSO_.kd
    .uniform_work_group_size: 1
    .uses_dynamic_stack: false
    .vgpr_count:     0
    .vgpr_spill_count: 0
    .wavefront_size: 32
    .workgroup_processor_mode: 1
  - .args:
      - .offset:         0
        .size:           56
        .value_kind:     by_value
    .group_segment_fixed_size: 0
    .kernarg_segment_align: 8
    .kernarg_segment_size: 56
    .language:       OpenCL C
    .language_version:
      - 2
      - 0
    .max_flat_workgroup_size: 128
    .name:           _ZN7rocprim17ROCPRIM_400000_NS6detail17trampoline_kernelINS0_14default_configENS1_29binary_search_config_selectorItbEEZNS1_14transform_implILb0ES3_S5_N6thrust23THRUST_200600_302600_NS17counting_iteratorItNS8_11use_defaultESA_SA_EEPbZNS1_13binary_searchIS3_S5_PtSB_SC_NS1_16binary_search_opENS8_6detail16wrapped_functionINS0_4lessIvEEbEEEE10hipError_tPvRmT1_T2_T3_mmT4_T5_P12ihipStream_tbEUlRKtE_EESL_SP_SQ_mSR_SU_bEUlT_E_NS1_11comp_targetILNS1_3genE3ELNS1_11target_archE908ELNS1_3gpuE7ELNS1_3repE0EEENS1_30default_config_static_selectorELNS0_4arch9wavefront6targetE0EEEvSO_
    .private_segment_fixed_size: 0
    .sgpr_count:     0
    .sgpr_spill_count: 0
    .symbol:         _ZN7rocprim17ROCPRIM_400000_NS6detail17trampoline_kernelINS0_14default_configENS1_29binary_search_config_selectorItbEEZNS1_14transform_implILb0ES3_S5_N6thrust23THRUST_200600_302600_NS17counting_iteratorItNS8_11use_defaultESA_SA_EEPbZNS1_13binary_searchIS3_S5_PtSB_SC_NS1_16binary_search_opENS8_6detail16wrapped_functionINS0_4lessIvEEbEEEE10hipError_tPvRmT1_T2_T3_mmT4_T5_P12ihipStream_tbEUlRKtE_EESL_SP_SQ_mSR_SU_bEUlT_E_NS1_11comp_targetILNS1_3genE3ELNS1_11target_archE908ELNS1_3gpuE7ELNS1_3repE0EEENS1_30default_config_static_selectorELNS0_4arch9wavefront6targetE0EEEvSO_.kd
    .uniform_work_group_size: 1
    .uses_dynamic_stack: false
    .vgpr_count:     0
    .vgpr_spill_count: 0
    .wavefront_size: 32
    .workgroup_processor_mode: 1
  - .args:
      - .offset:         0
        .size:           56
        .value_kind:     by_value
    .group_segment_fixed_size: 0
    .kernarg_segment_align: 8
    .kernarg_segment_size: 56
    .language:       OpenCL C
    .language_version:
      - 2
      - 0
    .max_flat_workgroup_size: 256
    .name:           _ZN7rocprim17ROCPRIM_400000_NS6detail17trampoline_kernelINS0_14default_configENS1_29binary_search_config_selectorItbEEZNS1_14transform_implILb0ES3_S5_N6thrust23THRUST_200600_302600_NS17counting_iteratorItNS8_11use_defaultESA_SA_EEPbZNS1_13binary_searchIS3_S5_PtSB_SC_NS1_16binary_search_opENS8_6detail16wrapped_functionINS0_4lessIvEEbEEEE10hipError_tPvRmT1_T2_T3_mmT4_T5_P12ihipStream_tbEUlRKtE_EESL_SP_SQ_mSR_SU_bEUlT_E_NS1_11comp_targetILNS1_3genE2ELNS1_11target_archE906ELNS1_3gpuE6ELNS1_3repE0EEENS1_30default_config_static_selectorELNS0_4arch9wavefront6targetE0EEEvSO_
    .private_segment_fixed_size: 0
    .sgpr_count:     0
    .sgpr_spill_count: 0
    .symbol:         _ZN7rocprim17ROCPRIM_400000_NS6detail17trampoline_kernelINS0_14default_configENS1_29binary_search_config_selectorItbEEZNS1_14transform_implILb0ES3_S5_N6thrust23THRUST_200600_302600_NS17counting_iteratorItNS8_11use_defaultESA_SA_EEPbZNS1_13binary_searchIS3_S5_PtSB_SC_NS1_16binary_search_opENS8_6detail16wrapped_functionINS0_4lessIvEEbEEEE10hipError_tPvRmT1_T2_T3_mmT4_T5_P12ihipStream_tbEUlRKtE_EESL_SP_SQ_mSR_SU_bEUlT_E_NS1_11comp_targetILNS1_3genE2ELNS1_11target_archE906ELNS1_3gpuE6ELNS1_3repE0EEENS1_30default_config_static_selectorELNS0_4arch9wavefront6targetE0EEEvSO_.kd
    .uniform_work_group_size: 1
    .uses_dynamic_stack: false
    .vgpr_count:     0
    .vgpr_spill_count: 0
    .wavefront_size: 32
    .workgroup_processor_mode: 1
  - .args:
      - .offset:         0
        .size:           56
        .value_kind:     by_value
    .group_segment_fixed_size: 0
    .kernarg_segment_align: 8
    .kernarg_segment_size: 56
    .language:       OpenCL C
    .language_version:
      - 2
      - 0
    .max_flat_workgroup_size: 256
    .name:           _ZN7rocprim17ROCPRIM_400000_NS6detail17trampoline_kernelINS0_14default_configENS1_29binary_search_config_selectorItbEEZNS1_14transform_implILb0ES3_S5_N6thrust23THRUST_200600_302600_NS17counting_iteratorItNS8_11use_defaultESA_SA_EEPbZNS1_13binary_searchIS3_S5_PtSB_SC_NS1_16binary_search_opENS8_6detail16wrapped_functionINS0_4lessIvEEbEEEE10hipError_tPvRmT1_T2_T3_mmT4_T5_P12ihipStream_tbEUlRKtE_EESL_SP_SQ_mSR_SU_bEUlT_E_NS1_11comp_targetILNS1_3genE10ELNS1_11target_archE1201ELNS1_3gpuE5ELNS1_3repE0EEENS1_30default_config_static_selectorELNS0_4arch9wavefront6targetE0EEEvSO_
    .private_segment_fixed_size: 0
    .sgpr_count:     0
    .sgpr_spill_count: 0
    .symbol:         _ZN7rocprim17ROCPRIM_400000_NS6detail17trampoline_kernelINS0_14default_configENS1_29binary_search_config_selectorItbEEZNS1_14transform_implILb0ES3_S5_N6thrust23THRUST_200600_302600_NS17counting_iteratorItNS8_11use_defaultESA_SA_EEPbZNS1_13binary_searchIS3_S5_PtSB_SC_NS1_16binary_search_opENS8_6detail16wrapped_functionINS0_4lessIvEEbEEEE10hipError_tPvRmT1_T2_T3_mmT4_T5_P12ihipStream_tbEUlRKtE_EESL_SP_SQ_mSR_SU_bEUlT_E_NS1_11comp_targetILNS1_3genE10ELNS1_11target_archE1201ELNS1_3gpuE5ELNS1_3repE0EEENS1_30default_config_static_selectorELNS0_4arch9wavefront6targetE0EEEvSO_.kd
    .uniform_work_group_size: 1
    .uses_dynamic_stack: false
    .vgpr_count:     0
    .vgpr_spill_count: 0
    .wavefront_size: 32
    .workgroup_processor_mode: 1
  - .args:
      - .offset:         0
        .size:           56
        .value_kind:     by_value
    .group_segment_fixed_size: 0
    .kernarg_segment_align: 8
    .kernarg_segment_size: 56
    .language:       OpenCL C
    .language_version:
      - 2
      - 0
    .max_flat_workgroup_size: 256
    .name:           _ZN7rocprim17ROCPRIM_400000_NS6detail17trampoline_kernelINS0_14default_configENS1_29binary_search_config_selectorItbEEZNS1_14transform_implILb0ES3_S5_N6thrust23THRUST_200600_302600_NS17counting_iteratorItNS8_11use_defaultESA_SA_EEPbZNS1_13binary_searchIS3_S5_PtSB_SC_NS1_16binary_search_opENS8_6detail16wrapped_functionINS0_4lessIvEEbEEEE10hipError_tPvRmT1_T2_T3_mmT4_T5_P12ihipStream_tbEUlRKtE_EESL_SP_SQ_mSR_SU_bEUlT_E_NS1_11comp_targetILNS1_3genE10ELNS1_11target_archE1200ELNS1_3gpuE4ELNS1_3repE0EEENS1_30default_config_static_selectorELNS0_4arch9wavefront6targetE0EEEvSO_
    .private_segment_fixed_size: 0
    .sgpr_count:     0
    .sgpr_spill_count: 0
    .symbol:         _ZN7rocprim17ROCPRIM_400000_NS6detail17trampoline_kernelINS0_14default_configENS1_29binary_search_config_selectorItbEEZNS1_14transform_implILb0ES3_S5_N6thrust23THRUST_200600_302600_NS17counting_iteratorItNS8_11use_defaultESA_SA_EEPbZNS1_13binary_searchIS3_S5_PtSB_SC_NS1_16binary_search_opENS8_6detail16wrapped_functionINS0_4lessIvEEbEEEE10hipError_tPvRmT1_T2_T3_mmT4_T5_P12ihipStream_tbEUlRKtE_EESL_SP_SQ_mSR_SU_bEUlT_E_NS1_11comp_targetILNS1_3genE10ELNS1_11target_archE1200ELNS1_3gpuE4ELNS1_3repE0EEENS1_30default_config_static_selectorELNS0_4arch9wavefront6targetE0EEEvSO_.kd
    .uniform_work_group_size: 1
    .uses_dynamic_stack: false
    .vgpr_count:     0
    .vgpr_spill_count: 0
    .wavefront_size: 32
    .workgroup_processor_mode: 1
  - .args:
      - .offset:         0
        .size:           56
        .value_kind:     by_value
      - .offset:         56
        .size:           4
        .value_kind:     hidden_block_count_x
      - .offset:         60
        .size:           4
        .value_kind:     hidden_block_count_y
      - .offset:         64
        .size:           4
        .value_kind:     hidden_block_count_z
      - .offset:         68
        .size:           2
        .value_kind:     hidden_group_size_x
      - .offset:         70
        .size:           2
        .value_kind:     hidden_group_size_y
      - .offset:         72
        .size:           2
        .value_kind:     hidden_group_size_z
      - .offset:         74
        .size:           2
        .value_kind:     hidden_remainder_x
      - .offset:         76
        .size:           2
        .value_kind:     hidden_remainder_y
      - .offset:         78
        .size:           2
        .value_kind:     hidden_remainder_z
      - .offset:         96
        .size:           8
        .value_kind:     hidden_global_offset_x
      - .offset:         104
        .size:           8
        .value_kind:     hidden_global_offset_y
      - .offset:         112
        .size:           8
        .value_kind:     hidden_global_offset_z
      - .offset:         120
        .size:           2
        .value_kind:     hidden_grid_dims
    .group_segment_fixed_size: 0
    .kernarg_segment_align: 8
    .kernarg_segment_size: 312
    .language:       OpenCL C
    .language_version:
      - 2
      - 0
    .max_flat_workgroup_size: 64
    .name:           _ZN7rocprim17ROCPRIM_400000_NS6detail17trampoline_kernelINS0_14default_configENS1_29binary_search_config_selectorItbEEZNS1_14transform_implILb0ES3_S5_N6thrust23THRUST_200600_302600_NS17counting_iteratorItNS8_11use_defaultESA_SA_EEPbZNS1_13binary_searchIS3_S5_PtSB_SC_NS1_16binary_search_opENS8_6detail16wrapped_functionINS0_4lessIvEEbEEEE10hipError_tPvRmT1_T2_T3_mmT4_T5_P12ihipStream_tbEUlRKtE_EESL_SP_SQ_mSR_SU_bEUlT_E_NS1_11comp_targetILNS1_3genE9ELNS1_11target_archE1100ELNS1_3gpuE3ELNS1_3repE0EEENS1_30default_config_static_selectorELNS0_4arch9wavefront6targetE0EEEvSO_
    .private_segment_fixed_size: 0
    .sgpr_count:     22
    .sgpr_spill_count: 0
    .symbol:         _ZN7rocprim17ROCPRIM_400000_NS6detail17trampoline_kernelINS0_14default_configENS1_29binary_search_config_selectorItbEEZNS1_14transform_implILb0ES3_S5_N6thrust23THRUST_200600_302600_NS17counting_iteratorItNS8_11use_defaultESA_SA_EEPbZNS1_13binary_searchIS3_S5_PtSB_SC_NS1_16binary_search_opENS8_6detail16wrapped_functionINS0_4lessIvEEbEEEE10hipError_tPvRmT1_T2_T3_mmT4_T5_P12ihipStream_tbEUlRKtE_EESL_SP_SQ_mSR_SU_bEUlT_E_NS1_11comp_targetILNS1_3genE9ELNS1_11target_archE1100ELNS1_3gpuE3ELNS1_3repE0EEENS1_30default_config_static_selectorELNS0_4arch9wavefront6targetE0EEEvSO_.kd
    .uniform_work_group_size: 1
    .uses_dynamic_stack: false
    .vgpr_count:     18
    .vgpr_spill_count: 0
    .wavefront_size: 32
    .workgroup_processor_mode: 1
  - .args:
      - .offset:         0
        .size:           56
        .value_kind:     by_value
    .group_segment_fixed_size: 0
    .kernarg_segment_align: 8
    .kernarg_segment_size: 56
    .language:       OpenCL C
    .language_version:
      - 2
      - 0
    .max_flat_workgroup_size: 128
    .name:           _ZN7rocprim17ROCPRIM_400000_NS6detail17trampoline_kernelINS0_14default_configENS1_29binary_search_config_selectorItbEEZNS1_14transform_implILb0ES3_S5_N6thrust23THRUST_200600_302600_NS17counting_iteratorItNS8_11use_defaultESA_SA_EEPbZNS1_13binary_searchIS3_S5_PtSB_SC_NS1_16binary_search_opENS8_6detail16wrapped_functionINS0_4lessIvEEbEEEE10hipError_tPvRmT1_T2_T3_mmT4_T5_P12ihipStream_tbEUlRKtE_EESL_SP_SQ_mSR_SU_bEUlT_E_NS1_11comp_targetILNS1_3genE8ELNS1_11target_archE1030ELNS1_3gpuE2ELNS1_3repE0EEENS1_30default_config_static_selectorELNS0_4arch9wavefront6targetE0EEEvSO_
    .private_segment_fixed_size: 0
    .sgpr_count:     0
    .sgpr_spill_count: 0
    .symbol:         _ZN7rocprim17ROCPRIM_400000_NS6detail17trampoline_kernelINS0_14default_configENS1_29binary_search_config_selectorItbEEZNS1_14transform_implILb0ES3_S5_N6thrust23THRUST_200600_302600_NS17counting_iteratorItNS8_11use_defaultESA_SA_EEPbZNS1_13binary_searchIS3_S5_PtSB_SC_NS1_16binary_search_opENS8_6detail16wrapped_functionINS0_4lessIvEEbEEEE10hipError_tPvRmT1_T2_T3_mmT4_T5_P12ihipStream_tbEUlRKtE_EESL_SP_SQ_mSR_SU_bEUlT_E_NS1_11comp_targetILNS1_3genE8ELNS1_11target_archE1030ELNS1_3gpuE2ELNS1_3repE0EEENS1_30default_config_static_selectorELNS0_4arch9wavefront6targetE0EEEvSO_.kd
    .uniform_work_group_size: 1
    .uses_dynamic_stack: false
    .vgpr_count:     0
    .vgpr_spill_count: 0
    .wavefront_size: 32
    .workgroup_processor_mode: 1
  - .args:
      - .offset:         0
        .size:           8
        .value_kind:     by_value
      - .address_space:  global
        .offset:         8
        .size:           8
        .value_kind:     global_buffer
      - .address_space:  global
        .offset:         16
        .size:           8
        .value_kind:     global_buffer
    .group_segment_fixed_size: 0
    .kernarg_segment_align: 8
    .kernarg_segment_size: 24
    .language:       OpenCL C
    .language_version:
      - 2
      - 0
    .max_flat_workgroup_size: 256
    .name:           _Z20binary_search_kernelIxEvmPT_Pb
    .private_segment_fixed_size: 0
    .sgpr_count:     20
    .sgpr_spill_count: 0
    .symbol:         _Z20binary_search_kernelIxEvmPT_Pb.kd
    .uniform_work_group_size: 1
    .uses_dynamic_stack: false
    .vgpr_count:     2
    .vgpr_spill_count: 0
    .wavefront_size: 32
    .workgroup_processor_mode: 1
  - .args:
      - .offset:         0
        .size:           56
        .value_kind:     by_value
    .group_segment_fixed_size: 0
    .kernarg_segment_align: 8
    .kernarg_segment_size: 56
    .language:       OpenCL C
    .language_version:
      - 2
      - 0
    .max_flat_workgroup_size: 256
    .name:           _ZN7rocprim17ROCPRIM_400000_NS6detail17trampoline_kernelINS0_14default_configENS1_29binary_search_config_selectorIxbEEZNS1_14transform_implILb0ES3_S5_N6thrust23THRUST_200600_302600_NS17counting_iteratorIxNS8_11use_defaultESA_SA_EEPbZNS1_13binary_searchIS3_S5_PxSB_SC_NS1_16binary_search_opENS8_6detail16wrapped_functionINS0_4lessIvEEbEEEE10hipError_tPvRmT1_T2_T3_mmT4_T5_P12ihipStream_tbEUlRKxE_EESL_SP_SQ_mSR_SU_bEUlT_E_NS1_11comp_targetILNS1_3genE0ELNS1_11target_archE4294967295ELNS1_3gpuE0ELNS1_3repE0EEENS1_30default_config_static_selectorELNS0_4arch9wavefront6targetE0EEEvSO_
    .private_segment_fixed_size: 0
    .sgpr_count:     0
    .sgpr_spill_count: 0
    .symbol:         _ZN7rocprim17ROCPRIM_400000_NS6detail17trampoline_kernelINS0_14default_configENS1_29binary_search_config_selectorIxbEEZNS1_14transform_implILb0ES3_S5_N6thrust23THRUST_200600_302600_NS17counting_iteratorIxNS8_11use_defaultESA_SA_EEPbZNS1_13binary_searchIS3_S5_PxSB_SC_NS1_16binary_search_opENS8_6detail16wrapped_functionINS0_4lessIvEEbEEEE10hipError_tPvRmT1_T2_T3_mmT4_T5_P12ihipStream_tbEUlRKxE_EESL_SP_SQ_mSR_SU_bEUlT_E_NS1_11comp_targetILNS1_3genE0ELNS1_11target_archE4294967295ELNS1_3gpuE0ELNS1_3repE0EEENS1_30default_config_static_selectorELNS0_4arch9wavefront6targetE0EEEvSO_.kd
    .uniform_work_group_size: 1
    .uses_dynamic_stack: false
    .vgpr_count:     0
    .vgpr_spill_count: 0
    .wavefront_size: 32
    .workgroup_processor_mode: 1
  - .args:
      - .offset:         0
        .size:           56
        .value_kind:     by_value
    .group_segment_fixed_size: 0
    .kernarg_segment_align: 8
    .kernarg_segment_size: 56
    .language:       OpenCL C
    .language_version:
      - 2
      - 0
    .max_flat_workgroup_size: 64
    .name:           _ZN7rocprim17ROCPRIM_400000_NS6detail17trampoline_kernelINS0_14default_configENS1_29binary_search_config_selectorIxbEEZNS1_14transform_implILb0ES3_S5_N6thrust23THRUST_200600_302600_NS17counting_iteratorIxNS8_11use_defaultESA_SA_EEPbZNS1_13binary_searchIS3_S5_PxSB_SC_NS1_16binary_search_opENS8_6detail16wrapped_functionINS0_4lessIvEEbEEEE10hipError_tPvRmT1_T2_T3_mmT4_T5_P12ihipStream_tbEUlRKxE_EESL_SP_SQ_mSR_SU_bEUlT_E_NS1_11comp_targetILNS1_3genE5ELNS1_11target_archE942ELNS1_3gpuE9ELNS1_3repE0EEENS1_30default_config_static_selectorELNS0_4arch9wavefront6targetE0EEEvSO_
    .private_segment_fixed_size: 0
    .sgpr_count:     0
    .sgpr_spill_count: 0
    .symbol:         _ZN7rocprim17ROCPRIM_400000_NS6detail17trampoline_kernelINS0_14default_configENS1_29binary_search_config_selectorIxbEEZNS1_14transform_implILb0ES3_S5_N6thrust23THRUST_200600_302600_NS17counting_iteratorIxNS8_11use_defaultESA_SA_EEPbZNS1_13binary_searchIS3_S5_PxSB_SC_NS1_16binary_search_opENS8_6detail16wrapped_functionINS0_4lessIvEEbEEEE10hipError_tPvRmT1_T2_T3_mmT4_T5_P12ihipStream_tbEUlRKxE_EESL_SP_SQ_mSR_SU_bEUlT_E_NS1_11comp_targetILNS1_3genE5ELNS1_11target_archE942ELNS1_3gpuE9ELNS1_3repE0EEENS1_30default_config_static_selectorELNS0_4arch9wavefront6targetE0EEEvSO_.kd
    .uniform_work_group_size: 1
    .uses_dynamic_stack: false
    .vgpr_count:     0
    .vgpr_spill_count: 0
    .wavefront_size: 32
    .workgroup_processor_mode: 1
  - .args:
      - .offset:         0
        .size:           56
        .value_kind:     by_value
    .group_segment_fixed_size: 0
    .kernarg_segment_align: 8
    .kernarg_segment_size: 56
    .language:       OpenCL C
    .language_version:
      - 2
      - 0
    .max_flat_workgroup_size: 64
    .name:           _ZN7rocprim17ROCPRIM_400000_NS6detail17trampoline_kernelINS0_14default_configENS1_29binary_search_config_selectorIxbEEZNS1_14transform_implILb0ES3_S5_N6thrust23THRUST_200600_302600_NS17counting_iteratorIxNS8_11use_defaultESA_SA_EEPbZNS1_13binary_searchIS3_S5_PxSB_SC_NS1_16binary_search_opENS8_6detail16wrapped_functionINS0_4lessIvEEbEEEE10hipError_tPvRmT1_T2_T3_mmT4_T5_P12ihipStream_tbEUlRKxE_EESL_SP_SQ_mSR_SU_bEUlT_E_NS1_11comp_targetILNS1_3genE4ELNS1_11target_archE910ELNS1_3gpuE8ELNS1_3repE0EEENS1_30default_config_static_selectorELNS0_4arch9wavefront6targetE0EEEvSO_
    .private_segment_fixed_size: 0
    .sgpr_count:     0
    .sgpr_spill_count: 0
    .symbol:         _ZN7rocprim17ROCPRIM_400000_NS6detail17trampoline_kernelINS0_14default_configENS1_29binary_search_config_selectorIxbEEZNS1_14transform_implILb0ES3_S5_N6thrust23THRUST_200600_302600_NS17counting_iteratorIxNS8_11use_defaultESA_SA_EEPbZNS1_13binary_searchIS3_S5_PxSB_SC_NS1_16binary_search_opENS8_6detail16wrapped_functionINS0_4lessIvEEbEEEE10hipError_tPvRmT1_T2_T3_mmT4_T5_P12ihipStream_tbEUlRKxE_EESL_SP_SQ_mSR_SU_bEUlT_E_NS1_11comp_targetILNS1_3genE4ELNS1_11target_archE910ELNS1_3gpuE8ELNS1_3repE0EEENS1_30default_config_static_selectorELNS0_4arch9wavefront6targetE0EEEvSO_.kd
    .uniform_work_group_size: 1
    .uses_dynamic_stack: false
    .vgpr_count:     0
    .vgpr_spill_count: 0
    .wavefront_size: 32
    .workgroup_processor_mode: 1
  - .args:
      - .offset:         0
        .size:           56
        .value_kind:     by_value
    .group_segment_fixed_size: 0
    .kernarg_segment_align: 8
    .kernarg_segment_size: 56
    .language:       OpenCL C
    .language_version:
      - 2
      - 0
    .max_flat_workgroup_size: 256
    .name:           _ZN7rocprim17ROCPRIM_400000_NS6detail17trampoline_kernelINS0_14default_configENS1_29binary_search_config_selectorIxbEEZNS1_14transform_implILb0ES3_S5_N6thrust23THRUST_200600_302600_NS17counting_iteratorIxNS8_11use_defaultESA_SA_EEPbZNS1_13binary_searchIS3_S5_PxSB_SC_NS1_16binary_search_opENS8_6detail16wrapped_functionINS0_4lessIvEEbEEEE10hipError_tPvRmT1_T2_T3_mmT4_T5_P12ihipStream_tbEUlRKxE_EESL_SP_SQ_mSR_SU_bEUlT_E_NS1_11comp_targetILNS1_3genE3ELNS1_11target_archE908ELNS1_3gpuE7ELNS1_3repE0EEENS1_30default_config_static_selectorELNS0_4arch9wavefront6targetE0EEEvSO_
    .private_segment_fixed_size: 0
    .sgpr_count:     0
    .sgpr_spill_count: 0
    .symbol:         _ZN7rocprim17ROCPRIM_400000_NS6detail17trampoline_kernelINS0_14default_configENS1_29binary_search_config_selectorIxbEEZNS1_14transform_implILb0ES3_S5_N6thrust23THRUST_200600_302600_NS17counting_iteratorIxNS8_11use_defaultESA_SA_EEPbZNS1_13binary_searchIS3_S5_PxSB_SC_NS1_16binary_search_opENS8_6detail16wrapped_functionINS0_4lessIvEEbEEEE10hipError_tPvRmT1_T2_T3_mmT4_T5_P12ihipStream_tbEUlRKxE_EESL_SP_SQ_mSR_SU_bEUlT_E_NS1_11comp_targetILNS1_3genE3ELNS1_11target_archE908ELNS1_3gpuE7ELNS1_3repE0EEENS1_30default_config_static_selectorELNS0_4arch9wavefront6targetE0EEEvSO_.kd
    .uniform_work_group_size: 1
    .uses_dynamic_stack: false
    .vgpr_count:     0
    .vgpr_spill_count: 0
    .wavefront_size: 32
    .workgroup_processor_mode: 1
  - .args:
      - .offset:         0
        .size:           56
        .value_kind:     by_value
    .group_segment_fixed_size: 0
    .kernarg_segment_align: 8
    .kernarg_segment_size: 56
    .language:       OpenCL C
    .language_version:
      - 2
      - 0
    .max_flat_workgroup_size: 256
    .name:           _ZN7rocprim17ROCPRIM_400000_NS6detail17trampoline_kernelINS0_14default_configENS1_29binary_search_config_selectorIxbEEZNS1_14transform_implILb0ES3_S5_N6thrust23THRUST_200600_302600_NS17counting_iteratorIxNS8_11use_defaultESA_SA_EEPbZNS1_13binary_searchIS3_S5_PxSB_SC_NS1_16binary_search_opENS8_6detail16wrapped_functionINS0_4lessIvEEbEEEE10hipError_tPvRmT1_T2_T3_mmT4_T5_P12ihipStream_tbEUlRKxE_EESL_SP_SQ_mSR_SU_bEUlT_E_NS1_11comp_targetILNS1_3genE2ELNS1_11target_archE906ELNS1_3gpuE6ELNS1_3repE0EEENS1_30default_config_static_selectorELNS0_4arch9wavefront6targetE0EEEvSO_
    .private_segment_fixed_size: 0
    .sgpr_count:     0
    .sgpr_spill_count: 0
    .symbol:         _ZN7rocprim17ROCPRIM_400000_NS6detail17trampoline_kernelINS0_14default_configENS1_29binary_search_config_selectorIxbEEZNS1_14transform_implILb0ES3_S5_N6thrust23THRUST_200600_302600_NS17counting_iteratorIxNS8_11use_defaultESA_SA_EEPbZNS1_13binary_searchIS3_S5_PxSB_SC_NS1_16binary_search_opENS8_6detail16wrapped_functionINS0_4lessIvEEbEEEE10hipError_tPvRmT1_T2_T3_mmT4_T5_P12ihipStream_tbEUlRKxE_EESL_SP_SQ_mSR_SU_bEUlT_E_NS1_11comp_targetILNS1_3genE2ELNS1_11target_archE906ELNS1_3gpuE6ELNS1_3repE0EEENS1_30default_config_static_selectorELNS0_4arch9wavefront6targetE0EEEvSO_.kd
    .uniform_work_group_size: 1
    .uses_dynamic_stack: false
    .vgpr_count:     0
    .vgpr_spill_count: 0
    .wavefront_size: 32
    .workgroup_processor_mode: 1
  - .args:
      - .offset:         0
        .size:           56
        .value_kind:     by_value
    .group_segment_fixed_size: 0
    .kernarg_segment_align: 8
    .kernarg_segment_size: 56
    .language:       OpenCL C
    .language_version:
      - 2
      - 0
    .max_flat_workgroup_size: 256
    .name:           _ZN7rocprim17ROCPRIM_400000_NS6detail17trampoline_kernelINS0_14default_configENS1_29binary_search_config_selectorIxbEEZNS1_14transform_implILb0ES3_S5_N6thrust23THRUST_200600_302600_NS17counting_iteratorIxNS8_11use_defaultESA_SA_EEPbZNS1_13binary_searchIS3_S5_PxSB_SC_NS1_16binary_search_opENS8_6detail16wrapped_functionINS0_4lessIvEEbEEEE10hipError_tPvRmT1_T2_T3_mmT4_T5_P12ihipStream_tbEUlRKxE_EESL_SP_SQ_mSR_SU_bEUlT_E_NS1_11comp_targetILNS1_3genE10ELNS1_11target_archE1201ELNS1_3gpuE5ELNS1_3repE0EEENS1_30default_config_static_selectorELNS0_4arch9wavefront6targetE0EEEvSO_
    .private_segment_fixed_size: 0
    .sgpr_count:     0
    .sgpr_spill_count: 0
    .symbol:         _ZN7rocprim17ROCPRIM_400000_NS6detail17trampoline_kernelINS0_14default_configENS1_29binary_search_config_selectorIxbEEZNS1_14transform_implILb0ES3_S5_N6thrust23THRUST_200600_302600_NS17counting_iteratorIxNS8_11use_defaultESA_SA_EEPbZNS1_13binary_searchIS3_S5_PxSB_SC_NS1_16binary_search_opENS8_6detail16wrapped_functionINS0_4lessIvEEbEEEE10hipError_tPvRmT1_T2_T3_mmT4_T5_P12ihipStream_tbEUlRKxE_EESL_SP_SQ_mSR_SU_bEUlT_E_NS1_11comp_targetILNS1_3genE10ELNS1_11target_archE1201ELNS1_3gpuE5ELNS1_3repE0EEENS1_30default_config_static_selectorELNS0_4arch9wavefront6targetE0EEEvSO_.kd
    .uniform_work_group_size: 1
    .uses_dynamic_stack: false
    .vgpr_count:     0
    .vgpr_spill_count: 0
    .wavefront_size: 32
    .workgroup_processor_mode: 1
  - .args:
      - .offset:         0
        .size:           56
        .value_kind:     by_value
    .group_segment_fixed_size: 0
    .kernarg_segment_align: 8
    .kernarg_segment_size: 56
    .language:       OpenCL C
    .language_version:
      - 2
      - 0
    .max_flat_workgroup_size: 128
    .name:           _ZN7rocprim17ROCPRIM_400000_NS6detail17trampoline_kernelINS0_14default_configENS1_29binary_search_config_selectorIxbEEZNS1_14transform_implILb0ES3_S5_N6thrust23THRUST_200600_302600_NS17counting_iteratorIxNS8_11use_defaultESA_SA_EEPbZNS1_13binary_searchIS3_S5_PxSB_SC_NS1_16binary_search_opENS8_6detail16wrapped_functionINS0_4lessIvEEbEEEE10hipError_tPvRmT1_T2_T3_mmT4_T5_P12ihipStream_tbEUlRKxE_EESL_SP_SQ_mSR_SU_bEUlT_E_NS1_11comp_targetILNS1_3genE10ELNS1_11target_archE1200ELNS1_3gpuE4ELNS1_3repE0EEENS1_30default_config_static_selectorELNS0_4arch9wavefront6targetE0EEEvSO_
    .private_segment_fixed_size: 0
    .sgpr_count:     0
    .sgpr_spill_count: 0
    .symbol:         _ZN7rocprim17ROCPRIM_400000_NS6detail17trampoline_kernelINS0_14default_configENS1_29binary_search_config_selectorIxbEEZNS1_14transform_implILb0ES3_S5_N6thrust23THRUST_200600_302600_NS17counting_iteratorIxNS8_11use_defaultESA_SA_EEPbZNS1_13binary_searchIS3_S5_PxSB_SC_NS1_16binary_search_opENS8_6detail16wrapped_functionINS0_4lessIvEEbEEEE10hipError_tPvRmT1_T2_T3_mmT4_T5_P12ihipStream_tbEUlRKxE_EESL_SP_SQ_mSR_SU_bEUlT_E_NS1_11comp_targetILNS1_3genE10ELNS1_11target_archE1200ELNS1_3gpuE4ELNS1_3repE0EEENS1_30default_config_static_selectorELNS0_4arch9wavefront6targetE0EEEvSO_.kd
    .uniform_work_group_size: 1
    .uses_dynamic_stack: false
    .vgpr_count:     0
    .vgpr_spill_count: 0
    .wavefront_size: 32
    .workgroup_processor_mode: 1
  - .args:
      - .offset:         0
        .size:           56
        .value_kind:     by_value
      - .offset:         56
        .size:           4
        .value_kind:     hidden_block_count_x
      - .offset:         60
        .size:           4
        .value_kind:     hidden_block_count_y
      - .offset:         64
        .size:           4
        .value_kind:     hidden_block_count_z
      - .offset:         68
        .size:           2
        .value_kind:     hidden_group_size_x
      - .offset:         70
        .size:           2
        .value_kind:     hidden_group_size_y
      - .offset:         72
        .size:           2
        .value_kind:     hidden_group_size_z
      - .offset:         74
        .size:           2
        .value_kind:     hidden_remainder_x
      - .offset:         76
        .size:           2
        .value_kind:     hidden_remainder_y
      - .offset:         78
        .size:           2
        .value_kind:     hidden_remainder_z
      - .offset:         96
        .size:           8
        .value_kind:     hidden_global_offset_x
      - .offset:         104
        .size:           8
        .value_kind:     hidden_global_offset_y
      - .offset:         112
        .size:           8
        .value_kind:     hidden_global_offset_z
      - .offset:         120
        .size:           2
        .value_kind:     hidden_grid_dims
    .group_segment_fixed_size: 0
    .kernarg_segment_align: 8
    .kernarg_segment_size: 312
    .language:       OpenCL C
    .language_version:
      - 2
      - 0
    .max_flat_workgroup_size: 64
    .name:           _ZN7rocprim17ROCPRIM_400000_NS6detail17trampoline_kernelINS0_14default_configENS1_29binary_search_config_selectorIxbEEZNS1_14transform_implILb0ES3_S5_N6thrust23THRUST_200600_302600_NS17counting_iteratorIxNS8_11use_defaultESA_SA_EEPbZNS1_13binary_searchIS3_S5_PxSB_SC_NS1_16binary_search_opENS8_6detail16wrapped_functionINS0_4lessIvEEbEEEE10hipError_tPvRmT1_T2_T3_mmT4_T5_P12ihipStream_tbEUlRKxE_EESL_SP_SQ_mSR_SU_bEUlT_E_NS1_11comp_targetILNS1_3genE9ELNS1_11target_archE1100ELNS1_3gpuE3ELNS1_3repE0EEENS1_30default_config_static_selectorELNS0_4arch9wavefront6targetE0EEEvSO_
    .private_segment_fixed_size: 0
    .sgpr_count:     32
    .sgpr_spill_count: 0
    .symbol:         _ZN7rocprim17ROCPRIM_400000_NS6detail17trampoline_kernelINS0_14default_configENS1_29binary_search_config_selectorIxbEEZNS1_14transform_implILb0ES3_S5_N6thrust23THRUST_200600_302600_NS17counting_iteratorIxNS8_11use_defaultESA_SA_EEPbZNS1_13binary_searchIS3_S5_PxSB_SC_NS1_16binary_search_opENS8_6detail16wrapped_functionINS0_4lessIvEEbEEEE10hipError_tPvRmT1_T2_T3_mmT4_T5_P12ihipStream_tbEUlRKxE_EESL_SP_SQ_mSR_SU_bEUlT_E_NS1_11comp_targetILNS1_3genE9ELNS1_11target_archE1100ELNS1_3gpuE3ELNS1_3repE0EEENS1_30default_config_static_selectorELNS0_4arch9wavefront6targetE0EEEvSO_.kd
    .uniform_work_group_size: 1
    .uses_dynamic_stack: false
    .vgpr_count:     27
    .vgpr_spill_count: 0
    .wavefront_size: 32
    .workgroup_processor_mode: 1
  - .args:
      - .offset:         0
        .size:           56
        .value_kind:     by_value
    .group_segment_fixed_size: 0
    .kernarg_segment_align: 8
    .kernarg_segment_size: 56
    .language:       OpenCL C
    .language_version:
      - 2
      - 0
    .max_flat_workgroup_size: 256
    .name:           _ZN7rocprim17ROCPRIM_400000_NS6detail17trampoline_kernelINS0_14default_configENS1_29binary_search_config_selectorIxbEEZNS1_14transform_implILb0ES3_S5_N6thrust23THRUST_200600_302600_NS17counting_iteratorIxNS8_11use_defaultESA_SA_EEPbZNS1_13binary_searchIS3_S5_PxSB_SC_NS1_16binary_search_opENS8_6detail16wrapped_functionINS0_4lessIvEEbEEEE10hipError_tPvRmT1_T2_T3_mmT4_T5_P12ihipStream_tbEUlRKxE_EESL_SP_SQ_mSR_SU_bEUlT_E_NS1_11comp_targetILNS1_3genE8ELNS1_11target_archE1030ELNS1_3gpuE2ELNS1_3repE0EEENS1_30default_config_static_selectorELNS0_4arch9wavefront6targetE0EEEvSO_
    .private_segment_fixed_size: 0
    .sgpr_count:     0
    .sgpr_spill_count: 0
    .symbol:         _ZN7rocprim17ROCPRIM_400000_NS6detail17trampoline_kernelINS0_14default_configENS1_29binary_search_config_selectorIxbEEZNS1_14transform_implILb0ES3_S5_N6thrust23THRUST_200600_302600_NS17counting_iteratorIxNS8_11use_defaultESA_SA_EEPbZNS1_13binary_searchIS3_S5_PxSB_SC_NS1_16binary_search_opENS8_6detail16wrapped_functionINS0_4lessIvEEbEEEE10hipError_tPvRmT1_T2_T3_mmT4_T5_P12ihipStream_tbEUlRKxE_EESL_SP_SQ_mSR_SU_bEUlT_E_NS1_11comp_targetILNS1_3genE8ELNS1_11target_archE1030ELNS1_3gpuE2ELNS1_3repE0EEENS1_30default_config_static_selectorELNS0_4arch9wavefront6targetE0EEEvSO_.kd
    .uniform_work_group_size: 1
    .uses_dynamic_stack: false
    .vgpr_count:     0
    .vgpr_spill_count: 0
    .wavefront_size: 32
    .workgroup_processor_mode: 1
  - .args:
      - .offset:         0
        .size:           8
        .value_kind:     by_value
      - .address_space:  global
        .offset:         8
        .size:           8
        .value_kind:     global_buffer
      - .address_space:  global
        .offset:         16
        .size:           8
        .value_kind:     global_buffer
    .group_segment_fixed_size: 0
    .kernarg_segment_align: 8
    .kernarg_segment_size: 24
    .language:       OpenCL C
    .language_version:
      - 2
      - 0
    .max_flat_workgroup_size: 256
    .name:           _Z20binary_search_kernelIiEvmPT_Pb
    .private_segment_fixed_size: 0
    .sgpr_count:     20
    .sgpr_spill_count: 0
    .symbol:         _Z20binary_search_kernelIiEvmPT_Pb.kd
    .uniform_work_group_size: 1
    .uses_dynamic_stack: false
    .vgpr_count:     2
    .vgpr_spill_count: 0
    .wavefront_size: 32
    .workgroup_processor_mode: 1
  - .args:
      - .offset:         0
        .size:           56
        .value_kind:     by_value
    .group_segment_fixed_size: 0
    .kernarg_segment_align: 8
    .kernarg_segment_size: 56
    .language:       OpenCL C
    .language_version:
      - 2
      - 0
    .max_flat_workgroup_size: 256
    .name:           _ZN7rocprim17ROCPRIM_400000_NS6detail17trampoline_kernelINS0_14default_configENS1_29binary_search_config_selectorIibEEZNS1_14transform_implILb0ES3_S5_N6thrust23THRUST_200600_302600_NS17counting_iteratorIiNS8_11use_defaultESA_SA_EEPbZNS1_13binary_searchIS3_S5_PiSB_SC_NS1_16binary_search_opENS8_6detail16wrapped_functionINS0_4lessIvEEbEEEE10hipError_tPvRmT1_T2_T3_mmT4_T5_P12ihipStream_tbEUlRKiE_EESL_SP_SQ_mSR_SU_bEUlT_E_NS1_11comp_targetILNS1_3genE0ELNS1_11target_archE4294967295ELNS1_3gpuE0ELNS1_3repE0EEENS1_30default_config_static_selectorELNS0_4arch9wavefront6targetE0EEEvSO_
    .private_segment_fixed_size: 0
    .sgpr_count:     0
    .sgpr_spill_count: 0
    .symbol:         _ZN7rocprim17ROCPRIM_400000_NS6detail17trampoline_kernelINS0_14default_configENS1_29binary_search_config_selectorIibEEZNS1_14transform_implILb0ES3_S5_N6thrust23THRUST_200600_302600_NS17counting_iteratorIiNS8_11use_defaultESA_SA_EEPbZNS1_13binary_searchIS3_S5_PiSB_SC_NS1_16binary_search_opENS8_6detail16wrapped_functionINS0_4lessIvEEbEEEE10hipError_tPvRmT1_T2_T3_mmT4_T5_P12ihipStream_tbEUlRKiE_EESL_SP_SQ_mSR_SU_bEUlT_E_NS1_11comp_targetILNS1_3genE0ELNS1_11target_archE4294967295ELNS1_3gpuE0ELNS1_3repE0EEENS1_30default_config_static_selectorELNS0_4arch9wavefront6targetE0EEEvSO_.kd
    .uniform_work_group_size: 1
    .uses_dynamic_stack: false
    .vgpr_count:     0
    .vgpr_spill_count: 0
    .wavefront_size: 32
    .workgroup_processor_mode: 1
  - .args:
      - .offset:         0
        .size:           56
        .value_kind:     by_value
    .group_segment_fixed_size: 0
    .kernarg_segment_align: 8
    .kernarg_segment_size: 56
    .language:       OpenCL C
    .language_version:
      - 2
      - 0
    .max_flat_workgroup_size: 256
    .name:           _ZN7rocprim17ROCPRIM_400000_NS6detail17trampoline_kernelINS0_14default_configENS1_29binary_search_config_selectorIibEEZNS1_14transform_implILb0ES3_S5_N6thrust23THRUST_200600_302600_NS17counting_iteratorIiNS8_11use_defaultESA_SA_EEPbZNS1_13binary_searchIS3_S5_PiSB_SC_NS1_16binary_search_opENS8_6detail16wrapped_functionINS0_4lessIvEEbEEEE10hipError_tPvRmT1_T2_T3_mmT4_T5_P12ihipStream_tbEUlRKiE_EESL_SP_SQ_mSR_SU_bEUlT_E_NS1_11comp_targetILNS1_3genE5ELNS1_11target_archE942ELNS1_3gpuE9ELNS1_3repE0EEENS1_30default_config_static_selectorELNS0_4arch9wavefront6targetE0EEEvSO_
    .private_segment_fixed_size: 0
    .sgpr_count:     0
    .sgpr_spill_count: 0
    .symbol:         _ZN7rocprim17ROCPRIM_400000_NS6detail17trampoline_kernelINS0_14default_configENS1_29binary_search_config_selectorIibEEZNS1_14transform_implILb0ES3_S5_N6thrust23THRUST_200600_302600_NS17counting_iteratorIiNS8_11use_defaultESA_SA_EEPbZNS1_13binary_searchIS3_S5_PiSB_SC_NS1_16binary_search_opENS8_6detail16wrapped_functionINS0_4lessIvEEbEEEE10hipError_tPvRmT1_T2_T3_mmT4_T5_P12ihipStream_tbEUlRKiE_EESL_SP_SQ_mSR_SU_bEUlT_E_NS1_11comp_targetILNS1_3genE5ELNS1_11target_archE942ELNS1_3gpuE9ELNS1_3repE0EEENS1_30default_config_static_selectorELNS0_4arch9wavefront6targetE0EEEvSO_.kd
    .uniform_work_group_size: 1
    .uses_dynamic_stack: false
    .vgpr_count:     0
    .vgpr_spill_count: 0
    .wavefront_size: 32
    .workgroup_processor_mode: 1
  - .args:
      - .offset:         0
        .size:           56
        .value_kind:     by_value
    .group_segment_fixed_size: 0
    .kernarg_segment_align: 8
    .kernarg_segment_size: 56
    .language:       OpenCL C
    .language_version:
      - 2
      - 0
    .max_flat_workgroup_size: 256
    .name:           _ZN7rocprim17ROCPRIM_400000_NS6detail17trampoline_kernelINS0_14default_configENS1_29binary_search_config_selectorIibEEZNS1_14transform_implILb0ES3_S5_N6thrust23THRUST_200600_302600_NS17counting_iteratorIiNS8_11use_defaultESA_SA_EEPbZNS1_13binary_searchIS3_S5_PiSB_SC_NS1_16binary_search_opENS8_6detail16wrapped_functionINS0_4lessIvEEbEEEE10hipError_tPvRmT1_T2_T3_mmT4_T5_P12ihipStream_tbEUlRKiE_EESL_SP_SQ_mSR_SU_bEUlT_E_NS1_11comp_targetILNS1_3genE4ELNS1_11target_archE910ELNS1_3gpuE8ELNS1_3repE0EEENS1_30default_config_static_selectorELNS0_4arch9wavefront6targetE0EEEvSO_
    .private_segment_fixed_size: 0
    .sgpr_count:     0
    .sgpr_spill_count: 0
    .symbol:         _ZN7rocprim17ROCPRIM_400000_NS6detail17trampoline_kernelINS0_14default_configENS1_29binary_search_config_selectorIibEEZNS1_14transform_implILb0ES3_S5_N6thrust23THRUST_200600_302600_NS17counting_iteratorIiNS8_11use_defaultESA_SA_EEPbZNS1_13binary_searchIS3_S5_PiSB_SC_NS1_16binary_search_opENS8_6detail16wrapped_functionINS0_4lessIvEEbEEEE10hipError_tPvRmT1_T2_T3_mmT4_T5_P12ihipStream_tbEUlRKiE_EESL_SP_SQ_mSR_SU_bEUlT_E_NS1_11comp_targetILNS1_3genE4ELNS1_11target_archE910ELNS1_3gpuE8ELNS1_3repE0EEENS1_30default_config_static_selectorELNS0_4arch9wavefront6targetE0EEEvSO_.kd
    .uniform_work_group_size: 1
    .uses_dynamic_stack: false
    .vgpr_count:     0
    .vgpr_spill_count: 0
    .wavefront_size: 32
    .workgroup_processor_mode: 1
  - .args:
      - .offset:         0
        .size:           56
        .value_kind:     by_value
    .group_segment_fixed_size: 0
    .kernarg_segment_align: 8
    .kernarg_segment_size: 56
    .language:       OpenCL C
    .language_version:
      - 2
      - 0
    .max_flat_workgroup_size: 256
    .name:           _ZN7rocprim17ROCPRIM_400000_NS6detail17trampoline_kernelINS0_14default_configENS1_29binary_search_config_selectorIibEEZNS1_14transform_implILb0ES3_S5_N6thrust23THRUST_200600_302600_NS17counting_iteratorIiNS8_11use_defaultESA_SA_EEPbZNS1_13binary_searchIS3_S5_PiSB_SC_NS1_16binary_search_opENS8_6detail16wrapped_functionINS0_4lessIvEEbEEEE10hipError_tPvRmT1_T2_T3_mmT4_T5_P12ihipStream_tbEUlRKiE_EESL_SP_SQ_mSR_SU_bEUlT_E_NS1_11comp_targetILNS1_3genE3ELNS1_11target_archE908ELNS1_3gpuE7ELNS1_3repE0EEENS1_30default_config_static_selectorELNS0_4arch9wavefront6targetE0EEEvSO_
    .private_segment_fixed_size: 0
    .sgpr_count:     0
    .sgpr_spill_count: 0
    .symbol:         _ZN7rocprim17ROCPRIM_400000_NS6detail17trampoline_kernelINS0_14default_configENS1_29binary_search_config_selectorIibEEZNS1_14transform_implILb0ES3_S5_N6thrust23THRUST_200600_302600_NS17counting_iteratorIiNS8_11use_defaultESA_SA_EEPbZNS1_13binary_searchIS3_S5_PiSB_SC_NS1_16binary_search_opENS8_6detail16wrapped_functionINS0_4lessIvEEbEEEE10hipError_tPvRmT1_T2_T3_mmT4_T5_P12ihipStream_tbEUlRKiE_EESL_SP_SQ_mSR_SU_bEUlT_E_NS1_11comp_targetILNS1_3genE3ELNS1_11target_archE908ELNS1_3gpuE7ELNS1_3repE0EEENS1_30default_config_static_selectorELNS0_4arch9wavefront6targetE0EEEvSO_.kd
    .uniform_work_group_size: 1
    .uses_dynamic_stack: false
    .vgpr_count:     0
    .vgpr_spill_count: 0
    .wavefront_size: 32
    .workgroup_processor_mode: 1
  - .args:
      - .offset:         0
        .size:           56
        .value_kind:     by_value
    .group_segment_fixed_size: 0
    .kernarg_segment_align: 8
    .kernarg_segment_size: 56
    .language:       OpenCL C
    .language_version:
      - 2
      - 0
    .max_flat_workgroup_size: 256
    .name:           _ZN7rocprim17ROCPRIM_400000_NS6detail17trampoline_kernelINS0_14default_configENS1_29binary_search_config_selectorIibEEZNS1_14transform_implILb0ES3_S5_N6thrust23THRUST_200600_302600_NS17counting_iteratorIiNS8_11use_defaultESA_SA_EEPbZNS1_13binary_searchIS3_S5_PiSB_SC_NS1_16binary_search_opENS8_6detail16wrapped_functionINS0_4lessIvEEbEEEE10hipError_tPvRmT1_T2_T3_mmT4_T5_P12ihipStream_tbEUlRKiE_EESL_SP_SQ_mSR_SU_bEUlT_E_NS1_11comp_targetILNS1_3genE2ELNS1_11target_archE906ELNS1_3gpuE6ELNS1_3repE0EEENS1_30default_config_static_selectorELNS0_4arch9wavefront6targetE0EEEvSO_
    .private_segment_fixed_size: 0
    .sgpr_count:     0
    .sgpr_spill_count: 0
    .symbol:         _ZN7rocprim17ROCPRIM_400000_NS6detail17trampoline_kernelINS0_14default_configENS1_29binary_search_config_selectorIibEEZNS1_14transform_implILb0ES3_S5_N6thrust23THRUST_200600_302600_NS17counting_iteratorIiNS8_11use_defaultESA_SA_EEPbZNS1_13binary_searchIS3_S5_PiSB_SC_NS1_16binary_search_opENS8_6detail16wrapped_functionINS0_4lessIvEEbEEEE10hipError_tPvRmT1_T2_T3_mmT4_T5_P12ihipStream_tbEUlRKiE_EESL_SP_SQ_mSR_SU_bEUlT_E_NS1_11comp_targetILNS1_3genE2ELNS1_11target_archE906ELNS1_3gpuE6ELNS1_3repE0EEENS1_30default_config_static_selectorELNS0_4arch9wavefront6targetE0EEEvSO_.kd
    .uniform_work_group_size: 1
    .uses_dynamic_stack: false
    .vgpr_count:     0
    .vgpr_spill_count: 0
    .wavefront_size: 32
    .workgroup_processor_mode: 1
  - .args:
      - .offset:         0
        .size:           56
        .value_kind:     by_value
    .group_segment_fixed_size: 0
    .kernarg_segment_align: 8
    .kernarg_segment_size: 56
    .language:       OpenCL C
    .language_version:
      - 2
      - 0
    .max_flat_workgroup_size: 128
    .name:           _ZN7rocprim17ROCPRIM_400000_NS6detail17trampoline_kernelINS0_14default_configENS1_29binary_search_config_selectorIibEEZNS1_14transform_implILb0ES3_S5_N6thrust23THRUST_200600_302600_NS17counting_iteratorIiNS8_11use_defaultESA_SA_EEPbZNS1_13binary_searchIS3_S5_PiSB_SC_NS1_16binary_search_opENS8_6detail16wrapped_functionINS0_4lessIvEEbEEEE10hipError_tPvRmT1_T2_T3_mmT4_T5_P12ihipStream_tbEUlRKiE_EESL_SP_SQ_mSR_SU_bEUlT_E_NS1_11comp_targetILNS1_3genE10ELNS1_11target_archE1201ELNS1_3gpuE5ELNS1_3repE0EEENS1_30default_config_static_selectorELNS0_4arch9wavefront6targetE0EEEvSO_
    .private_segment_fixed_size: 0
    .sgpr_count:     0
    .sgpr_spill_count: 0
    .symbol:         _ZN7rocprim17ROCPRIM_400000_NS6detail17trampoline_kernelINS0_14default_configENS1_29binary_search_config_selectorIibEEZNS1_14transform_implILb0ES3_S5_N6thrust23THRUST_200600_302600_NS17counting_iteratorIiNS8_11use_defaultESA_SA_EEPbZNS1_13binary_searchIS3_S5_PiSB_SC_NS1_16binary_search_opENS8_6detail16wrapped_functionINS0_4lessIvEEbEEEE10hipError_tPvRmT1_T2_T3_mmT4_T5_P12ihipStream_tbEUlRKiE_EESL_SP_SQ_mSR_SU_bEUlT_E_NS1_11comp_targetILNS1_3genE10ELNS1_11target_archE1201ELNS1_3gpuE5ELNS1_3repE0EEENS1_30default_config_static_selectorELNS0_4arch9wavefront6targetE0EEEvSO_.kd
    .uniform_work_group_size: 1
    .uses_dynamic_stack: false
    .vgpr_count:     0
    .vgpr_spill_count: 0
    .wavefront_size: 32
    .workgroup_processor_mode: 1
  - .args:
      - .offset:         0
        .size:           56
        .value_kind:     by_value
    .group_segment_fixed_size: 0
    .kernarg_segment_align: 8
    .kernarg_segment_size: 56
    .language:       OpenCL C
    .language_version:
      - 2
      - 0
    .max_flat_workgroup_size: 128
    .name:           _ZN7rocprim17ROCPRIM_400000_NS6detail17trampoline_kernelINS0_14default_configENS1_29binary_search_config_selectorIibEEZNS1_14transform_implILb0ES3_S5_N6thrust23THRUST_200600_302600_NS17counting_iteratorIiNS8_11use_defaultESA_SA_EEPbZNS1_13binary_searchIS3_S5_PiSB_SC_NS1_16binary_search_opENS8_6detail16wrapped_functionINS0_4lessIvEEbEEEE10hipError_tPvRmT1_T2_T3_mmT4_T5_P12ihipStream_tbEUlRKiE_EESL_SP_SQ_mSR_SU_bEUlT_E_NS1_11comp_targetILNS1_3genE10ELNS1_11target_archE1200ELNS1_3gpuE4ELNS1_3repE0EEENS1_30default_config_static_selectorELNS0_4arch9wavefront6targetE0EEEvSO_
    .private_segment_fixed_size: 0
    .sgpr_count:     0
    .sgpr_spill_count: 0
    .symbol:         _ZN7rocprim17ROCPRIM_400000_NS6detail17trampoline_kernelINS0_14default_configENS1_29binary_search_config_selectorIibEEZNS1_14transform_implILb0ES3_S5_N6thrust23THRUST_200600_302600_NS17counting_iteratorIiNS8_11use_defaultESA_SA_EEPbZNS1_13binary_searchIS3_S5_PiSB_SC_NS1_16binary_search_opENS8_6detail16wrapped_functionINS0_4lessIvEEbEEEE10hipError_tPvRmT1_T2_T3_mmT4_T5_P12ihipStream_tbEUlRKiE_EESL_SP_SQ_mSR_SU_bEUlT_E_NS1_11comp_targetILNS1_3genE10ELNS1_11target_archE1200ELNS1_3gpuE4ELNS1_3repE0EEENS1_30default_config_static_selectorELNS0_4arch9wavefront6targetE0EEEvSO_.kd
    .uniform_work_group_size: 1
    .uses_dynamic_stack: false
    .vgpr_count:     0
    .vgpr_spill_count: 0
    .wavefront_size: 32
    .workgroup_processor_mode: 1
  - .args:
      - .offset:         0
        .size:           56
        .value_kind:     by_value
      - .offset:         56
        .size:           4
        .value_kind:     hidden_block_count_x
      - .offset:         60
        .size:           4
        .value_kind:     hidden_block_count_y
      - .offset:         64
        .size:           4
        .value_kind:     hidden_block_count_z
      - .offset:         68
        .size:           2
        .value_kind:     hidden_group_size_x
      - .offset:         70
        .size:           2
        .value_kind:     hidden_group_size_y
      - .offset:         72
        .size:           2
        .value_kind:     hidden_group_size_z
      - .offset:         74
        .size:           2
        .value_kind:     hidden_remainder_x
      - .offset:         76
        .size:           2
        .value_kind:     hidden_remainder_y
      - .offset:         78
        .size:           2
        .value_kind:     hidden_remainder_z
      - .offset:         96
        .size:           8
        .value_kind:     hidden_global_offset_x
      - .offset:         104
        .size:           8
        .value_kind:     hidden_global_offset_y
      - .offset:         112
        .size:           8
        .value_kind:     hidden_global_offset_z
      - .offset:         120
        .size:           2
        .value_kind:     hidden_grid_dims
    .group_segment_fixed_size: 0
    .kernarg_segment_align: 8
    .kernarg_segment_size: 312
    .language:       OpenCL C
    .language_version:
      - 2
      - 0
    .max_flat_workgroup_size: 256
    .name:           _ZN7rocprim17ROCPRIM_400000_NS6detail17trampoline_kernelINS0_14default_configENS1_29binary_search_config_selectorIibEEZNS1_14transform_implILb0ES3_S5_N6thrust23THRUST_200600_302600_NS17counting_iteratorIiNS8_11use_defaultESA_SA_EEPbZNS1_13binary_searchIS3_S5_PiSB_SC_NS1_16binary_search_opENS8_6detail16wrapped_functionINS0_4lessIvEEbEEEE10hipError_tPvRmT1_T2_T3_mmT4_T5_P12ihipStream_tbEUlRKiE_EESL_SP_SQ_mSR_SU_bEUlT_E_NS1_11comp_targetILNS1_3genE9ELNS1_11target_archE1100ELNS1_3gpuE3ELNS1_3repE0EEENS1_30default_config_static_selectorELNS0_4arch9wavefront6targetE0EEEvSO_
    .private_segment_fixed_size: 0
    .sgpr_count:     18
    .sgpr_spill_count: 0
    .symbol:         _ZN7rocprim17ROCPRIM_400000_NS6detail17trampoline_kernelINS0_14default_configENS1_29binary_search_config_selectorIibEEZNS1_14transform_implILb0ES3_S5_N6thrust23THRUST_200600_302600_NS17counting_iteratorIiNS8_11use_defaultESA_SA_EEPbZNS1_13binary_searchIS3_S5_PiSB_SC_NS1_16binary_search_opENS8_6detail16wrapped_functionINS0_4lessIvEEbEEEE10hipError_tPvRmT1_T2_T3_mmT4_T5_P12ihipStream_tbEUlRKiE_EESL_SP_SQ_mSR_SU_bEUlT_E_NS1_11comp_targetILNS1_3genE9ELNS1_11target_archE1100ELNS1_3gpuE3ELNS1_3repE0EEENS1_30default_config_static_selectorELNS0_4arch9wavefront6targetE0EEEvSO_.kd
    .uniform_work_group_size: 1
    .uses_dynamic_stack: false
    .vgpr_count:     11
    .vgpr_spill_count: 0
    .wavefront_size: 32
    .workgroup_processor_mode: 1
  - .args:
      - .offset:         0
        .size:           56
        .value_kind:     by_value
    .group_segment_fixed_size: 0
    .kernarg_segment_align: 8
    .kernarg_segment_size: 56
    .language:       OpenCL C
    .language_version:
      - 2
      - 0
    .max_flat_workgroup_size: 256
    .name:           _ZN7rocprim17ROCPRIM_400000_NS6detail17trampoline_kernelINS0_14default_configENS1_29binary_search_config_selectorIibEEZNS1_14transform_implILb0ES3_S5_N6thrust23THRUST_200600_302600_NS17counting_iteratorIiNS8_11use_defaultESA_SA_EEPbZNS1_13binary_searchIS3_S5_PiSB_SC_NS1_16binary_search_opENS8_6detail16wrapped_functionINS0_4lessIvEEbEEEE10hipError_tPvRmT1_T2_T3_mmT4_T5_P12ihipStream_tbEUlRKiE_EESL_SP_SQ_mSR_SU_bEUlT_E_NS1_11comp_targetILNS1_3genE8ELNS1_11target_archE1030ELNS1_3gpuE2ELNS1_3repE0EEENS1_30default_config_static_selectorELNS0_4arch9wavefront6targetE0EEEvSO_
    .private_segment_fixed_size: 0
    .sgpr_count:     0
    .sgpr_spill_count: 0
    .symbol:         _ZN7rocprim17ROCPRIM_400000_NS6detail17trampoline_kernelINS0_14default_configENS1_29binary_search_config_selectorIibEEZNS1_14transform_implILb0ES3_S5_N6thrust23THRUST_200600_302600_NS17counting_iteratorIiNS8_11use_defaultESA_SA_EEPbZNS1_13binary_searchIS3_S5_PiSB_SC_NS1_16binary_search_opENS8_6detail16wrapped_functionINS0_4lessIvEEbEEEE10hipError_tPvRmT1_T2_T3_mmT4_T5_P12ihipStream_tbEUlRKiE_EESL_SP_SQ_mSR_SU_bEUlT_E_NS1_11comp_targetILNS1_3genE8ELNS1_11target_archE1030ELNS1_3gpuE2ELNS1_3repE0EEENS1_30default_config_static_selectorELNS0_4arch9wavefront6targetE0EEEvSO_.kd
    .uniform_work_group_size: 1
    .uses_dynamic_stack: false
    .vgpr_count:     0
    .vgpr_spill_count: 0
    .wavefront_size: 32
    .workgroup_processor_mode: 1
  - .args:
      - .offset:         0
        .size:           8
        .value_kind:     by_value
      - .address_space:  global
        .offset:         8
        .size:           8
        .value_kind:     global_buffer
      - .address_space:  global
        .offset:         16
        .size:           8
        .value_kind:     global_buffer
    .group_segment_fixed_size: 0
    .kernarg_segment_align: 8
    .kernarg_segment_size: 24
    .language:       OpenCL C
    .language_version:
      - 2
      - 0
    .max_flat_workgroup_size: 256
    .name:           _Z20binary_search_kernelIsEvmPT_Pb
    .private_segment_fixed_size: 0
    .sgpr_count:     20
    .sgpr_spill_count: 0
    .symbol:         _Z20binary_search_kernelIsEvmPT_Pb.kd
    .uniform_work_group_size: 1
    .uses_dynamic_stack: false
    .vgpr_count:     2
    .vgpr_spill_count: 0
    .wavefront_size: 32
    .workgroup_processor_mode: 1
  - .args:
      - .offset:         0
        .size:           56
        .value_kind:     by_value
    .group_segment_fixed_size: 0
    .kernarg_segment_align: 8
    .kernarg_segment_size: 56
    .language:       OpenCL C
    .language_version:
      - 2
      - 0
    .max_flat_workgroup_size: 128
    .name:           _ZN7rocprim17ROCPRIM_400000_NS6detail17trampoline_kernelINS0_14default_configENS1_29binary_search_config_selectorIsbEEZNS1_14transform_implILb0ES3_S5_N6thrust23THRUST_200600_302600_NS17counting_iteratorIsNS8_11use_defaultESA_SA_EEPbZNS1_13binary_searchIS3_S5_PsSB_SC_NS1_16binary_search_opENS8_6detail16wrapped_functionINS0_4lessIvEEbEEEE10hipError_tPvRmT1_T2_T3_mmT4_T5_P12ihipStream_tbEUlRKsE_EESL_SP_SQ_mSR_SU_bEUlT_E_NS1_11comp_targetILNS1_3genE0ELNS1_11target_archE4294967295ELNS1_3gpuE0ELNS1_3repE0EEENS1_30default_config_static_selectorELNS0_4arch9wavefront6targetE0EEEvSO_
    .private_segment_fixed_size: 0
    .sgpr_count:     0
    .sgpr_spill_count: 0
    .symbol:         _ZN7rocprim17ROCPRIM_400000_NS6detail17trampoline_kernelINS0_14default_configENS1_29binary_search_config_selectorIsbEEZNS1_14transform_implILb0ES3_S5_N6thrust23THRUST_200600_302600_NS17counting_iteratorIsNS8_11use_defaultESA_SA_EEPbZNS1_13binary_searchIS3_S5_PsSB_SC_NS1_16binary_search_opENS8_6detail16wrapped_functionINS0_4lessIvEEbEEEE10hipError_tPvRmT1_T2_T3_mmT4_T5_P12ihipStream_tbEUlRKsE_EESL_SP_SQ_mSR_SU_bEUlT_E_NS1_11comp_targetILNS1_3genE0ELNS1_11target_archE4294967295ELNS1_3gpuE0ELNS1_3repE0EEENS1_30default_config_static_selectorELNS0_4arch9wavefront6targetE0EEEvSO_.kd
    .uniform_work_group_size: 1
    .uses_dynamic_stack: false
    .vgpr_count:     0
    .vgpr_spill_count: 0
    .wavefront_size: 32
    .workgroup_processor_mode: 1
  - .args:
      - .offset:         0
        .size:           56
        .value_kind:     by_value
    .group_segment_fixed_size: 0
    .kernarg_segment_align: 8
    .kernarg_segment_size: 56
    .language:       OpenCL C
    .language_version:
      - 2
      - 0
    .max_flat_workgroup_size: 256
    .name:           _ZN7rocprim17ROCPRIM_400000_NS6detail17trampoline_kernelINS0_14default_configENS1_29binary_search_config_selectorIsbEEZNS1_14transform_implILb0ES3_S5_N6thrust23THRUST_200600_302600_NS17counting_iteratorIsNS8_11use_defaultESA_SA_EEPbZNS1_13binary_searchIS3_S5_PsSB_SC_NS1_16binary_search_opENS8_6detail16wrapped_functionINS0_4lessIvEEbEEEE10hipError_tPvRmT1_T2_T3_mmT4_T5_P12ihipStream_tbEUlRKsE_EESL_SP_SQ_mSR_SU_bEUlT_E_NS1_11comp_targetILNS1_3genE5ELNS1_11target_archE942ELNS1_3gpuE9ELNS1_3repE0EEENS1_30default_config_static_selectorELNS0_4arch9wavefront6targetE0EEEvSO_
    .private_segment_fixed_size: 0
    .sgpr_count:     0
    .sgpr_spill_count: 0
    .symbol:         _ZN7rocprim17ROCPRIM_400000_NS6detail17trampoline_kernelINS0_14default_configENS1_29binary_search_config_selectorIsbEEZNS1_14transform_implILb0ES3_S5_N6thrust23THRUST_200600_302600_NS17counting_iteratorIsNS8_11use_defaultESA_SA_EEPbZNS1_13binary_searchIS3_S5_PsSB_SC_NS1_16binary_search_opENS8_6detail16wrapped_functionINS0_4lessIvEEbEEEE10hipError_tPvRmT1_T2_T3_mmT4_T5_P12ihipStream_tbEUlRKsE_EESL_SP_SQ_mSR_SU_bEUlT_E_NS1_11comp_targetILNS1_3genE5ELNS1_11target_archE942ELNS1_3gpuE9ELNS1_3repE0EEENS1_30default_config_static_selectorELNS0_4arch9wavefront6targetE0EEEvSO_.kd
    .uniform_work_group_size: 1
    .uses_dynamic_stack: false
    .vgpr_count:     0
    .vgpr_spill_count: 0
    .wavefront_size: 32
    .workgroup_processor_mode: 1
  - .args:
      - .offset:         0
        .size:           56
        .value_kind:     by_value
    .group_segment_fixed_size: 0
    .kernarg_segment_align: 8
    .kernarg_segment_size: 56
    .language:       OpenCL C
    .language_version:
      - 2
      - 0
    .max_flat_workgroup_size: 256
    .name:           _ZN7rocprim17ROCPRIM_400000_NS6detail17trampoline_kernelINS0_14default_configENS1_29binary_search_config_selectorIsbEEZNS1_14transform_implILb0ES3_S5_N6thrust23THRUST_200600_302600_NS17counting_iteratorIsNS8_11use_defaultESA_SA_EEPbZNS1_13binary_searchIS3_S5_PsSB_SC_NS1_16binary_search_opENS8_6detail16wrapped_functionINS0_4lessIvEEbEEEE10hipError_tPvRmT1_T2_T3_mmT4_T5_P12ihipStream_tbEUlRKsE_EESL_SP_SQ_mSR_SU_bEUlT_E_NS1_11comp_targetILNS1_3genE4ELNS1_11target_archE910ELNS1_3gpuE8ELNS1_3repE0EEENS1_30default_config_static_selectorELNS0_4arch9wavefront6targetE0EEEvSO_
    .private_segment_fixed_size: 0
    .sgpr_count:     0
    .sgpr_spill_count: 0
    .symbol:         _ZN7rocprim17ROCPRIM_400000_NS6detail17trampoline_kernelINS0_14default_configENS1_29binary_search_config_selectorIsbEEZNS1_14transform_implILb0ES3_S5_N6thrust23THRUST_200600_302600_NS17counting_iteratorIsNS8_11use_defaultESA_SA_EEPbZNS1_13binary_searchIS3_S5_PsSB_SC_NS1_16binary_search_opENS8_6detail16wrapped_functionINS0_4lessIvEEbEEEE10hipError_tPvRmT1_T2_T3_mmT4_T5_P12ihipStream_tbEUlRKsE_EESL_SP_SQ_mSR_SU_bEUlT_E_NS1_11comp_targetILNS1_3genE4ELNS1_11target_archE910ELNS1_3gpuE8ELNS1_3repE0EEENS1_30default_config_static_selectorELNS0_4arch9wavefront6targetE0EEEvSO_.kd
    .uniform_work_group_size: 1
    .uses_dynamic_stack: false
    .vgpr_count:     0
    .vgpr_spill_count: 0
    .wavefront_size: 32
    .workgroup_processor_mode: 1
  - .args:
      - .offset:         0
        .size:           56
        .value_kind:     by_value
    .group_segment_fixed_size: 0
    .kernarg_segment_align: 8
    .kernarg_segment_size: 56
    .language:       OpenCL C
    .language_version:
      - 2
      - 0
    .max_flat_workgroup_size: 128
    .name:           _ZN7rocprim17ROCPRIM_400000_NS6detail17trampoline_kernelINS0_14default_configENS1_29binary_search_config_selectorIsbEEZNS1_14transform_implILb0ES3_S5_N6thrust23THRUST_200600_302600_NS17counting_iteratorIsNS8_11use_defaultESA_SA_EEPbZNS1_13binary_searchIS3_S5_PsSB_SC_NS1_16binary_search_opENS8_6detail16wrapped_functionINS0_4lessIvEEbEEEE10hipError_tPvRmT1_T2_T3_mmT4_T5_P12ihipStream_tbEUlRKsE_EESL_SP_SQ_mSR_SU_bEUlT_E_NS1_11comp_targetILNS1_3genE3ELNS1_11target_archE908ELNS1_3gpuE7ELNS1_3repE0EEENS1_30default_config_static_selectorELNS0_4arch9wavefront6targetE0EEEvSO_
    .private_segment_fixed_size: 0
    .sgpr_count:     0
    .sgpr_spill_count: 0
    .symbol:         _ZN7rocprim17ROCPRIM_400000_NS6detail17trampoline_kernelINS0_14default_configENS1_29binary_search_config_selectorIsbEEZNS1_14transform_implILb0ES3_S5_N6thrust23THRUST_200600_302600_NS17counting_iteratorIsNS8_11use_defaultESA_SA_EEPbZNS1_13binary_searchIS3_S5_PsSB_SC_NS1_16binary_search_opENS8_6detail16wrapped_functionINS0_4lessIvEEbEEEE10hipError_tPvRmT1_T2_T3_mmT4_T5_P12ihipStream_tbEUlRKsE_EESL_SP_SQ_mSR_SU_bEUlT_E_NS1_11comp_targetILNS1_3genE3ELNS1_11target_archE908ELNS1_3gpuE7ELNS1_3repE0EEENS1_30default_config_static_selectorELNS0_4arch9wavefront6targetE0EEEvSO_.kd
    .uniform_work_group_size: 1
    .uses_dynamic_stack: false
    .vgpr_count:     0
    .vgpr_spill_count: 0
    .wavefront_size: 32
    .workgroup_processor_mode: 1
  - .args:
      - .offset:         0
        .size:           56
        .value_kind:     by_value
    .group_segment_fixed_size: 0
    .kernarg_segment_align: 8
    .kernarg_segment_size: 56
    .language:       OpenCL C
    .language_version:
      - 2
      - 0
    .max_flat_workgroup_size: 256
    .name:           _ZN7rocprim17ROCPRIM_400000_NS6detail17trampoline_kernelINS0_14default_configENS1_29binary_search_config_selectorIsbEEZNS1_14transform_implILb0ES3_S5_N6thrust23THRUST_200600_302600_NS17counting_iteratorIsNS8_11use_defaultESA_SA_EEPbZNS1_13binary_searchIS3_S5_PsSB_SC_NS1_16binary_search_opENS8_6detail16wrapped_functionINS0_4lessIvEEbEEEE10hipError_tPvRmT1_T2_T3_mmT4_T5_P12ihipStream_tbEUlRKsE_EESL_SP_SQ_mSR_SU_bEUlT_E_NS1_11comp_targetILNS1_3genE2ELNS1_11target_archE906ELNS1_3gpuE6ELNS1_3repE0EEENS1_30default_config_static_selectorELNS0_4arch9wavefront6targetE0EEEvSO_
    .private_segment_fixed_size: 0
    .sgpr_count:     0
    .sgpr_spill_count: 0
    .symbol:         _ZN7rocprim17ROCPRIM_400000_NS6detail17trampoline_kernelINS0_14default_configENS1_29binary_search_config_selectorIsbEEZNS1_14transform_implILb0ES3_S5_N6thrust23THRUST_200600_302600_NS17counting_iteratorIsNS8_11use_defaultESA_SA_EEPbZNS1_13binary_searchIS3_S5_PsSB_SC_NS1_16binary_search_opENS8_6detail16wrapped_functionINS0_4lessIvEEbEEEE10hipError_tPvRmT1_T2_T3_mmT4_T5_P12ihipStream_tbEUlRKsE_EESL_SP_SQ_mSR_SU_bEUlT_E_NS1_11comp_targetILNS1_3genE2ELNS1_11target_archE906ELNS1_3gpuE6ELNS1_3repE0EEENS1_30default_config_static_selectorELNS0_4arch9wavefront6targetE0EEEvSO_.kd
    .uniform_work_group_size: 1
    .uses_dynamic_stack: false
    .vgpr_count:     0
    .vgpr_spill_count: 0
    .wavefront_size: 32
    .workgroup_processor_mode: 1
  - .args:
      - .offset:         0
        .size:           56
        .value_kind:     by_value
    .group_segment_fixed_size: 0
    .kernarg_segment_align: 8
    .kernarg_segment_size: 56
    .language:       OpenCL C
    .language_version:
      - 2
      - 0
    .max_flat_workgroup_size: 256
    .name:           _ZN7rocprim17ROCPRIM_400000_NS6detail17trampoline_kernelINS0_14default_configENS1_29binary_search_config_selectorIsbEEZNS1_14transform_implILb0ES3_S5_N6thrust23THRUST_200600_302600_NS17counting_iteratorIsNS8_11use_defaultESA_SA_EEPbZNS1_13binary_searchIS3_S5_PsSB_SC_NS1_16binary_search_opENS8_6detail16wrapped_functionINS0_4lessIvEEbEEEE10hipError_tPvRmT1_T2_T3_mmT4_T5_P12ihipStream_tbEUlRKsE_EESL_SP_SQ_mSR_SU_bEUlT_E_NS1_11comp_targetILNS1_3genE10ELNS1_11target_archE1201ELNS1_3gpuE5ELNS1_3repE0EEENS1_30default_config_static_selectorELNS0_4arch9wavefront6targetE0EEEvSO_
    .private_segment_fixed_size: 0
    .sgpr_count:     0
    .sgpr_spill_count: 0
    .symbol:         _ZN7rocprim17ROCPRIM_400000_NS6detail17trampoline_kernelINS0_14default_configENS1_29binary_search_config_selectorIsbEEZNS1_14transform_implILb0ES3_S5_N6thrust23THRUST_200600_302600_NS17counting_iteratorIsNS8_11use_defaultESA_SA_EEPbZNS1_13binary_searchIS3_S5_PsSB_SC_NS1_16binary_search_opENS8_6detail16wrapped_functionINS0_4lessIvEEbEEEE10hipError_tPvRmT1_T2_T3_mmT4_T5_P12ihipStream_tbEUlRKsE_EESL_SP_SQ_mSR_SU_bEUlT_E_NS1_11comp_targetILNS1_3genE10ELNS1_11target_archE1201ELNS1_3gpuE5ELNS1_3repE0EEENS1_30default_config_static_selectorELNS0_4arch9wavefront6targetE0EEEvSO_.kd
    .uniform_work_group_size: 1
    .uses_dynamic_stack: false
    .vgpr_count:     0
    .vgpr_spill_count: 0
    .wavefront_size: 32
    .workgroup_processor_mode: 1
  - .args:
      - .offset:         0
        .size:           56
        .value_kind:     by_value
    .group_segment_fixed_size: 0
    .kernarg_segment_align: 8
    .kernarg_segment_size: 56
    .language:       OpenCL C
    .language_version:
      - 2
      - 0
    .max_flat_workgroup_size: 256
    .name:           _ZN7rocprim17ROCPRIM_400000_NS6detail17trampoline_kernelINS0_14default_configENS1_29binary_search_config_selectorIsbEEZNS1_14transform_implILb0ES3_S5_N6thrust23THRUST_200600_302600_NS17counting_iteratorIsNS8_11use_defaultESA_SA_EEPbZNS1_13binary_searchIS3_S5_PsSB_SC_NS1_16binary_search_opENS8_6detail16wrapped_functionINS0_4lessIvEEbEEEE10hipError_tPvRmT1_T2_T3_mmT4_T5_P12ihipStream_tbEUlRKsE_EESL_SP_SQ_mSR_SU_bEUlT_E_NS1_11comp_targetILNS1_3genE10ELNS1_11target_archE1200ELNS1_3gpuE4ELNS1_3repE0EEENS1_30default_config_static_selectorELNS0_4arch9wavefront6targetE0EEEvSO_
    .private_segment_fixed_size: 0
    .sgpr_count:     0
    .sgpr_spill_count: 0
    .symbol:         _ZN7rocprim17ROCPRIM_400000_NS6detail17trampoline_kernelINS0_14default_configENS1_29binary_search_config_selectorIsbEEZNS1_14transform_implILb0ES3_S5_N6thrust23THRUST_200600_302600_NS17counting_iteratorIsNS8_11use_defaultESA_SA_EEPbZNS1_13binary_searchIS3_S5_PsSB_SC_NS1_16binary_search_opENS8_6detail16wrapped_functionINS0_4lessIvEEbEEEE10hipError_tPvRmT1_T2_T3_mmT4_T5_P12ihipStream_tbEUlRKsE_EESL_SP_SQ_mSR_SU_bEUlT_E_NS1_11comp_targetILNS1_3genE10ELNS1_11target_archE1200ELNS1_3gpuE4ELNS1_3repE0EEENS1_30default_config_static_selectorELNS0_4arch9wavefront6targetE0EEEvSO_.kd
    .uniform_work_group_size: 1
    .uses_dynamic_stack: false
    .vgpr_count:     0
    .vgpr_spill_count: 0
    .wavefront_size: 32
    .workgroup_processor_mode: 1
  - .args:
      - .offset:         0
        .size:           56
        .value_kind:     by_value
      - .offset:         56
        .size:           4
        .value_kind:     hidden_block_count_x
      - .offset:         60
        .size:           4
        .value_kind:     hidden_block_count_y
      - .offset:         64
        .size:           4
        .value_kind:     hidden_block_count_z
      - .offset:         68
        .size:           2
        .value_kind:     hidden_group_size_x
      - .offset:         70
        .size:           2
        .value_kind:     hidden_group_size_y
      - .offset:         72
        .size:           2
        .value_kind:     hidden_group_size_z
      - .offset:         74
        .size:           2
        .value_kind:     hidden_remainder_x
      - .offset:         76
        .size:           2
        .value_kind:     hidden_remainder_y
      - .offset:         78
        .size:           2
        .value_kind:     hidden_remainder_z
      - .offset:         96
        .size:           8
        .value_kind:     hidden_global_offset_x
      - .offset:         104
        .size:           8
        .value_kind:     hidden_global_offset_y
      - .offset:         112
        .size:           8
        .value_kind:     hidden_global_offset_z
      - .offset:         120
        .size:           2
        .value_kind:     hidden_grid_dims
    .group_segment_fixed_size: 0
    .kernarg_segment_align: 8
    .kernarg_segment_size: 312
    .language:       OpenCL C
    .language_version:
      - 2
      - 0
    .max_flat_workgroup_size: 64
    .name:           _ZN7rocprim17ROCPRIM_400000_NS6detail17trampoline_kernelINS0_14default_configENS1_29binary_search_config_selectorIsbEEZNS1_14transform_implILb0ES3_S5_N6thrust23THRUST_200600_302600_NS17counting_iteratorIsNS8_11use_defaultESA_SA_EEPbZNS1_13binary_searchIS3_S5_PsSB_SC_NS1_16binary_search_opENS8_6detail16wrapped_functionINS0_4lessIvEEbEEEE10hipError_tPvRmT1_T2_T3_mmT4_T5_P12ihipStream_tbEUlRKsE_EESL_SP_SQ_mSR_SU_bEUlT_E_NS1_11comp_targetILNS1_3genE9ELNS1_11target_archE1100ELNS1_3gpuE3ELNS1_3repE0EEENS1_30default_config_static_selectorELNS0_4arch9wavefront6targetE0EEEvSO_
    .private_segment_fixed_size: 0
    .sgpr_count:     22
    .sgpr_spill_count: 0
    .symbol:         _ZN7rocprim17ROCPRIM_400000_NS6detail17trampoline_kernelINS0_14default_configENS1_29binary_search_config_selectorIsbEEZNS1_14transform_implILb0ES3_S5_N6thrust23THRUST_200600_302600_NS17counting_iteratorIsNS8_11use_defaultESA_SA_EEPbZNS1_13binary_searchIS3_S5_PsSB_SC_NS1_16binary_search_opENS8_6detail16wrapped_functionINS0_4lessIvEEbEEEE10hipError_tPvRmT1_T2_T3_mmT4_T5_P12ihipStream_tbEUlRKsE_EESL_SP_SQ_mSR_SU_bEUlT_E_NS1_11comp_targetILNS1_3genE9ELNS1_11target_archE1100ELNS1_3gpuE3ELNS1_3repE0EEENS1_30default_config_static_selectorELNS0_4arch9wavefront6targetE0EEEvSO_.kd
    .uniform_work_group_size: 1
    .uses_dynamic_stack: false
    .vgpr_count:     18
    .vgpr_spill_count: 0
    .wavefront_size: 32
    .workgroup_processor_mode: 1
  - .args:
      - .offset:         0
        .size:           56
        .value_kind:     by_value
    .group_segment_fixed_size: 0
    .kernarg_segment_align: 8
    .kernarg_segment_size: 56
    .language:       OpenCL C
    .language_version:
      - 2
      - 0
    .max_flat_workgroup_size: 128
    .name:           _ZN7rocprim17ROCPRIM_400000_NS6detail17trampoline_kernelINS0_14default_configENS1_29binary_search_config_selectorIsbEEZNS1_14transform_implILb0ES3_S5_N6thrust23THRUST_200600_302600_NS17counting_iteratorIsNS8_11use_defaultESA_SA_EEPbZNS1_13binary_searchIS3_S5_PsSB_SC_NS1_16binary_search_opENS8_6detail16wrapped_functionINS0_4lessIvEEbEEEE10hipError_tPvRmT1_T2_T3_mmT4_T5_P12ihipStream_tbEUlRKsE_EESL_SP_SQ_mSR_SU_bEUlT_E_NS1_11comp_targetILNS1_3genE8ELNS1_11target_archE1030ELNS1_3gpuE2ELNS1_3repE0EEENS1_30default_config_static_selectorELNS0_4arch9wavefront6targetE0EEEvSO_
    .private_segment_fixed_size: 0
    .sgpr_count:     0
    .sgpr_spill_count: 0
    .symbol:         _ZN7rocprim17ROCPRIM_400000_NS6detail17trampoline_kernelINS0_14default_configENS1_29binary_search_config_selectorIsbEEZNS1_14transform_implILb0ES3_S5_N6thrust23THRUST_200600_302600_NS17counting_iteratorIsNS8_11use_defaultESA_SA_EEPbZNS1_13binary_searchIS3_S5_PsSB_SC_NS1_16binary_search_opENS8_6detail16wrapped_functionINS0_4lessIvEEbEEEE10hipError_tPvRmT1_T2_T3_mmT4_T5_P12ihipStream_tbEUlRKsE_EESL_SP_SQ_mSR_SU_bEUlT_E_NS1_11comp_targetILNS1_3genE8ELNS1_11target_archE1030ELNS1_3gpuE2ELNS1_3repE0EEENS1_30default_config_static_selectorELNS0_4arch9wavefront6targetE0EEEvSO_.kd
    .uniform_work_group_size: 1
    .uses_dynamic_stack: false
    .vgpr_count:     0
    .vgpr_spill_count: 0
    .wavefront_size: 32
    .workgroup_processor_mode: 1
  - .args:
      - .offset:         0
        .size:           24
        .value_kind:     by_value
      - .offset:         24
        .size:           8
        .value_kind:     by_value
      - .offset:         32
        .size:           8
        .value_kind:     by_value
    .group_segment_fixed_size: 0
    .kernarg_segment_align: 8
    .kernarg_segment_size: 40
    .language:       OpenCL C
    .language_version:
      - 2
      - 0
    .max_flat_workgroup_size: 256
    .name:           _ZN6thrust23THRUST_200600_302600_NS11hip_rocprim14__parallel_for6kernelILj256ENS1_10__tabulate7functorINS0_6detail15normal_iteratorINS0_10device_ptrIdEEEENS0_6system6detail7generic6detail22compute_sequence_valueIdvEElEElLj1EEEvT0_T1_SJ_
    .private_segment_fixed_size: 0
    .sgpr_count:     18
    .sgpr_spill_count: 0
    .symbol:         _ZN6thrust23THRUST_200600_302600_NS11hip_rocprim14__parallel_for6kernelILj256ENS1_10__tabulate7functorINS0_6detail15normal_iteratorINS0_10device_ptrIdEEEENS0_6system6detail7generic6detail22compute_sequence_valueIdvEElEElLj1EEEvT0_T1_SJ_.kd
    .uniform_work_group_size: 1
    .uses_dynamic_stack: false
    .vgpr_count:     6
    .vgpr_spill_count: 0
    .wavefront_size: 32
    .workgroup_processor_mode: 1
  - .args:
      - .offset:         0
        .size:           16
        .value_kind:     by_value
      - .offset:         16
        .size:           8
        .value_kind:     by_value
      - .offset:         24
        .size:           8
        .value_kind:     by_value
    .group_segment_fixed_size: 0
    .kernarg_segment_align: 8
    .kernarg_segment_size: 32
    .language:       OpenCL C
    .language_version:
      - 2
      - 0
    .max_flat_workgroup_size: 256
    .name:           _ZN6thrust23THRUST_200600_302600_NS11hip_rocprim14__parallel_for6kernelILj256ENS1_20__uninitialized_fill7functorINS0_10device_ptrIiEEiEEmLj1EEEvT0_T1_SA_
    .private_segment_fixed_size: 0
    .sgpr_count:     18
    .sgpr_spill_count: 0
    .symbol:         _ZN6thrust23THRUST_200600_302600_NS11hip_rocprim14__parallel_for6kernelILj256ENS1_20__uninitialized_fill7functorINS0_10device_ptrIiEEiEEmLj1EEEvT0_T1_SA_.kd
    .uniform_work_group_size: 1
    .uses_dynamic_stack: false
    .vgpr_count:     3
    .vgpr_spill_count: 0
    .wavefront_size: 32
    .workgroup_processor_mode: 1
  - .args:
      - .offset:         0
        .size:           56
        .value_kind:     by_value
    .group_segment_fixed_size: 0
    .kernarg_segment_align: 8
    .kernarg_segment_size: 56
    .language:       OpenCL C
    .language_version:
      - 2
      - 0
    .max_flat_workgroup_size: 128
    .name:           _ZN7rocprim17ROCPRIM_400000_NS6detail17trampoline_kernelINS0_14default_configENS1_27lower_bound_config_selectorIdiEEZNS1_14transform_implILb0ES3_S5_N6thrust23THRUST_200600_302600_NS6detail15normal_iteratorINS8_10device_ptrIdEEEENSA_INSB_IiEEEEZNS1_13binary_searchIS3_S5_SD_SD_SF_NS1_21lower_bound_search_opENS9_16wrapped_functionINS0_4lessIvEEbEEEE10hipError_tPvRmT1_T2_T3_mmT4_T5_P12ihipStream_tbEUlRKdE_EESM_SQ_SR_mSS_SV_bEUlT_E_NS1_11comp_targetILNS1_3genE0ELNS1_11target_archE4294967295ELNS1_3gpuE0ELNS1_3repE0EEENS1_30default_config_static_selectorELNS0_4arch9wavefront6targetE0EEEvSP_
    .private_segment_fixed_size: 0
    .sgpr_count:     0
    .sgpr_spill_count: 0
    .symbol:         _ZN7rocprim17ROCPRIM_400000_NS6detail17trampoline_kernelINS0_14default_configENS1_27lower_bound_config_selectorIdiEEZNS1_14transform_implILb0ES3_S5_N6thrust23THRUST_200600_302600_NS6detail15normal_iteratorINS8_10device_ptrIdEEEENSA_INSB_IiEEEEZNS1_13binary_searchIS3_S5_SD_SD_SF_NS1_21lower_bound_search_opENS9_16wrapped_functionINS0_4lessIvEEbEEEE10hipError_tPvRmT1_T2_T3_mmT4_T5_P12ihipStream_tbEUlRKdE_EESM_SQ_SR_mSS_SV_bEUlT_E_NS1_11comp_targetILNS1_3genE0ELNS1_11target_archE4294967295ELNS1_3gpuE0ELNS1_3repE0EEENS1_30default_config_static_selectorELNS0_4arch9wavefront6targetE0EEEvSP_.kd
    .uniform_work_group_size: 1
    .uses_dynamic_stack: false
    .vgpr_count:     0
    .vgpr_spill_count: 0
    .wavefront_size: 32
    .workgroup_processor_mode: 1
  - .args:
      - .offset:         0
        .size:           56
        .value_kind:     by_value
    .group_segment_fixed_size: 0
    .kernarg_segment_align: 8
    .kernarg_segment_size: 56
    .language:       OpenCL C
    .language_version:
      - 2
      - 0
    .max_flat_workgroup_size: 64
    .name:           _ZN7rocprim17ROCPRIM_400000_NS6detail17trampoline_kernelINS0_14default_configENS1_27lower_bound_config_selectorIdiEEZNS1_14transform_implILb0ES3_S5_N6thrust23THRUST_200600_302600_NS6detail15normal_iteratorINS8_10device_ptrIdEEEENSA_INSB_IiEEEEZNS1_13binary_searchIS3_S5_SD_SD_SF_NS1_21lower_bound_search_opENS9_16wrapped_functionINS0_4lessIvEEbEEEE10hipError_tPvRmT1_T2_T3_mmT4_T5_P12ihipStream_tbEUlRKdE_EESM_SQ_SR_mSS_SV_bEUlT_E_NS1_11comp_targetILNS1_3genE5ELNS1_11target_archE942ELNS1_3gpuE9ELNS1_3repE0EEENS1_30default_config_static_selectorELNS0_4arch9wavefront6targetE0EEEvSP_
    .private_segment_fixed_size: 0
    .sgpr_count:     0
    .sgpr_spill_count: 0
    .symbol:         _ZN7rocprim17ROCPRIM_400000_NS6detail17trampoline_kernelINS0_14default_configENS1_27lower_bound_config_selectorIdiEEZNS1_14transform_implILb0ES3_S5_N6thrust23THRUST_200600_302600_NS6detail15normal_iteratorINS8_10device_ptrIdEEEENSA_INSB_IiEEEEZNS1_13binary_searchIS3_S5_SD_SD_SF_NS1_21lower_bound_search_opENS9_16wrapped_functionINS0_4lessIvEEbEEEE10hipError_tPvRmT1_T2_T3_mmT4_T5_P12ihipStream_tbEUlRKdE_EESM_SQ_SR_mSS_SV_bEUlT_E_NS1_11comp_targetILNS1_3genE5ELNS1_11target_archE942ELNS1_3gpuE9ELNS1_3repE0EEENS1_30default_config_static_selectorELNS0_4arch9wavefront6targetE0EEEvSP_.kd
    .uniform_work_group_size: 1
    .uses_dynamic_stack: false
    .vgpr_count:     0
    .vgpr_spill_count: 0
    .wavefront_size: 32
    .workgroup_processor_mode: 1
  - .args:
      - .offset:         0
        .size:           56
        .value_kind:     by_value
    .group_segment_fixed_size: 0
    .kernarg_segment_align: 8
    .kernarg_segment_size: 56
    .language:       OpenCL C
    .language_version:
      - 2
      - 0
    .max_flat_workgroup_size: 64
    .name:           _ZN7rocprim17ROCPRIM_400000_NS6detail17trampoline_kernelINS0_14default_configENS1_27lower_bound_config_selectorIdiEEZNS1_14transform_implILb0ES3_S5_N6thrust23THRUST_200600_302600_NS6detail15normal_iteratorINS8_10device_ptrIdEEEENSA_INSB_IiEEEEZNS1_13binary_searchIS3_S5_SD_SD_SF_NS1_21lower_bound_search_opENS9_16wrapped_functionINS0_4lessIvEEbEEEE10hipError_tPvRmT1_T2_T3_mmT4_T5_P12ihipStream_tbEUlRKdE_EESM_SQ_SR_mSS_SV_bEUlT_E_NS1_11comp_targetILNS1_3genE4ELNS1_11target_archE910ELNS1_3gpuE8ELNS1_3repE0EEENS1_30default_config_static_selectorELNS0_4arch9wavefront6targetE0EEEvSP_
    .private_segment_fixed_size: 0
    .sgpr_count:     0
    .sgpr_spill_count: 0
    .symbol:         _ZN7rocprim17ROCPRIM_400000_NS6detail17trampoline_kernelINS0_14default_configENS1_27lower_bound_config_selectorIdiEEZNS1_14transform_implILb0ES3_S5_N6thrust23THRUST_200600_302600_NS6detail15normal_iteratorINS8_10device_ptrIdEEEENSA_INSB_IiEEEEZNS1_13binary_searchIS3_S5_SD_SD_SF_NS1_21lower_bound_search_opENS9_16wrapped_functionINS0_4lessIvEEbEEEE10hipError_tPvRmT1_T2_T3_mmT4_T5_P12ihipStream_tbEUlRKdE_EESM_SQ_SR_mSS_SV_bEUlT_E_NS1_11comp_targetILNS1_3genE4ELNS1_11target_archE910ELNS1_3gpuE8ELNS1_3repE0EEENS1_30default_config_static_selectorELNS0_4arch9wavefront6targetE0EEEvSP_.kd
    .uniform_work_group_size: 1
    .uses_dynamic_stack: false
    .vgpr_count:     0
    .vgpr_spill_count: 0
    .wavefront_size: 32
    .workgroup_processor_mode: 1
  - .args:
      - .offset:         0
        .size:           56
        .value_kind:     by_value
    .group_segment_fixed_size: 0
    .kernarg_segment_align: 8
    .kernarg_segment_size: 56
    .language:       OpenCL C
    .language_version:
      - 2
      - 0
    .max_flat_workgroup_size: 128
    .name:           _ZN7rocprim17ROCPRIM_400000_NS6detail17trampoline_kernelINS0_14default_configENS1_27lower_bound_config_selectorIdiEEZNS1_14transform_implILb0ES3_S5_N6thrust23THRUST_200600_302600_NS6detail15normal_iteratorINS8_10device_ptrIdEEEENSA_INSB_IiEEEEZNS1_13binary_searchIS3_S5_SD_SD_SF_NS1_21lower_bound_search_opENS9_16wrapped_functionINS0_4lessIvEEbEEEE10hipError_tPvRmT1_T2_T3_mmT4_T5_P12ihipStream_tbEUlRKdE_EESM_SQ_SR_mSS_SV_bEUlT_E_NS1_11comp_targetILNS1_3genE3ELNS1_11target_archE908ELNS1_3gpuE7ELNS1_3repE0EEENS1_30default_config_static_selectorELNS0_4arch9wavefront6targetE0EEEvSP_
    .private_segment_fixed_size: 0
    .sgpr_count:     0
    .sgpr_spill_count: 0
    .symbol:         _ZN7rocprim17ROCPRIM_400000_NS6detail17trampoline_kernelINS0_14default_configENS1_27lower_bound_config_selectorIdiEEZNS1_14transform_implILb0ES3_S5_N6thrust23THRUST_200600_302600_NS6detail15normal_iteratorINS8_10device_ptrIdEEEENSA_INSB_IiEEEEZNS1_13binary_searchIS3_S5_SD_SD_SF_NS1_21lower_bound_search_opENS9_16wrapped_functionINS0_4lessIvEEbEEEE10hipError_tPvRmT1_T2_T3_mmT4_T5_P12ihipStream_tbEUlRKdE_EESM_SQ_SR_mSS_SV_bEUlT_E_NS1_11comp_targetILNS1_3genE3ELNS1_11target_archE908ELNS1_3gpuE7ELNS1_3repE0EEENS1_30default_config_static_selectorELNS0_4arch9wavefront6targetE0EEEvSP_.kd
    .uniform_work_group_size: 1
    .uses_dynamic_stack: false
    .vgpr_count:     0
    .vgpr_spill_count: 0
    .wavefront_size: 32
    .workgroup_processor_mode: 1
  - .args:
      - .offset:         0
        .size:           56
        .value_kind:     by_value
    .group_segment_fixed_size: 0
    .kernarg_segment_align: 8
    .kernarg_segment_size: 56
    .language:       OpenCL C
    .language_version:
      - 2
      - 0
    .max_flat_workgroup_size: 256
    .name:           _ZN7rocprim17ROCPRIM_400000_NS6detail17trampoline_kernelINS0_14default_configENS1_27lower_bound_config_selectorIdiEEZNS1_14transform_implILb0ES3_S5_N6thrust23THRUST_200600_302600_NS6detail15normal_iteratorINS8_10device_ptrIdEEEENSA_INSB_IiEEEEZNS1_13binary_searchIS3_S5_SD_SD_SF_NS1_21lower_bound_search_opENS9_16wrapped_functionINS0_4lessIvEEbEEEE10hipError_tPvRmT1_T2_T3_mmT4_T5_P12ihipStream_tbEUlRKdE_EESM_SQ_SR_mSS_SV_bEUlT_E_NS1_11comp_targetILNS1_3genE2ELNS1_11target_archE906ELNS1_3gpuE6ELNS1_3repE0EEENS1_30default_config_static_selectorELNS0_4arch9wavefront6targetE0EEEvSP_
    .private_segment_fixed_size: 0
    .sgpr_count:     0
    .sgpr_spill_count: 0
    .symbol:         _ZN7rocprim17ROCPRIM_400000_NS6detail17trampoline_kernelINS0_14default_configENS1_27lower_bound_config_selectorIdiEEZNS1_14transform_implILb0ES3_S5_N6thrust23THRUST_200600_302600_NS6detail15normal_iteratorINS8_10device_ptrIdEEEENSA_INSB_IiEEEEZNS1_13binary_searchIS3_S5_SD_SD_SF_NS1_21lower_bound_search_opENS9_16wrapped_functionINS0_4lessIvEEbEEEE10hipError_tPvRmT1_T2_T3_mmT4_T5_P12ihipStream_tbEUlRKdE_EESM_SQ_SR_mSS_SV_bEUlT_E_NS1_11comp_targetILNS1_3genE2ELNS1_11target_archE906ELNS1_3gpuE6ELNS1_3repE0EEENS1_30default_config_static_selectorELNS0_4arch9wavefront6targetE0EEEvSP_.kd
    .uniform_work_group_size: 1
    .uses_dynamic_stack: false
    .vgpr_count:     0
    .vgpr_spill_count: 0
    .wavefront_size: 32
    .workgroup_processor_mode: 1
  - .args:
      - .offset:         0
        .size:           56
        .value_kind:     by_value
    .group_segment_fixed_size: 0
    .kernarg_segment_align: 8
    .kernarg_segment_size: 56
    .language:       OpenCL C
    .language_version:
      - 2
      - 0
    .max_flat_workgroup_size: 128
    .name:           _ZN7rocprim17ROCPRIM_400000_NS6detail17trampoline_kernelINS0_14default_configENS1_27lower_bound_config_selectorIdiEEZNS1_14transform_implILb0ES3_S5_N6thrust23THRUST_200600_302600_NS6detail15normal_iteratorINS8_10device_ptrIdEEEENSA_INSB_IiEEEEZNS1_13binary_searchIS3_S5_SD_SD_SF_NS1_21lower_bound_search_opENS9_16wrapped_functionINS0_4lessIvEEbEEEE10hipError_tPvRmT1_T2_T3_mmT4_T5_P12ihipStream_tbEUlRKdE_EESM_SQ_SR_mSS_SV_bEUlT_E_NS1_11comp_targetILNS1_3genE10ELNS1_11target_archE1201ELNS1_3gpuE5ELNS1_3repE0EEENS1_30default_config_static_selectorELNS0_4arch9wavefront6targetE0EEEvSP_
    .private_segment_fixed_size: 0
    .sgpr_count:     0
    .sgpr_spill_count: 0
    .symbol:         _ZN7rocprim17ROCPRIM_400000_NS6detail17trampoline_kernelINS0_14default_configENS1_27lower_bound_config_selectorIdiEEZNS1_14transform_implILb0ES3_S5_N6thrust23THRUST_200600_302600_NS6detail15normal_iteratorINS8_10device_ptrIdEEEENSA_INSB_IiEEEEZNS1_13binary_searchIS3_S5_SD_SD_SF_NS1_21lower_bound_search_opENS9_16wrapped_functionINS0_4lessIvEEbEEEE10hipError_tPvRmT1_T2_T3_mmT4_T5_P12ihipStream_tbEUlRKdE_EESM_SQ_SR_mSS_SV_bEUlT_E_NS1_11comp_targetILNS1_3genE10ELNS1_11target_archE1201ELNS1_3gpuE5ELNS1_3repE0EEENS1_30default_config_static_selectorELNS0_4arch9wavefront6targetE0EEEvSP_.kd
    .uniform_work_group_size: 1
    .uses_dynamic_stack: false
    .vgpr_count:     0
    .vgpr_spill_count: 0
    .wavefront_size: 32
    .workgroup_processor_mode: 1
  - .args:
      - .offset:         0
        .size:           56
        .value_kind:     by_value
    .group_segment_fixed_size: 0
    .kernarg_segment_align: 8
    .kernarg_segment_size: 56
    .language:       OpenCL C
    .language_version:
      - 2
      - 0
    .max_flat_workgroup_size: 128
    .name:           _ZN7rocprim17ROCPRIM_400000_NS6detail17trampoline_kernelINS0_14default_configENS1_27lower_bound_config_selectorIdiEEZNS1_14transform_implILb0ES3_S5_N6thrust23THRUST_200600_302600_NS6detail15normal_iteratorINS8_10device_ptrIdEEEENSA_INSB_IiEEEEZNS1_13binary_searchIS3_S5_SD_SD_SF_NS1_21lower_bound_search_opENS9_16wrapped_functionINS0_4lessIvEEbEEEE10hipError_tPvRmT1_T2_T3_mmT4_T5_P12ihipStream_tbEUlRKdE_EESM_SQ_SR_mSS_SV_bEUlT_E_NS1_11comp_targetILNS1_3genE10ELNS1_11target_archE1200ELNS1_3gpuE4ELNS1_3repE0EEENS1_30default_config_static_selectorELNS0_4arch9wavefront6targetE0EEEvSP_
    .private_segment_fixed_size: 0
    .sgpr_count:     0
    .sgpr_spill_count: 0
    .symbol:         _ZN7rocprim17ROCPRIM_400000_NS6detail17trampoline_kernelINS0_14default_configENS1_27lower_bound_config_selectorIdiEEZNS1_14transform_implILb0ES3_S5_N6thrust23THRUST_200600_302600_NS6detail15normal_iteratorINS8_10device_ptrIdEEEENSA_INSB_IiEEEEZNS1_13binary_searchIS3_S5_SD_SD_SF_NS1_21lower_bound_search_opENS9_16wrapped_functionINS0_4lessIvEEbEEEE10hipError_tPvRmT1_T2_T3_mmT4_T5_P12ihipStream_tbEUlRKdE_EESM_SQ_SR_mSS_SV_bEUlT_E_NS1_11comp_targetILNS1_3genE10ELNS1_11target_archE1200ELNS1_3gpuE4ELNS1_3repE0EEENS1_30default_config_static_selectorELNS0_4arch9wavefront6targetE0EEEvSP_.kd
    .uniform_work_group_size: 1
    .uses_dynamic_stack: false
    .vgpr_count:     0
    .vgpr_spill_count: 0
    .wavefront_size: 32
    .workgroup_processor_mode: 1
  - .args:
      - .offset:         0
        .size:           56
        .value_kind:     by_value
      - .offset:         56
        .size:           4
        .value_kind:     hidden_block_count_x
      - .offset:         60
        .size:           4
        .value_kind:     hidden_block_count_y
      - .offset:         64
        .size:           4
        .value_kind:     hidden_block_count_z
      - .offset:         68
        .size:           2
        .value_kind:     hidden_group_size_x
      - .offset:         70
        .size:           2
        .value_kind:     hidden_group_size_y
      - .offset:         72
        .size:           2
        .value_kind:     hidden_group_size_z
      - .offset:         74
        .size:           2
        .value_kind:     hidden_remainder_x
      - .offset:         76
        .size:           2
        .value_kind:     hidden_remainder_y
      - .offset:         78
        .size:           2
        .value_kind:     hidden_remainder_z
      - .offset:         96
        .size:           8
        .value_kind:     hidden_global_offset_x
      - .offset:         104
        .size:           8
        .value_kind:     hidden_global_offset_y
      - .offset:         112
        .size:           8
        .value_kind:     hidden_global_offset_z
      - .offset:         120
        .size:           2
        .value_kind:     hidden_grid_dims
    .group_segment_fixed_size: 0
    .kernarg_segment_align: 8
    .kernarg_segment_size: 312
    .language:       OpenCL C
    .language_version:
      - 2
      - 0
    .max_flat_workgroup_size: 256
    .name:           _ZN7rocprim17ROCPRIM_400000_NS6detail17trampoline_kernelINS0_14default_configENS1_27lower_bound_config_selectorIdiEEZNS1_14transform_implILb0ES3_S5_N6thrust23THRUST_200600_302600_NS6detail15normal_iteratorINS8_10device_ptrIdEEEENSA_INSB_IiEEEEZNS1_13binary_searchIS3_S5_SD_SD_SF_NS1_21lower_bound_search_opENS9_16wrapped_functionINS0_4lessIvEEbEEEE10hipError_tPvRmT1_T2_T3_mmT4_T5_P12ihipStream_tbEUlRKdE_EESM_SQ_SR_mSS_SV_bEUlT_E_NS1_11comp_targetILNS1_3genE9ELNS1_11target_archE1100ELNS1_3gpuE3ELNS1_3repE0EEENS1_30default_config_static_selectorELNS0_4arch9wavefront6targetE0EEEvSP_
    .private_segment_fixed_size: 0
    .sgpr_count:     30
    .sgpr_spill_count: 0
    .symbol:         _ZN7rocprim17ROCPRIM_400000_NS6detail17trampoline_kernelINS0_14default_configENS1_27lower_bound_config_selectorIdiEEZNS1_14transform_implILb0ES3_S5_N6thrust23THRUST_200600_302600_NS6detail15normal_iteratorINS8_10device_ptrIdEEEENSA_INSB_IiEEEEZNS1_13binary_searchIS3_S5_SD_SD_SF_NS1_21lower_bound_search_opENS9_16wrapped_functionINS0_4lessIvEEbEEEE10hipError_tPvRmT1_T2_T3_mmT4_T5_P12ihipStream_tbEUlRKdE_EESM_SQ_SR_mSS_SV_bEUlT_E_NS1_11comp_targetILNS1_3genE9ELNS1_11target_archE1100ELNS1_3gpuE3ELNS1_3repE0EEENS1_30default_config_static_selectorELNS0_4arch9wavefront6targetE0EEEvSP_.kd
    .uniform_work_group_size: 1
    .uses_dynamic_stack: false
    .vgpr_count:     41
    .vgpr_spill_count: 0
    .wavefront_size: 32
    .workgroup_processor_mode: 1
  - .args:
      - .offset:         0
        .size:           56
        .value_kind:     by_value
    .group_segment_fixed_size: 0
    .kernarg_segment_align: 8
    .kernarg_segment_size: 56
    .language:       OpenCL C
    .language_version:
      - 2
      - 0
    .max_flat_workgroup_size: 256
    .name:           _ZN7rocprim17ROCPRIM_400000_NS6detail17trampoline_kernelINS0_14default_configENS1_27lower_bound_config_selectorIdiEEZNS1_14transform_implILb0ES3_S5_N6thrust23THRUST_200600_302600_NS6detail15normal_iteratorINS8_10device_ptrIdEEEENSA_INSB_IiEEEEZNS1_13binary_searchIS3_S5_SD_SD_SF_NS1_21lower_bound_search_opENS9_16wrapped_functionINS0_4lessIvEEbEEEE10hipError_tPvRmT1_T2_T3_mmT4_T5_P12ihipStream_tbEUlRKdE_EESM_SQ_SR_mSS_SV_bEUlT_E_NS1_11comp_targetILNS1_3genE8ELNS1_11target_archE1030ELNS1_3gpuE2ELNS1_3repE0EEENS1_30default_config_static_selectorELNS0_4arch9wavefront6targetE0EEEvSP_
    .private_segment_fixed_size: 0
    .sgpr_count:     0
    .sgpr_spill_count: 0
    .symbol:         _ZN7rocprim17ROCPRIM_400000_NS6detail17trampoline_kernelINS0_14default_configENS1_27lower_bound_config_selectorIdiEEZNS1_14transform_implILb0ES3_S5_N6thrust23THRUST_200600_302600_NS6detail15normal_iteratorINS8_10device_ptrIdEEEENSA_INSB_IiEEEEZNS1_13binary_searchIS3_S5_SD_SD_SF_NS1_21lower_bound_search_opENS9_16wrapped_functionINS0_4lessIvEEbEEEE10hipError_tPvRmT1_T2_T3_mmT4_T5_P12ihipStream_tbEUlRKdE_EESM_SQ_SR_mSS_SV_bEUlT_E_NS1_11comp_targetILNS1_3genE8ELNS1_11target_archE1030ELNS1_3gpuE2ELNS1_3repE0EEENS1_30default_config_static_selectorELNS0_4arch9wavefront6targetE0EEEvSP_.kd
    .uniform_work_group_size: 1
    .uses_dynamic_stack: false
    .vgpr_count:     0
    .vgpr_spill_count: 0
    .wavefront_size: 32
    .workgroup_processor_mode: 1
  - .args:
      - .offset:         0
        .size:           16
        .value_kind:     by_value
      - .offset:         16
        .size:           8
        .value_kind:     by_value
      - .offset:         24
        .size:           8
        .value_kind:     by_value
    .group_segment_fixed_size: 0
    .kernarg_segment_align: 8
    .kernarg_segment_size: 32
    .language:       OpenCL C
    .language_version:
      - 2
      - 0
    .max_flat_workgroup_size: 256
    .name:           _ZN6thrust23THRUST_200600_302600_NS11hip_rocprim14__parallel_for6kernelILj256ENS1_10__tabulate7functorINS0_6detail15normal_iteratorINS0_10device_ptrIfEEEENS0_6system6detail7generic6detail22compute_sequence_valueIfvEElEElLj1EEEvT0_T1_SJ_
    .private_segment_fixed_size: 0
    .sgpr_count:     18
    .sgpr_spill_count: 0
    .symbol:         _ZN6thrust23THRUST_200600_302600_NS11hip_rocprim14__parallel_for6kernelILj256ENS1_10__tabulate7functorINS0_6detail15normal_iteratorINS0_10device_ptrIfEEEENS0_6system6detail7generic6detail22compute_sequence_valueIfvEElEElLj1EEEvT0_T1_SJ_.kd
    .uniform_work_group_size: 1
    .uses_dynamic_stack: false
    .vgpr_count:     6
    .vgpr_spill_count: 0
    .wavefront_size: 32
    .workgroup_processor_mode: 1
  - .args:
      - .offset:         0
        .size:           56
        .value_kind:     by_value
    .group_segment_fixed_size: 0
    .kernarg_segment_align: 8
    .kernarg_segment_size: 56
    .language:       OpenCL C
    .language_version:
      - 2
      - 0
    .max_flat_workgroup_size: 64
    .name:           _ZN7rocprim17ROCPRIM_400000_NS6detail17trampoline_kernelINS0_14default_configENS1_27lower_bound_config_selectorIfiEEZNS1_14transform_implILb0ES3_S5_N6thrust23THRUST_200600_302600_NS6detail15normal_iteratorINS8_10device_ptrIfEEEENSA_INSB_IiEEEEZNS1_13binary_searchIS3_S5_SD_SD_SF_NS1_21lower_bound_search_opENS9_16wrapped_functionINS0_4lessIvEEbEEEE10hipError_tPvRmT1_T2_T3_mmT4_T5_P12ihipStream_tbEUlRKfE_EESM_SQ_SR_mSS_SV_bEUlT_E_NS1_11comp_targetILNS1_3genE0ELNS1_11target_archE4294967295ELNS1_3gpuE0ELNS1_3repE0EEENS1_30default_config_static_selectorELNS0_4arch9wavefront6targetE0EEEvSP_
    .private_segment_fixed_size: 0
    .sgpr_count:     0
    .sgpr_spill_count: 0
    .symbol:         _ZN7rocprim17ROCPRIM_400000_NS6detail17trampoline_kernelINS0_14default_configENS1_27lower_bound_config_selectorIfiEEZNS1_14transform_implILb0ES3_S5_N6thrust23THRUST_200600_302600_NS6detail15normal_iteratorINS8_10device_ptrIfEEEENSA_INSB_IiEEEEZNS1_13binary_searchIS3_S5_SD_SD_SF_NS1_21lower_bound_search_opENS9_16wrapped_functionINS0_4lessIvEEbEEEE10hipError_tPvRmT1_T2_T3_mmT4_T5_P12ihipStream_tbEUlRKfE_EESM_SQ_SR_mSS_SV_bEUlT_E_NS1_11comp_targetILNS1_3genE0ELNS1_11target_archE4294967295ELNS1_3gpuE0ELNS1_3repE0EEENS1_30default_config_static_selectorELNS0_4arch9wavefront6targetE0EEEvSP_.kd
    .uniform_work_group_size: 1
    .uses_dynamic_stack: false
    .vgpr_count:     0
    .vgpr_spill_count: 0
    .wavefront_size: 32
    .workgroup_processor_mode: 1
  - .args:
      - .offset:         0
        .size:           56
        .value_kind:     by_value
    .group_segment_fixed_size: 0
    .kernarg_segment_align: 8
    .kernarg_segment_size: 56
    .language:       OpenCL C
    .language_version:
      - 2
      - 0
    .max_flat_workgroup_size: 256
    .name:           _ZN7rocprim17ROCPRIM_400000_NS6detail17trampoline_kernelINS0_14default_configENS1_27lower_bound_config_selectorIfiEEZNS1_14transform_implILb0ES3_S5_N6thrust23THRUST_200600_302600_NS6detail15normal_iteratorINS8_10device_ptrIfEEEENSA_INSB_IiEEEEZNS1_13binary_searchIS3_S5_SD_SD_SF_NS1_21lower_bound_search_opENS9_16wrapped_functionINS0_4lessIvEEbEEEE10hipError_tPvRmT1_T2_T3_mmT4_T5_P12ihipStream_tbEUlRKfE_EESM_SQ_SR_mSS_SV_bEUlT_E_NS1_11comp_targetILNS1_3genE5ELNS1_11target_archE942ELNS1_3gpuE9ELNS1_3repE0EEENS1_30default_config_static_selectorELNS0_4arch9wavefront6targetE0EEEvSP_
    .private_segment_fixed_size: 0
    .sgpr_count:     0
    .sgpr_spill_count: 0
    .symbol:         _ZN7rocprim17ROCPRIM_400000_NS6detail17trampoline_kernelINS0_14default_configENS1_27lower_bound_config_selectorIfiEEZNS1_14transform_implILb0ES3_S5_N6thrust23THRUST_200600_302600_NS6detail15normal_iteratorINS8_10device_ptrIfEEEENSA_INSB_IiEEEEZNS1_13binary_searchIS3_S5_SD_SD_SF_NS1_21lower_bound_search_opENS9_16wrapped_functionINS0_4lessIvEEbEEEE10hipError_tPvRmT1_T2_T3_mmT4_T5_P12ihipStream_tbEUlRKfE_EESM_SQ_SR_mSS_SV_bEUlT_E_NS1_11comp_targetILNS1_3genE5ELNS1_11target_archE942ELNS1_3gpuE9ELNS1_3repE0EEENS1_30default_config_static_selectorELNS0_4arch9wavefront6targetE0EEEvSP_.kd
    .uniform_work_group_size: 1
    .uses_dynamic_stack: false
    .vgpr_count:     0
    .vgpr_spill_count: 0
    .wavefront_size: 32
    .workgroup_processor_mode: 1
  - .args:
      - .offset:         0
        .size:           56
        .value_kind:     by_value
    .group_segment_fixed_size: 0
    .kernarg_segment_align: 8
    .kernarg_segment_size: 56
    .language:       OpenCL C
    .language_version:
      - 2
      - 0
    .max_flat_workgroup_size: 256
    .name:           _ZN7rocprim17ROCPRIM_400000_NS6detail17trampoline_kernelINS0_14default_configENS1_27lower_bound_config_selectorIfiEEZNS1_14transform_implILb0ES3_S5_N6thrust23THRUST_200600_302600_NS6detail15normal_iteratorINS8_10device_ptrIfEEEENSA_INSB_IiEEEEZNS1_13binary_searchIS3_S5_SD_SD_SF_NS1_21lower_bound_search_opENS9_16wrapped_functionINS0_4lessIvEEbEEEE10hipError_tPvRmT1_T2_T3_mmT4_T5_P12ihipStream_tbEUlRKfE_EESM_SQ_SR_mSS_SV_bEUlT_E_NS1_11comp_targetILNS1_3genE4ELNS1_11target_archE910ELNS1_3gpuE8ELNS1_3repE0EEENS1_30default_config_static_selectorELNS0_4arch9wavefront6targetE0EEEvSP_
    .private_segment_fixed_size: 0
    .sgpr_count:     0
    .sgpr_spill_count: 0
    .symbol:         _ZN7rocprim17ROCPRIM_400000_NS6detail17trampoline_kernelINS0_14default_configENS1_27lower_bound_config_selectorIfiEEZNS1_14transform_implILb0ES3_S5_N6thrust23THRUST_200600_302600_NS6detail15normal_iteratorINS8_10device_ptrIfEEEENSA_INSB_IiEEEEZNS1_13binary_searchIS3_S5_SD_SD_SF_NS1_21lower_bound_search_opENS9_16wrapped_functionINS0_4lessIvEEbEEEE10hipError_tPvRmT1_T2_T3_mmT4_T5_P12ihipStream_tbEUlRKfE_EESM_SQ_SR_mSS_SV_bEUlT_E_NS1_11comp_targetILNS1_3genE4ELNS1_11target_archE910ELNS1_3gpuE8ELNS1_3repE0EEENS1_30default_config_static_selectorELNS0_4arch9wavefront6targetE0EEEvSP_.kd
    .uniform_work_group_size: 1
    .uses_dynamic_stack: false
    .vgpr_count:     0
    .vgpr_spill_count: 0
    .wavefront_size: 32
    .workgroup_processor_mode: 1
  - .args:
      - .offset:         0
        .size:           56
        .value_kind:     by_value
    .group_segment_fixed_size: 0
    .kernarg_segment_align: 8
    .kernarg_segment_size: 56
    .language:       OpenCL C
    .language_version:
      - 2
      - 0
    .max_flat_workgroup_size: 64
    .name:           _ZN7rocprim17ROCPRIM_400000_NS6detail17trampoline_kernelINS0_14default_configENS1_27lower_bound_config_selectorIfiEEZNS1_14transform_implILb0ES3_S5_N6thrust23THRUST_200600_302600_NS6detail15normal_iteratorINS8_10device_ptrIfEEEENSA_INSB_IiEEEEZNS1_13binary_searchIS3_S5_SD_SD_SF_NS1_21lower_bound_search_opENS9_16wrapped_functionINS0_4lessIvEEbEEEE10hipError_tPvRmT1_T2_T3_mmT4_T5_P12ihipStream_tbEUlRKfE_EESM_SQ_SR_mSS_SV_bEUlT_E_NS1_11comp_targetILNS1_3genE3ELNS1_11target_archE908ELNS1_3gpuE7ELNS1_3repE0EEENS1_30default_config_static_selectorELNS0_4arch9wavefront6targetE0EEEvSP_
    .private_segment_fixed_size: 0
    .sgpr_count:     0
    .sgpr_spill_count: 0
    .symbol:         _ZN7rocprim17ROCPRIM_400000_NS6detail17trampoline_kernelINS0_14default_configENS1_27lower_bound_config_selectorIfiEEZNS1_14transform_implILb0ES3_S5_N6thrust23THRUST_200600_302600_NS6detail15normal_iteratorINS8_10device_ptrIfEEEENSA_INSB_IiEEEEZNS1_13binary_searchIS3_S5_SD_SD_SF_NS1_21lower_bound_search_opENS9_16wrapped_functionINS0_4lessIvEEbEEEE10hipError_tPvRmT1_T2_T3_mmT4_T5_P12ihipStream_tbEUlRKfE_EESM_SQ_SR_mSS_SV_bEUlT_E_NS1_11comp_targetILNS1_3genE3ELNS1_11target_archE908ELNS1_3gpuE7ELNS1_3repE0EEENS1_30default_config_static_selectorELNS0_4arch9wavefront6targetE0EEEvSP_.kd
    .uniform_work_group_size: 1
    .uses_dynamic_stack: false
    .vgpr_count:     0
    .vgpr_spill_count: 0
    .wavefront_size: 32
    .workgroup_processor_mode: 1
  - .args:
      - .offset:         0
        .size:           56
        .value_kind:     by_value
    .group_segment_fixed_size: 0
    .kernarg_segment_align: 8
    .kernarg_segment_size: 56
    .language:       OpenCL C
    .language_version:
      - 2
      - 0
    .max_flat_workgroup_size: 256
    .name:           _ZN7rocprim17ROCPRIM_400000_NS6detail17trampoline_kernelINS0_14default_configENS1_27lower_bound_config_selectorIfiEEZNS1_14transform_implILb0ES3_S5_N6thrust23THRUST_200600_302600_NS6detail15normal_iteratorINS8_10device_ptrIfEEEENSA_INSB_IiEEEEZNS1_13binary_searchIS3_S5_SD_SD_SF_NS1_21lower_bound_search_opENS9_16wrapped_functionINS0_4lessIvEEbEEEE10hipError_tPvRmT1_T2_T3_mmT4_T5_P12ihipStream_tbEUlRKfE_EESM_SQ_SR_mSS_SV_bEUlT_E_NS1_11comp_targetILNS1_3genE2ELNS1_11target_archE906ELNS1_3gpuE6ELNS1_3repE0EEENS1_30default_config_static_selectorELNS0_4arch9wavefront6targetE0EEEvSP_
    .private_segment_fixed_size: 0
    .sgpr_count:     0
    .sgpr_spill_count: 0
    .symbol:         _ZN7rocprim17ROCPRIM_400000_NS6detail17trampoline_kernelINS0_14default_configENS1_27lower_bound_config_selectorIfiEEZNS1_14transform_implILb0ES3_S5_N6thrust23THRUST_200600_302600_NS6detail15normal_iteratorINS8_10device_ptrIfEEEENSA_INSB_IiEEEEZNS1_13binary_searchIS3_S5_SD_SD_SF_NS1_21lower_bound_search_opENS9_16wrapped_functionINS0_4lessIvEEbEEEE10hipError_tPvRmT1_T2_T3_mmT4_T5_P12ihipStream_tbEUlRKfE_EESM_SQ_SR_mSS_SV_bEUlT_E_NS1_11comp_targetILNS1_3genE2ELNS1_11target_archE906ELNS1_3gpuE6ELNS1_3repE0EEENS1_30default_config_static_selectorELNS0_4arch9wavefront6targetE0EEEvSP_.kd
    .uniform_work_group_size: 1
    .uses_dynamic_stack: false
    .vgpr_count:     0
    .vgpr_spill_count: 0
    .wavefront_size: 32
    .workgroup_processor_mode: 1
  - .args:
      - .offset:         0
        .size:           56
        .value_kind:     by_value
    .group_segment_fixed_size: 0
    .kernarg_segment_align: 8
    .kernarg_segment_size: 56
    .language:       OpenCL C
    .language_version:
      - 2
      - 0
    .max_flat_workgroup_size: 128
    .name:           _ZN7rocprim17ROCPRIM_400000_NS6detail17trampoline_kernelINS0_14default_configENS1_27lower_bound_config_selectorIfiEEZNS1_14transform_implILb0ES3_S5_N6thrust23THRUST_200600_302600_NS6detail15normal_iteratorINS8_10device_ptrIfEEEENSA_INSB_IiEEEEZNS1_13binary_searchIS3_S5_SD_SD_SF_NS1_21lower_bound_search_opENS9_16wrapped_functionINS0_4lessIvEEbEEEE10hipError_tPvRmT1_T2_T3_mmT4_T5_P12ihipStream_tbEUlRKfE_EESM_SQ_SR_mSS_SV_bEUlT_E_NS1_11comp_targetILNS1_3genE10ELNS1_11target_archE1201ELNS1_3gpuE5ELNS1_3repE0EEENS1_30default_config_static_selectorELNS0_4arch9wavefront6targetE0EEEvSP_
    .private_segment_fixed_size: 0
    .sgpr_count:     0
    .sgpr_spill_count: 0
    .symbol:         _ZN7rocprim17ROCPRIM_400000_NS6detail17trampoline_kernelINS0_14default_configENS1_27lower_bound_config_selectorIfiEEZNS1_14transform_implILb0ES3_S5_N6thrust23THRUST_200600_302600_NS6detail15normal_iteratorINS8_10device_ptrIfEEEENSA_INSB_IiEEEEZNS1_13binary_searchIS3_S5_SD_SD_SF_NS1_21lower_bound_search_opENS9_16wrapped_functionINS0_4lessIvEEbEEEE10hipError_tPvRmT1_T2_T3_mmT4_T5_P12ihipStream_tbEUlRKfE_EESM_SQ_SR_mSS_SV_bEUlT_E_NS1_11comp_targetILNS1_3genE10ELNS1_11target_archE1201ELNS1_3gpuE5ELNS1_3repE0EEENS1_30default_config_static_selectorELNS0_4arch9wavefront6targetE0EEEvSP_.kd
    .uniform_work_group_size: 1
    .uses_dynamic_stack: false
    .vgpr_count:     0
    .vgpr_spill_count: 0
    .wavefront_size: 32
    .workgroup_processor_mode: 1
  - .args:
      - .offset:         0
        .size:           56
        .value_kind:     by_value
    .group_segment_fixed_size: 0
    .kernarg_segment_align: 8
    .kernarg_segment_size: 56
    .language:       OpenCL C
    .language_version:
      - 2
      - 0
    .max_flat_workgroup_size: 128
    .name:           _ZN7rocprim17ROCPRIM_400000_NS6detail17trampoline_kernelINS0_14default_configENS1_27lower_bound_config_selectorIfiEEZNS1_14transform_implILb0ES3_S5_N6thrust23THRUST_200600_302600_NS6detail15normal_iteratorINS8_10device_ptrIfEEEENSA_INSB_IiEEEEZNS1_13binary_searchIS3_S5_SD_SD_SF_NS1_21lower_bound_search_opENS9_16wrapped_functionINS0_4lessIvEEbEEEE10hipError_tPvRmT1_T2_T3_mmT4_T5_P12ihipStream_tbEUlRKfE_EESM_SQ_SR_mSS_SV_bEUlT_E_NS1_11comp_targetILNS1_3genE10ELNS1_11target_archE1200ELNS1_3gpuE4ELNS1_3repE0EEENS1_30default_config_static_selectorELNS0_4arch9wavefront6targetE0EEEvSP_
    .private_segment_fixed_size: 0
    .sgpr_count:     0
    .sgpr_spill_count: 0
    .symbol:         _ZN7rocprim17ROCPRIM_400000_NS6detail17trampoline_kernelINS0_14default_configENS1_27lower_bound_config_selectorIfiEEZNS1_14transform_implILb0ES3_S5_N6thrust23THRUST_200600_302600_NS6detail15normal_iteratorINS8_10device_ptrIfEEEENSA_INSB_IiEEEEZNS1_13binary_searchIS3_S5_SD_SD_SF_NS1_21lower_bound_search_opENS9_16wrapped_functionINS0_4lessIvEEbEEEE10hipError_tPvRmT1_T2_T3_mmT4_T5_P12ihipStream_tbEUlRKfE_EESM_SQ_SR_mSS_SV_bEUlT_E_NS1_11comp_targetILNS1_3genE10ELNS1_11target_archE1200ELNS1_3gpuE4ELNS1_3repE0EEENS1_30default_config_static_selectorELNS0_4arch9wavefront6targetE0EEEvSP_.kd
    .uniform_work_group_size: 1
    .uses_dynamic_stack: false
    .vgpr_count:     0
    .vgpr_spill_count: 0
    .wavefront_size: 32
    .workgroup_processor_mode: 1
  - .args:
      - .offset:         0
        .size:           56
        .value_kind:     by_value
      - .offset:         56
        .size:           4
        .value_kind:     hidden_block_count_x
      - .offset:         60
        .size:           4
        .value_kind:     hidden_block_count_y
      - .offset:         64
        .size:           4
        .value_kind:     hidden_block_count_z
      - .offset:         68
        .size:           2
        .value_kind:     hidden_group_size_x
      - .offset:         70
        .size:           2
        .value_kind:     hidden_group_size_y
      - .offset:         72
        .size:           2
        .value_kind:     hidden_group_size_z
      - .offset:         74
        .size:           2
        .value_kind:     hidden_remainder_x
      - .offset:         76
        .size:           2
        .value_kind:     hidden_remainder_y
      - .offset:         78
        .size:           2
        .value_kind:     hidden_remainder_z
      - .offset:         96
        .size:           8
        .value_kind:     hidden_global_offset_x
      - .offset:         104
        .size:           8
        .value_kind:     hidden_global_offset_y
      - .offset:         112
        .size:           8
        .value_kind:     hidden_global_offset_z
      - .offset:         120
        .size:           2
        .value_kind:     hidden_grid_dims
    .group_segment_fixed_size: 0
    .kernarg_segment_align: 8
    .kernarg_segment_size: 312
    .language:       OpenCL C
    .language_version:
      - 2
      - 0
    .max_flat_workgroup_size: 128
    .name:           _ZN7rocprim17ROCPRIM_400000_NS6detail17trampoline_kernelINS0_14default_configENS1_27lower_bound_config_selectorIfiEEZNS1_14transform_implILb0ES3_S5_N6thrust23THRUST_200600_302600_NS6detail15normal_iteratorINS8_10device_ptrIfEEEENSA_INSB_IiEEEEZNS1_13binary_searchIS3_S5_SD_SD_SF_NS1_21lower_bound_search_opENS9_16wrapped_functionINS0_4lessIvEEbEEEE10hipError_tPvRmT1_T2_T3_mmT4_T5_P12ihipStream_tbEUlRKfE_EESM_SQ_SR_mSS_SV_bEUlT_E_NS1_11comp_targetILNS1_3genE9ELNS1_11target_archE1100ELNS1_3gpuE3ELNS1_3repE0EEENS1_30default_config_static_selectorELNS0_4arch9wavefront6targetE0EEEvSP_
    .private_segment_fixed_size: 0
    .sgpr_count:     22
    .sgpr_spill_count: 0
    .symbol:         _ZN7rocprim17ROCPRIM_400000_NS6detail17trampoline_kernelINS0_14default_configENS1_27lower_bound_config_selectorIfiEEZNS1_14transform_implILb0ES3_S5_N6thrust23THRUST_200600_302600_NS6detail15normal_iteratorINS8_10device_ptrIfEEEENSA_INSB_IiEEEEZNS1_13binary_searchIS3_S5_SD_SD_SF_NS1_21lower_bound_search_opENS9_16wrapped_functionINS0_4lessIvEEbEEEE10hipError_tPvRmT1_T2_T3_mmT4_T5_P12ihipStream_tbEUlRKfE_EESM_SQ_SR_mSS_SV_bEUlT_E_NS1_11comp_targetILNS1_3genE9ELNS1_11target_archE1100ELNS1_3gpuE3ELNS1_3repE0EEENS1_30default_config_static_selectorELNS0_4arch9wavefront6targetE0EEEvSP_.kd
    .uniform_work_group_size: 1
    .uses_dynamic_stack: false
    .vgpr_count:     11
    .vgpr_spill_count: 0
    .wavefront_size: 32
    .workgroup_processor_mode: 1
  - .args:
      - .offset:         0
        .size:           56
        .value_kind:     by_value
    .group_segment_fixed_size: 0
    .kernarg_segment_align: 8
    .kernarg_segment_size: 56
    .language:       OpenCL C
    .language_version:
      - 2
      - 0
    .max_flat_workgroup_size: 256
    .name:           _ZN7rocprim17ROCPRIM_400000_NS6detail17trampoline_kernelINS0_14default_configENS1_27lower_bound_config_selectorIfiEEZNS1_14transform_implILb0ES3_S5_N6thrust23THRUST_200600_302600_NS6detail15normal_iteratorINS8_10device_ptrIfEEEENSA_INSB_IiEEEEZNS1_13binary_searchIS3_S5_SD_SD_SF_NS1_21lower_bound_search_opENS9_16wrapped_functionINS0_4lessIvEEbEEEE10hipError_tPvRmT1_T2_T3_mmT4_T5_P12ihipStream_tbEUlRKfE_EESM_SQ_SR_mSS_SV_bEUlT_E_NS1_11comp_targetILNS1_3genE8ELNS1_11target_archE1030ELNS1_3gpuE2ELNS1_3repE0EEENS1_30default_config_static_selectorELNS0_4arch9wavefront6targetE0EEEvSP_
    .private_segment_fixed_size: 0
    .sgpr_count:     0
    .sgpr_spill_count: 0
    .symbol:         _ZN7rocprim17ROCPRIM_400000_NS6detail17trampoline_kernelINS0_14default_configENS1_27lower_bound_config_selectorIfiEEZNS1_14transform_implILb0ES3_S5_N6thrust23THRUST_200600_302600_NS6detail15normal_iteratorINS8_10device_ptrIfEEEENSA_INSB_IiEEEEZNS1_13binary_searchIS3_S5_SD_SD_SF_NS1_21lower_bound_search_opENS9_16wrapped_functionINS0_4lessIvEEbEEEE10hipError_tPvRmT1_T2_T3_mmT4_T5_P12ihipStream_tbEUlRKfE_EESM_SQ_SR_mSS_SV_bEUlT_E_NS1_11comp_targetILNS1_3genE8ELNS1_11target_archE1030ELNS1_3gpuE2ELNS1_3repE0EEENS1_30default_config_static_selectorELNS0_4arch9wavefront6targetE0EEEvSP_.kd
    .uniform_work_group_size: 1
    .uses_dynamic_stack: false
    .vgpr_count:     0
    .vgpr_spill_count: 0
    .wavefront_size: 32
    .workgroup_processor_mode: 1
  - .args:
      - .offset:         0
        .size:           24
        .value_kind:     by_value
      - .offset:         24
        .size:           8
        .value_kind:     by_value
      - .offset:         32
        .size:           8
        .value_kind:     by_value
    .group_segment_fixed_size: 0
    .kernarg_segment_align: 8
    .kernarg_segment_size: 40
    .language:       OpenCL C
    .language_version:
      - 2
      - 0
    .max_flat_workgroup_size: 256
    .name:           _ZN6thrust23THRUST_200600_302600_NS11hip_rocprim14__parallel_for6kernelILj256ENS1_10__tabulate7functorINS0_6detail15normal_iteratorINS0_10device_ptrIyEEEENS0_6system6detail7generic6detail22compute_sequence_valueIyvEElEElLj1EEEvT0_T1_SJ_
    .private_segment_fixed_size: 0
    .sgpr_count:     18
    .sgpr_spill_count: 0
    .symbol:         _ZN6thrust23THRUST_200600_302600_NS11hip_rocprim14__parallel_for6kernelILj256ENS1_10__tabulate7functorINS0_6detail15normal_iteratorINS0_10device_ptrIyEEEENS0_6system6detail7generic6detail22compute_sequence_valueIyvEElEElLj1EEEvT0_T1_SJ_.kd
    .uniform_work_group_size: 1
    .uses_dynamic_stack: false
    .vgpr_count:     6
    .vgpr_spill_count: 0
    .wavefront_size: 32
    .workgroup_processor_mode: 1
  - .args:
      - .offset:         0
        .size:           56
        .value_kind:     by_value
    .group_segment_fixed_size: 0
    .kernarg_segment_align: 8
    .kernarg_segment_size: 56
    .language:       OpenCL C
    .language_version:
      - 2
      - 0
    .max_flat_workgroup_size: 256
    .name:           _ZN7rocprim17ROCPRIM_400000_NS6detail17trampoline_kernelINS0_14default_configENS1_27lower_bound_config_selectorIyiEEZNS1_14transform_implILb0ES3_S5_N6thrust23THRUST_200600_302600_NS6detail15normal_iteratorINS8_10device_ptrIyEEEENSA_INSB_IiEEEEZNS1_13binary_searchIS3_S5_SD_SD_SF_NS1_21lower_bound_search_opENS9_16wrapped_functionINS0_4lessIvEEbEEEE10hipError_tPvRmT1_T2_T3_mmT4_T5_P12ihipStream_tbEUlRKyE_EESM_SQ_SR_mSS_SV_bEUlT_E_NS1_11comp_targetILNS1_3genE0ELNS1_11target_archE4294967295ELNS1_3gpuE0ELNS1_3repE0EEENS1_30default_config_static_selectorELNS0_4arch9wavefront6targetE0EEEvSP_
    .private_segment_fixed_size: 0
    .sgpr_count:     0
    .sgpr_spill_count: 0
    .symbol:         _ZN7rocprim17ROCPRIM_400000_NS6detail17trampoline_kernelINS0_14default_configENS1_27lower_bound_config_selectorIyiEEZNS1_14transform_implILb0ES3_S5_N6thrust23THRUST_200600_302600_NS6detail15normal_iteratorINS8_10device_ptrIyEEEENSA_INSB_IiEEEEZNS1_13binary_searchIS3_S5_SD_SD_SF_NS1_21lower_bound_search_opENS9_16wrapped_functionINS0_4lessIvEEbEEEE10hipError_tPvRmT1_T2_T3_mmT4_T5_P12ihipStream_tbEUlRKyE_EESM_SQ_SR_mSS_SV_bEUlT_E_NS1_11comp_targetILNS1_3genE0ELNS1_11target_archE4294967295ELNS1_3gpuE0ELNS1_3repE0EEENS1_30default_config_static_selectorELNS0_4arch9wavefront6targetE0EEEvSP_.kd
    .uniform_work_group_size: 1
    .uses_dynamic_stack: false
    .vgpr_count:     0
    .vgpr_spill_count: 0
    .wavefront_size: 32
    .workgroup_processor_mode: 1
  - .args:
      - .offset:         0
        .size:           56
        .value_kind:     by_value
    .group_segment_fixed_size: 0
    .kernarg_segment_align: 8
    .kernarg_segment_size: 56
    .language:       OpenCL C
    .language_version:
      - 2
      - 0
    .max_flat_workgroup_size: 64
    .name:           _ZN7rocprim17ROCPRIM_400000_NS6detail17trampoline_kernelINS0_14default_configENS1_27lower_bound_config_selectorIyiEEZNS1_14transform_implILb0ES3_S5_N6thrust23THRUST_200600_302600_NS6detail15normal_iteratorINS8_10device_ptrIyEEEENSA_INSB_IiEEEEZNS1_13binary_searchIS3_S5_SD_SD_SF_NS1_21lower_bound_search_opENS9_16wrapped_functionINS0_4lessIvEEbEEEE10hipError_tPvRmT1_T2_T3_mmT4_T5_P12ihipStream_tbEUlRKyE_EESM_SQ_SR_mSS_SV_bEUlT_E_NS1_11comp_targetILNS1_3genE5ELNS1_11target_archE942ELNS1_3gpuE9ELNS1_3repE0EEENS1_30default_config_static_selectorELNS0_4arch9wavefront6targetE0EEEvSP_
    .private_segment_fixed_size: 0
    .sgpr_count:     0
    .sgpr_spill_count: 0
    .symbol:         _ZN7rocprim17ROCPRIM_400000_NS6detail17trampoline_kernelINS0_14default_configENS1_27lower_bound_config_selectorIyiEEZNS1_14transform_implILb0ES3_S5_N6thrust23THRUST_200600_302600_NS6detail15normal_iteratorINS8_10device_ptrIyEEEENSA_INSB_IiEEEEZNS1_13binary_searchIS3_S5_SD_SD_SF_NS1_21lower_bound_search_opENS9_16wrapped_functionINS0_4lessIvEEbEEEE10hipError_tPvRmT1_T2_T3_mmT4_T5_P12ihipStream_tbEUlRKyE_EESM_SQ_SR_mSS_SV_bEUlT_E_NS1_11comp_targetILNS1_3genE5ELNS1_11target_archE942ELNS1_3gpuE9ELNS1_3repE0EEENS1_30default_config_static_selectorELNS0_4arch9wavefront6targetE0EEEvSP_.kd
    .uniform_work_group_size: 1
    .uses_dynamic_stack: false
    .vgpr_count:     0
    .vgpr_spill_count: 0
    .wavefront_size: 32
    .workgroup_processor_mode: 1
  - .args:
      - .offset:         0
        .size:           56
        .value_kind:     by_value
    .group_segment_fixed_size: 0
    .kernarg_segment_align: 8
    .kernarg_segment_size: 56
    .language:       OpenCL C
    .language_version:
      - 2
      - 0
    .max_flat_workgroup_size: 64
    .name:           _ZN7rocprim17ROCPRIM_400000_NS6detail17trampoline_kernelINS0_14default_configENS1_27lower_bound_config_selectorIyiEEZNS1_14transform_implILb0ES3_S5_N6thrust23THRUST_200600_302600_NS6detail15normal_iteratorINS8_10device_ptrIyEEEENSA_INSB_IiEEEEZNS1_13binary_searchIS3_S5_SD_SD_SF_NS1_21lower_bound_search_opENS9_16wrapped_functionINS0_4lessIvEEbEEEE10hipError_tPvRmT1_T2_T3_mmT4_T5_P12ihipStream_tbEUlRKyE_EESM_SQ_SR_mSS_SV_bEUlT_E_NS1_11comp_targetILNS1_3genE4ELNS1_11target_archE910ELNS1_3gpuE8ELNS1_3repE0EEENS1_30default_config_static_selectorELNS0_4arch9wavefront6targetE0EEEvSP_
    .private_segment_fixed_size: 0
    .sgpr_count:     0
    .sgpr_spill_count: 0
    .symbol:         _ZN7rocprim17ROCPRIM_400000_NS6detail17trampoline_kernelINS0_14default_configENS1_27lower_bound_config_selectorIyiEEZNS1_14transform_implILb0ES3_S5_N6thrust23THRUST_200600_302600_NS6detail15normal_iteratorINS8_10device_ptrIyEEEENSA_INSB_IiEEEEZNS1_13binary_searchIS3_S5_SD_SD_SF_NS1_21lower_bound_search_opENS9_16wrapped_functionINS0_4lessIvEEbEEEE10hipError_tPvRmT1_T2_T3_mmT4_T5_P12ihipStream_tbEUlRKyE_EESM_SQ_SR_mSS_SV_bEUlT_E_NS1_11comp_targetILNS1_3genE4ELNS1_11target_archE910ELNS1_3gpuE8ELNS1_3repE0EEENS1_30default_config_static_selectorELNS0_4arch9wavefront6targetE0EEEvSP_.kd
    .uniform_work_group_size: 1
    .uses_dynamic_stack: false
    .vgpr_count:     0
    .vgpr_spill_count: 0
    .wavefront_size: 32
    .workgroup_processor_mode: 1
  - .args:
      - .offset:         0
        .size:           56
        .value_kind:     by_value
    .group_segment_fixed_size: 0
    .kernarg_segment_align: 8
    .kernarg_segment_size: 56
    .language:       OpenCL C
    .language_version:
      - 2
      - 0
    .max_flat_workgroup_size: 256
    .name:           _ZN7rocprim17ROCPRIM_400000_NS6detail17trampoline_kernelINS0_14default_configENS1_27lower_bound_config_selectorIyiEEZNS1_14transform_implILb0ES3_S5_N6thrust23THRUST_200600_302600_NS6detail15normal_iteratorINS8_10device_ptrIyEEEENSA_INSB_IiEEEEZNS1_13binary_searchIS3_S5_SD_SD_SF_NS1_21lower_bound_search_opENS9_16wrapped_functionINS0_4lessIvEEbEEEE10hipError_tPvRmT1_T2_T3_mmT4_T5_P12ihipStream_tbEUlRKyE_EESM_SQ_SR_mSS_SV_bEUlT_E_NS1_11comp_targetILNS1_3genE3ELNS1_11target_archE908ELNS1_3gpuE7ELNS1_3repE0EEENS1_30default_config_static_selectorELNS0_4arch9wavefront6targetE0EEEvSP_
    .private_segment_fixed_size: 0
    .sgpr_count:     0
    .sgpr_spill_count: 0
    .symbol:         _ZN7rocprim17ROCPRIM_400000_NS6detail17trampoline_kernelINS0_14default_configENS1_27lower_bound_config_selectorIyiEEZNS1_14transform_implILb0ES3_S5_N6thrust23THRUST_200600_302600_NS6detail15normal_iteratorINS8_10device_ptrIyEEEENSA_INSB_IiEEEEZNS1_13binary_searchIS3_S5_SD_SD_SF_NS1_21lower_bound_search_opENS9_16wrapped_functionINS0_4lessIvEEbEEEE10hipError_tPvRmT1_T2_T3_mmT4_T5_P12ihipStream_tbEUlRKyE_EESM_SQ_SR_mSS_SV_bEUlT_E_NS1_11comp_targetILNS1_3genE3ELNS1_11target_archE908ELNS1_3gpuE7ELNS1_3repE0EEENS1_30default_config_static_selectorELNS0_4arch9wavefront6targetE0EEEvSP_.kd
    .uniform_work_group_size: 1
    .uses_dynamic_stack: false
    .vgpr_count:     0
    .vgpr_spill_count: 0
    .wavefront_size: 32
    .workgroup_processor_mode: 1
  - .args:
      - .offset:         0
        .size:           56
        .value_kind:     by_value
    .group_segment_fixed_size: 0
    .kernarg_segment_align: 8
    .kernarg_segment_size: 56
    .language:       OpenCL C
    .language_version:
      - 2
      - 0
    .max_flat_workgroup_size: 256
    .name:           _ZN7rocprim17ROCPRIM_400000_NS6detail17trampoline_kernelINS0_14default_configENS1_27lower_bound_config_selectorIyiEEZNS1_14transform_implILb0ES3_S5_N6thrust23THRUST_200600_302600_NS6detail15normal_iteratorINS8_10device_ptrIyEEEENSA_INSB_IiEEEEZNS1_13binary_searchIS3_S5_SD_SD_SF_NS1_21lower_bound_search_opENS9_16wrapped_functionINS0_4lessIvEEbEEEE10hipError_tPvRmT1_T2_T3_mmT4_T5_P12ihipStream_tbEUlRKyE_EESM_SQ_SR_mSS_SV_bEUlT_E_NS1_11comp_targetILNS1_3genE2ELNS1_11target_archE906ELNS1_3gpuE6ELNS1_3repE0EEENS1_30default_config_static_selectorELNS0_4arch9wavefront6targetE0EEEvSP_
    .private_segment_fixed_size: 0
    .sgpr_count:     0
    .sgpr_spill_count: 0
    .symbol:         _ZN7rocprim17ROCPRIM_400000_NS6detail17trampoline_kernelINS0_14default_configENS1_27lower_bound_config_selectorIyiEEZNS1_14transform_implILb0ES3_S5_N6thrust23THRUST_200600_302600_NS6detail15normal_iteratorINS8_10device_ptrIyEEEENSA_INSB_IiEEEEZNS1_13binary_searchIS3_S5_SD_SD_SF_NS1_21lower_bound_search_opENS9_16wrapped_functionINS0_4lessIvEEbEEEE10hipError_tPvRmT1_T2_T3_mmT4_T5_P12ihipStream_tbEUlRKyE_EESM_SQ_SR_mSS_SV_bEUlT_E_NS1_11comp_targetILNS1_3genE2ELNS1_11target_archE906ELNS1_3gpuE6ELNS1_3repE0EEENS1_30default_config_static_selectorELNS0_4arch9wavefront6targetE0EEEvSP_.kd
    .uniform_work_group_size: 1
    .uses_dynamic_stack: false
    .vgpr_count:     0
    .vgpr_spill_count: 0
    .wavefront_size: 32
    .workgroup_processor_mode: 1
  - .args:
      - .offset:         0
        .size:           56
        .value_kind:     by_value
    .group_segment_fixed_size: 0
    .kernarg_segment_align: 8
    .kernarg_segment_size: 56
    .language:       OpenCL C
    .language_version:
      - 2
      - 0
    .max_flat_workgroup_size: 128
    .name:           _ZN7rocprim17ROCPRIM_400000_NS6detail17trampoline_kernelINS0_14default_configENS1_27lower_bound_config_selectorIyiEEZNS1_14transform_implILb0ES3_S5_N6thrust23THRUST_200600_302600_NS6detail15normal_iteratorINS8_10device_ptrIyEEEENSA_INSB_IiEEEEZNS1_13binary_searchIS3_S5_SD_SD_SF_NS1_21lower_bound_search_opENS9_16wrapped_functionINS0_4lessIvEEbEEEE10hipError_tPvRmT1_T2_T3_mmT4_T5_P12ihipStream_tbEUlRKyE_EESM_SQ_SR_mSS_SV_bEUlT_E_NS1_11comp_targetILNS1_3genE10ELNS1_11target_archE1201ELNS1_3gpuE5ELNS1_3repE0EEENS1_30default_config_static_selectorELNS0_4arch9wavefront6targetE0EEEvSP_
    .private_segment_fixed_size: 0
    .sgpr_count:     0
    .sgpr_spill_count: 0
    .symbol:         _ZN7rocprim17ROCPRIM_400000_NS6detail17trampoline_kernelINS0_14default_configENS1_27lower_bound_config_selectorIyiEEZNS1_14transform_implILb0ES3_S5_N6thrust23THRUST_200600_302600_NS6detail15normal_iteratorINS8_10device_ptrIyEEEENSA_INSB_IiEEEEZNS1_13binary_searchIS3_S5_SD_SD_SF_NS1_21lower_bound_search_opENS9_16wrapped_functionINS0_4lessIvEEbEEEE10hipError_tPvRmT1_T2_T3_mmT4_T5_P12ihipStream_tbEUlRKyE_EESM_SQ_SR_mSS_SV_bEUlT_E_NS1_11comp_targetILNS1_3genE10ELNS1_11target_archE1201ELNS1_3gpuE5ELNS1_3repE0EEENS1_30default_config_static_selectorELNS0_4arch9wavefront6targetE0EEEvSP_.kd
    .uniform_work_group_size: 1
    .uses_dynamic_stack: false
    .vgpr_count:     0
    .vgpr_spill_count: 0
    .wavefront_size: 32
    .workgroup_processor_mode: 1
  - .args:
      - .offset:         0
        .size:           56
        .value_kind:     by_value
    .group_segment_fixed_size: 0
    .kernarg_segment_align: 8
    .kernarg_segment_size: 56
    .language:       OpenCL C
    .language_version:
      - 2
      - 0
    .max_flat_workgroup_size: 128
    .name:           _ZN7rocprim17ROCPRIM_400000_NS6detail17trampoline_kernelINS0_14default_configENS1_27lower_bound_config_selectorIyiEEZNS1_14transform_implILb0ES3_S5_N6thrust23THRUST_200600_302600_NS6detail15normal_iteratorINS8_10device_ptrIyEEEENSA_INSB_IiEEEEZNS1_13binary_searchIS3_S5_SD_SD_SF_NS1_21lower_bound_search_opENS9_16wrapped_functionINS0_4lessIvEEbEEEE10hipError_tPvRmT1_T2_T3_mmT4_T5_P12ihipStream_tbEUlRKyE_EESM_SQ_SR_mSS_SV_bEUlT_E_NS1_11comp_targetILNS1_3genE10ELNS1_11target_archE1200ELNS1_3gpuE4ELNS1_3repE0EEENS1_30default_config_static_selectorELNS0_4arch9wavefront6targetE0EEEvSP_
    .private_segment_fixed_size: 0
    .sgpr_count:     0
    .sgpr_spill_count: 0
    .symbol:         _ZN7rocprim17ROCPRIM_400000_NS6detail17trampoline_kernelINS0_14default_configENS1_27lower_bound_config_selectorIyiEEZNS1_14transform_implILb0ES3_S5_N6thrust23THRUST_200600_302600_NS6detail15normal_iteratorINS8_10device_ptrIyEEEENSA_INSB_IiEEEEZNS1_13binary_searchIS3_S5_SD_SD_SF_NS1_21lower_bound_search_opENS9_16wrapped_functionINS0_4lessIvEEbEEEE10hipError_tPvRmT1_T2_T3_mmT4_T5_P12ihipStream_tbEUlRKyE_EESM_SQ_SR_mSS_SV_bEUlT_E_NS1_11comp_targetILNS1_3genE10ELNS1_11target_archE1200ELNS1_3gpuE4ELNS1_3repE0EEENS1_30default_config_static_selectorELNS0_4arch9wavefront6targetE0EEEvSP_.kd
    .uniform_work_group_size: 1
    .uses_dynamic_stack: false
    .vgpr_count:     0
    .vgpr_spill_count: 0
    .wavefront_size: 32
    .workgroup_processor_mode: 1
  - .args:
      - .offset:         0
        .size:           56
        .value_kind:     by_value
      - .offset:         56
        .size:           4
        .value_kind:     hidden_block_count_x
      - .offset:         60
        .size:           4
        .value_kind:     hidden_block_count_y
      - .offset:         64
        .size:           4
        .value_kind:     hidden_block_count_z
      - .offset:         68
        .size:           2
        .value_kind:     hidden_group_size_x
      - .offset:         70
        .size:           2
        .value_kind:     hidden_group_size_y
      - .offset:         72
        .size:           2
        .value_kind:     hidden_group_size_z
      - .offset:         74
        .size:           2
        .value_kind:     hidden_remainder_x
      - .offset:         76
        .size:           2
        .value_kind:     hidden_remainder_y
      - .offset:         78
        .size:           2
        .value_kind:     hidden_remainder_z
      - .offset:         96
        .size:           8
        .value_kind:     hidden_global_offset_x
      - .offset:         104
        .size:           8
        .value_kind:     hidden_global_offset_y
      - .offset:         112
        .size:           8
        .value_kind:     hidden_global_offset_z
      - .offset:         120
        .size:           2
        .value_kind:     hidden_grid_dims
    .group_segment_fixed_size: 0
    .kernarg_segment_align: 8
    .kernarg_segment_size: 312
    .language:       OpenCL C
    .language_version:
      - 2
      - 0
    .max_flat_workgroup_size: 64
    .name:           _ZN7rocprim17ROCPRIM_400000_NS6detail17trampoline_kernelINS0_14default_configENS1_27lower_bound_config_selectorIyiEEZNS1_14transform_implILb0ES3_S5_N6thrust23THRUST_200600_302600_NS6detail15normal_iteratorINS8_10device_ptrIyEEEENSA_INSB_IiEEEEZNS1_13binary_searchIS3_S5_SD_SD_SF_NS1_21lower_bound_search_opENS9_16wrapped_functionINS0_4lessIvEEbEEEE10hipError_tPvRmT1_T2_T3_mmT4_T5_P12ihipStream_tbEUlRKyE_EESM_SQ_SR_mSS_SV_bEUlT_E_NS1_11comp_targetILNS1_3genE9ELNS1_11target_archE1100ELNS1_3gpuE3ELNS1_3repE0EEENS1_30default_config_static_selectorELNS0_4arch9wavefront6targetE0EEEvSP_
    .private_segment_fixed_size: 0
    .sgpr_count:     30
    .sgpr_spill_count: 0
    .symbol:         _ZN7rocprim17ROCPRIM_400000_NS6detail17trampoline_kernelINS0_14default_configENS1_27lower_bound_config_selectorIyiEEZNS1_14transform_implILb0ES3_S5_N6thrust23THRUST_200600_302600_NS6detail15normal_iteratorINS8_10device_ptrIyEEEENSA_INSB_IiEEEEZNS1_13binary_searchIS3_S5_SD_SD_SF_NS1_21lower_bound_search_opENS9_16wrapped_functionINS0_4lessIvEEbEEEE10hipError_tPvRmT1_T2_T3_mmT4_T5_P12ihipStream_tbEUlRKyE_EESM_SQ_SR_mSS_SV_bEUlT_E_NS1_11comp_targetILNS1_3genE9ELNS1_11target_archE1100ELNS1_3gpuE3ELNS1_3repE0EEENS1_30default_config_static_selectorELNS0_4arch9wavefront6targetE0EEEvSP_.kd
    .uniform_work_group_size: 1
    .uses_dynamic_stack: false
    .vgpr_count:     42
    .vgpr_spill_count: 0
    .wavefront_size: 32
    .workgroup_processor_mode: 1
  - .args:
      - .offset:         0
        .size:           56
        .value_kind:     by_value
    .group_segment_fixed_size: 0
    .kernarg_segment_align: 8
    .kernarg_segment_size: 56
    .language:       OpenCL C
    .language_version:
      - 2
      - 0
    .max_flat_workgroup_size: 256
    .name:           _ZN7rocprim17ROCPRIM_400000_NS6detail17trampoline_kernelINS0_14default_configENS1_27lower_bound_config_selectorIyiEEZNS1_14transform_implILb0ES3_S5_N6thrust23THRUST_200600_302600_NS6detail15normal_iteratorINS8_10device_ptrIyEEEENSA_INSB_IiEEEEZNS1_13binary_searchIS3_S5_SD_SD_SF_NS1_21lower_bound_search_opENS9_16wrapped_functionINS0_4lessIvEEbEEEE10hipError_tPvRmT1_T2_T3_mmT4_T5_P12ihipStream_tbEUlRKyE_EESM_SQ_SR_mSS_SV_bEUlT_E_NS1_11comp_targetILNS1_3genE8ELNS1_11target_archE1030ELNS1_3gpuE2ELNS1_3repE0EEENS1_30default_config_static_selectorELNS0_4arch9wavefront6targetE0EEEvSP_
    .private_segment_fixed_size: 0
    .sgpr_count:     0
    .sgpr_spill_count: 0
    .symbol:         _ZN7rocprim17ROCPRIM_400000_NS6detail17trampoline_kernelINS0_14default_configENS1_27lower_bound_config_selectorIyiEEZNS1_14transform_implILb0ES3_S5_N6thrust23THRUST_200600_302600_NS6detail15normal_iteratorINS8_10device_ptrIyEEEENSA_INSB_IiEEEEZNS1_13binary_searchIS3_S5_SD_SD_SF_NS1_21lower_bound_search_opENS9_16wrapped_functionINS0_4lessIvEEbEEEE10hipError_tPvRmT1_T2_T3_mmT4_T5_P12ihipStream_tbEUlRKyE_EESM_SQ_SR_mSS_SV_bEUlT_E_NS1_11comp_targetILNS1_3genE8ELNS1_11target_archE1030ELNS1_3gpuE2ELNS1_3repE0EEENS1_30default_config_static_selectorELNS0_4arch9wavefront6targetE0EEEvSP_.kd
    .uniform_work_group_size: 1
    .uses_dynamic_stack: false
    .vgpr_count:     0
    .vgpr_spill_count: 0
    .wavefront_size: 32
    .workgroup_processor_mode: 1
  - .args:
      - .offset:         0
        .size:           16
        .value_kind:     by_value
      - .offset:         16
        .size:           8
        .value_kind:     by_value
      - .offset:         24
        .size:           8
        .value_kind:     by_value
    .group_segment_fixed_size: 0
    .kernarg_segment_align: 8
    .kernarg_segment_size: 32
    .language:       OpenCL C
    .language_version:
      - 2
      - 0
    .max_flat_workgroup_size: 256
    .name:           _ZN6thrust23THRUST_200600_302600_NS11hip_rocprim14__parallel_for6kernelILj256ENS1_10__tabulate7functorINS0_6detail15normal_iteratorINS0_10device_ptrIjEEEENS0_6system6detail7generic6detail22compute_sequence_valueIjvEElEElLj1EEEvT0_T1_SJ_
    .private_segment_fixed_size: 0
    .sgpr_count:     18
    .sgpr_spill_count: 0
    .symbol:         _ZN6thrust23THRUST_200600_302600_NS11hip_rocprim14__parallel_for6kernelILj256ENS1_10__tabulate7functorINS0_6detail15normal_iteratorINS0_10device_ptrIjEEEENS0_6system6detail7generic6detail22compute_sequence_valueIjvEElEElLj1EEEvT0_T1_SJ_.kd
    .uniform_work_group_size: 1
    .uses_dynamic_stack: false
    .vgpr_count:     5
    .vgpr_spill_count: 0
    .wavefront_size: 32
    .workgroup_processor_mode: 1
  - .args:
      - .offset:         0
        .size:           56
        .value_kind:     by_value
    .group_segment_fixed_size: 0
    .kernarg_segment_align: 8
    .kernarg_segment_size: 56
    .language:       OpenCL C
    .language_version:
      - 2
      - 0
    .max_flat_workgroup_size: 64
    .name:           _ZN7rocprim17ROCPRIM_400000_NS6detail17trampoline_kernelINS0_14default_configENS1_27lower_bound_config_selectorIjiEEZNS1_14transform_implILb0ES3_S5_N6thrust23THRUST_200600_302600_NS6detail15normal_iteratorINS8_10device_ptrIjEEEENSA_INSB_IiEEEEZNS1_13binary_searchIS3_S5_SD_SD_SF_NS1_21lower_bound_search_opENS9_16wrapped_functionINS0_4lessIvEEbEEEE10hipError_tPvRmT1_T2_T3_mmT4_T5_P12ihipStream_tbEUlRKjE_EESM_SQ_SR_mSS_SV_bEUlT_E_NS1_11comp_targetILNS1_3genE0ELNS1_11target_archE4294967295ELNS1_3gpuE0ELNS1_3repE0EEENS1_30default_config_static_selectorELNS0_4arch9wavefront6targetE0EEEvSP_
    .private_segment_fixed_size: 0
    .sgpr_count:     0
    .sgpr_spill_count: 0
    .symbol:         _ZN7rocprim17ROCPRIM_400000_NS6detail17trampoline_kernelINS0_14default_configENS1_27lower_bound_config_selectorIjiEEZNS1_14transform_implILb0ES3_S5_N6thrust23THRUST_200600_302600_NS6detail15normal_iteratorINS8_10device_ptrIjEEEENSA_INSB_IiEEEEZNS1_13binary_searchIS3_S5_SD_SD_SF_NS1_21lower_bound_search_opENS9_16wrapped_functionINS0_4lessIvEEbEEEE10hipError_tPvRmT1_T2_T3_mmT4_T5_P12ihipStream_tbEUlRKjE_EESM_SQ_SR_mSS_SV_bEUlT_E_NS1_11comp_targetILNS1_3genE0ELNS1_11target_archE4294967295ELNS1_3gpuE0ELNS1_3repE0EEENS1_30default_config_static_selectorELNS0_4arch9wavefront6targetE0EEEvSP_.kd
    .uniform_work_group_size: 1
    .uses_dynamic_stack: false
    .vgpr_count:     0
    .vgpr_spill_count: 0
    .wavefront_size: 32
    .workgroup_processor_mode: 1
  - .args:
      - .offset:         0
        .size:           56
        .value_kind:     by_value
    .group_segment_fixed_size: 0
    .kernarg_segment_align: 8
    .kernarg_segment_size: 56
    .language:       OpenCL C
    .language_version:
      - 2
      - 0
    .max_flat_workgroup_size: 256
    .name:           _ZN7rocprim17ROCPRIM_400000_NS6detail17trampoline_kernelINS0_14default_configENS1_27lower_bound_config_selectorIjiEEZNS1_14transform_implILb0ES3_S5_N6thrust23THRUST_200600_302600_NS6detail15normal_iteratorINS8_10device_ptrIjEEEENSA_INSB_IiEEEEZNS1_13binary_searchIS3_S5_SD_SD_SF_NS1_21lower_bound_search_opENS9_16wrapped_functionINS0_4lessIvEEbEEEE10hipError_tPvRmT1_T2_T3_mmT4_T5_P12ihipStream_tbEUlRKjE_EESM_SQ_SR_mSS_SV_bEUlT_E_NS1_11comp_targetILNS1_3genE5ELNS1_11target_archE942ELNS1_3gpuE9ELNS1_3repE0EEENS1_30default_config_static_selectorELNS0_4arch9wavefront6targetE0EEEvSP_
    .private_segment_fixed_size: 0
    .sgpr_count:     0
    .sgpr_spill_count: 0
    .symbol:         _ZN7rocprim17ROCPRIM_400000_NS6detail17trampoline_kernelINS0_14default_configENS1_27lower_bound_config_selectorIjiEEZNS1_14transform_implILb0ES3_S5_N6thrust23THRUST_200600_302600_NS6detail15normal_iteratorINS8_10device_ptrIjEEEENSA_INSB_IiEEEEZNS1_13binary_searchIS3_S5_SD_SD_SF_NS1_21lower_bound_search_opENS9_16wrapped_functionINS0_4lessIvEEbEEEE10hipError_tPvRmT1_T2_T3_mmT4_T5_P12ihipStream_tbEUlRKjE_EESM_SQ_SR_mSS_SV_bEUlT_E_NS1_11comp_targetILNS1_3genE5ELNS1_11target_archE942ELNS1_3gpuE9ELNS1_3repE0EEENS1_30default_config_static_selectorELNS0_4arch9wavefront6targetE0EEEvSP_.kd
    .uniform_work_group_size: 1
    .uses_dynamic_stack: false
    .vgpr_count:     0
    .vgpr_spill_count: 0
    .wavefront_size: 32
    .workgroup_processor_mode: 1
  - .args:
      - .offset:         0
        .size:           56
        .value_kind:     by_value
    .group_segment_fixed_size: 0
    .kernarg_segment_align: 8
    .kernarg_segment_size: 56
    .language:       OpenCL C
    .language_version:
      - 2
      - 0
    .max_flat_workgroup_size: 256
    .name:           _ZN7rocprim17ROCPRIM_400000_NS6detail17trampoline_kernelINS0_14default_configENS1_27lower_bound_config_selectorIjiEEZNS1_14transform_implILb0ES3_S5_N6thrust23THRUST_200600_302600_NS6detail15normal_iteratorINS8_10device_ptrIjEEEENSA_INSB_IiEEEEZNS1_13binary_searchIS3_S5_SD_SD_SF_NS1_21lower_bound_search_opENS9_16wrapped_functionINS0_4lessIvEEbEEEE10hipError_tPvRmT1_T2_T3_mmT4_T5_P12ihipStream_tbEUlRKjE_EESM_SQ_SR_mSS_SV_bEUlT_E_NS1_11comp_targetILNS1_3genE4ELNS1_11target_archE910ELNS1_3gpuE8ELNS1_3repE0EEENS1_30default_config_static_selectorELNS0_4arch9wavefront6targetE0EEEvSP_
    .private_segment_fixed_size: 0
    .sgpr_count:     0
    .sgpr_spill_count: 0
    .symbol:         _ZN7rocprim17ROCPRIM_400000_NS6detail17trampoline_kernelINS0_14default_configENS1_27lower_bound_config_selectorIjiEEZNS1_14transform_implILb0ES3_S5_N6thrust23THRUST_200600_302600_NS6detail15normal_iteratorINS8_10device_ptrIjEEEENSA_INSB_IiEEEEZNS1_13binary_searchIS3_S5_SD_SD_SF_NS1_21lower_bound_search_opENS9_16wrapped_functionINS0_4lessIvEEbEEEE10hipError_tPvRmT1_T2_T3_mmT4_T5_P12ihipStream_tbEUlRKjE_EESM_SQ_SR_mSS_SV_bEUlT_E_NS1_11comp_targetILNS1_3genE4ELNS1_11target_archE910ELNS1_3gpuE8ELNS1_3repE0EEENS1_30default_config_static_selectorELNS0_4arch9wavefront6targetE0EEEvSP_.kd
    .uniform_work_group_size: 1
    .uses_dynamic_stack: false
    .vgpr_count:     0
    .vgpr_spill_count: 0
    .wavefront_size: 32
    .workgroup_processor_mode: 1
  - .args:
      - .offset:         0
        .size:           56
        .value_kind:     by_value
    .group_segment_fixed_size: 0
    .kernarg_segment_align: 8
    .kernarg_segment_size: 56
    .language:       OpenCL C
    .language_version:
      - 2
      - 0
    .max_flat_workgroup_size: 64
    .name:           _ZN7rocprim17ROCPRIM_400000_NS6detail17trampoline_kernelINS0_14default_configENS1_27lower_bound_config_selectorIjiEEZNS1_14transform_implILb0ES3_S5_N6thrust23THRUST_200600_302600_NS6detail15normal_iteratorINS8_10device_ptrIjEEEENSA_INSB_IiEEEEZNS1_13binary_searchIS3_S5_SD_SD_SF_NS1_21lower_bound_search_opENS9_16wrapped_functionINS0_4lessIvEEbEEEE10hipError_tPvRmT1_T2_T3_mmT4_T5_P12ihipStream_tbEUlRKjE_EESM_SQ_SR_mSS_SV_bEUlT_E_NS1_11comp_targetILNS1_3genE3ELNS1_11target_archE908ELNS1_3gpuE7ELNS1_3repE0EEENS1_30default_config_static_selectorELNS0_4arch9wavefront6targetE0EEEvSP_
    .private_segment_fixed_size: 0
    .sgpr_count:     0
    .sgpr_spill_count: 0
    .symbol:         _ZN7rocprim17ROCPRIM_400000_NS6detail17trampoline_kernelINS0_14default_configENS1_27lower_bound_config_selectorIjiEEZNS1_14transform_implILb0ES3_S5_N6thrust23THRUST_200600_302600_NS6detail15normal_iteratorINS8_10device_ptrIjEEEENSA_INSB_IiEEEEZNS1_13binary_searchIS3_S5_SD_SD_SF_NS1_21lower_bound_search_opENS9_16wrapped_functionINS0_4lessIvEEbEEEE10hipError_tPvRmT1_T2_T3_mmT4_T5_P12ihipStream_tbEUlRKjE_EESM_SQ_SR_mSS_SV_bEUlT_E_NS1_11comp_targetILNS1_3genE3ELNS1_11target_archE908ELNS1_3gpuE7ELNS1_3repE0EEENS1_30default_config_static_selectorELNS0_4arch9wavefront6targetE0EEEvSP_.kd
    .uniform_work_group_size: 1
    .uses_dynamic_stack: false
    .vgpr_count:     0
    .vgpr_spill_count: 0
    .wavefront_size: 32
    .workgroup_processor_mode: 1
  - .args:
      - .offset:         0
        .size:           56
        .value_kind:     by_value
    .group_segment_fixed_size: 0
    .kernarg_segment_align: 8
    .kernarg_segment_size: 56
    .language:       OpenCL C
    .language_version:
      - 2
      - 0
    .max_flat_workgroup_size: 256
    .name:           _ZN7rocprim17ROCPRIM_400000_NS6detail17trampoline_kernelINS0_14default_configENS1_27lower_bound_config_selectorIjiEEZNS1_14transform_implILb0ES3_S5_N6thrust23THRUST_200600_302600_NS6detail15normal_iteratorINS8_10device_ptrIjEEEENSA_INSB_IiEEEEZNS1_13binary_searchIS3_S5_SD_SD_SF_NS1_21lower_bound_search_opENS9_16wrapped_functionINS0_4lessIvEEbEEEE10hipError_tPvRmT1_T2_T3_mmT4_T5_P12ihipStream_tbEUlRKjE_EESM_SQ_SR_mSS_SV_bEUlT_E_NS1_11comp_targetILNS1_3genE2ELNS1_11target_archE906ELNS1_3gpuE6ELNS1_3repE0EEENS1_30default_config_static_selectorELNS0_4arch9wavefront6targetE0EEEvSP_
    .private_segment_fixed_size: 0
    .sgpr_count:     0
    .sgpr_spill_count: 0
    .symbol:         _ZN7rocprim17ROCPRIM_400000_NS6detail17trampoline_kernelINS0_14default_configENS1_27lower_bound_config_selectorIjiEEZNS1_14transform_implILb0ES3_S5_N6thrust23THRUST_200600_302600_NS6detail15normal_iteratorINS8_10device_ptrIjEEEENSA_INSB_IiEEEEZNS1_13binary_searchIS3_S5_SD_SD_SF_NS1_21lower_bound_search_opENS9_16wrapped_functionINS0_4lessIvEEbEEEE10hipError_tPvRmT1_T2_T3_mmT4_T5_P12ihipStream_tbEUlRKjE_EESM_SQ_SR_mSS_SV_bEUlT_E_NS1_11comp_targetILNS1_3genE2ELNS1_11target_archE906ELNS1_3gpuE6ELNS1_3repE0EEENS1_30default_config_static_selectorELNS0_4arch9wavefront6targetE0EEEvSP_.kd
    .uniform_work_group_size: 1
    .uses_dynamic_stack: false
    .vgpr_count:     0
    .vgpr_spill_count: 0
    .wavefront_size: 32
    .workgroup_processor_mode: 1
  - .args:
      - .offset:         0
        .size:           56
        .value_kind:     by_value
    .group_segment_fixed_size: 0
    .kernarg_segment_align: 8
    .kernarg_segment_size: 56
    .language:       OpenCL C
    .language_version:
      - 2
      - 0
    .max_flat_workgroup_size: 128
    .name:           _ZN7rocprim17ROCPRIM_400000_NS6detail17trampoline_kernelINS0_14default_configENS1_27lower_bound_config_selectorIjiEEZNS1_14transform_implILb0ES3_S5_N6thrust23THRUST_200600_302600_NS6detail15normal_iteratorINS8_10device_ptrIjEEEENSA_INSB_IiEEEEZNS1_13binary_searchIS3_S5_SD_SD_SF_NS1_21lower_bound_search_opENS9_16wrapped_functionINS0_4lessIvEEbEEEE10hipError_tPvRmT1_T2_T3_mmT4_T5_P12ihipStream_tbEUlRKjE_EESM_SQ_SR_mSS_SV_bEUlT_E_NS1_11comp_targetILNS1_3genE10ELNS1_11target_archE1201ELNS1_3gpuE5ELNS1_3repE0EEENS1_30default_config_static_selectorELNS0_4arch9wavefront6targetE0EEEvSP_
    .private_segment_fixed_size: 0
    .sgpr_count:     0
    .sgpr_spill_count: 0
    .symbol:         _ZN7rocprim17ROCPRIM_400000_NS6detail17trampoline_kernelINS0_14default_configENS1_27lower_bound_config_selectorIjiEEZNS1_14transform_implILb0ES3_S5_N6thrust23THRUST_200600_302600_NS6detail15normal_iteratorINS8_10device_ptrIjEEEENSA_INSB_IiEEEEZNS1_13binary_searchIS3_S5_SD_SD_SF_NS1_21lower_bound_search_opENS9_16wrapped_functionINS0_4lessIvEEbEEEE10hipError_tPvRmT1_T2_T3_mmT4_T5_P12ihipStream_tbEUlRKjE_EESM_SQ_SR_mSS_SV_bEUlT_E_NS1_11comp_targetILNS1_3genE10ELNS1_11target_archE1201ELNS1_3gpuE5ELNS1_3repE0EEENS1_30default_config_static_selectorELNS0_4arch9wavefront6targetE0EEEvSP_.kd
    .uniform_work_group_size: 1
    .uses_dynamic_stack: false
    .vgpr_count:     0
    .vgpr_spill_count: 0
    .wavefront_size: 32
    .workgroup_processor_mode: 1
  - .args:
      - .offset:         0
        .size:           56
        .value_kind:     by_value
    .group_segment_fixed_size: 0
    .kernarg_segment_align: 8
    .kernarg_segment_size: 56
    .language:       OpenCL C
    .language_version:
      - 2
      - 0
    .max_flat_workgroup_size: 128
    .name:           _ZN7rocprim17ROCPRIM_400000_NS6detail17trampoline_kernelINS0_14default_configENS1_27lower_bound_config_selectorIjiEEZNS1_14transform_implILb0ES3_S5_N6thrust23THRUST_200600_302600_NS6detail15normal_iteratorINS8_10device_ptrIjEEEENSA_INSB_IiEEEEZNS1_13binary_searchIS3_S5_SD_SD_SF_NS1_21lower_bound_search_opENS9_16wrapped_functionINS0_4lessIvEEbEEEE10hipError_tPvRmT1_T2_T3_mmT4_T5_P12ihipStream_tbEUlRKjE_EESM_SQ_SR_mSS_SV_bEUlT_E_NS1_11comp_targetILNS1_3genE10ELNS1_11target_archE1200ELNS1_3gpuE4ELNS1_3repE0EEENS1_30default_config_static_selectorELNS0_4arch9wavefront6targetE0EEEvSP_
    .private_segment_fixed_size: 0
    .sgpr_count:     0
    .sgpr_spill_count: 0
    .symbol:         _ZN7rocprim17ROCPRIM_400000_NS6detail17trampoline_kernelINS0_14default_configENS1_27lower_bound_config_selectorIjiEEZNS1_14transform_implILb0ES3_S5_N6thrust23THRUST_200600_302600_NS6detail15normal_iteratorINS8_10device_ptrIjEEEENSA_INSB_IiEEEEZNS1_13binary_searchIS3_S5_SD_SD_SF_NS1_21lower_bound_search_opENS9_16wrapped_functionINS0_4lessIvEEbEEEE10hipError_tPvRmT1_T2_T3_mmT4_T5_P12ihipStream_tbEUlRKjE_EESM_SQ_SR_mSS_SV_bEUlT_E_NS1_11comp_targetILNS1_3genE10ELNS1_11target_archE1200ELNS1_3gpuE4ELNS1_3repE0EEENS1_30default_config_static_selectorELNS0_4arch9wavefront6targetE0EEEvSP_.kd
    .uniform_work_group_size: 1
    .uses_dynamic_stack: false
    .vgpr_count:     0
    .vgpr_spill_count: 0
    .wavefront_size: 32
    .workgroup_processor_mode: 1
  - .args:
      - .offset:         0
        .size:           56
        .value_kind:     by_value
      - .offset:         56
        .size:           4
        .value_kind:     hidden_block_count_x
      - .offset:         60
        .size:           4
        .value_kind:     hidden_block_count_y
      - .offset:         64
        .size:           4
        .value_kind:     hidden_block_count_z
      - .offset:         68
        .size:           2
        .value_kind:     hidden_group_size_x
      - .offset:         70
        .size:           2
        .value_kind:     hidden_group_size_y
      - .offset:         72
        .size:           2
        .value_kind:     hidden_group_size_z
      - .offset:         74
        .size:           2
        .value_kind:     hidden_remainder_x
      - .offset:         76
        .size:           2
        .value_kind:     hidden_remainder_y
      - .offset:         78
        .size:           2
        .value_kind:     hidden_remainder_z
      - .offset:         96
        .size:           8
        .value_kind:     hidden_global_offset_x
      - .offset:         104
        .size:           8
        .value_kind:     hidden_global_offset_y
      - .offset:         112
        .size:           8
        .value_kind:     hidden_global_offset_z
      - .offset:         120
        .size:           2
        .value_kind:     hidden_grid_dims
    .group_segment_fixed_size: 0
    .kernarg_segment_align: 8
    .kernarg_segment_size: 312
    .language:       OpenCL C
    .language_version:
      - 2
      - 0
    .max_flat_workgroup_size: 128
    .name:           _ZN7rocprim17ROCPRIM_400000_NS6detail17trampoline_kernelINS0_14default_configENS1_27lower_bound_config_selectorIjiEEZNS1_14transform_implILb0ES3_S5_N6thrust23THRUST_200600_302600_NS6detail15normal_iteratorINS8_10device_ptrIjEEEENSA_INSB_IiEEEEZNS1_13binary_searchIS3_S5_SD_SD_SF_NS1_21lower_bound_search_opENS9_16wrapped_functionINS0_4lessIvEEbEEEE10hipError_tPvRmT1_T2_T3_mmT4_T5_P12ihipStream_tbEUlRKjE_EESM_SQ_SR_mSS_SV_bEUlT_E_NS1_11comp_targetILNS1_3genE9ELNS1_11target_archE1100ELNS1_3gpuE3ELNS1_3repE0EEENS1_30default_config_static_selectorELNS0_4arch9wavefront6targetE0EEEvSP_
    .private_segment_fixed_size: 0
    .sgpr_count:     22
    .sgpr_spill_count: 0
    .symbol:         _ZN7rocprim17ROCPRIM_400000_NS6detail17trampoline_kernelINS0_14default_configENS1_27lower_bound_config_selectorIjiEEZNS1_14transform_implILb0ES3_S5_N6thrust23THRUST_200600_302600_NS6detail15normal_iteratorINS8_10device_ptrIjEEEENSA_INSB_IiEEEEZNS1_13binary_searchIS3_S5_SD_SD_SF_NS1_21lower_bound_search_opENS9_16wrapped_functionINS0_4lessIvEEbEEEE10hipError_tPvRmT1_T2_T3_mmT4_T5_P12ihipStream_tbEUlRKjE_EESM_SQ_SR_mSS_SV_bEUlT_E_NS1_11comp_targetILNS1_3genE9ELNS1_11target_archE1100ELNS1_3gpuE3ELNS1_3repE0EEENS1_30default_config_static_selectorELNS0_4arch9wavefront6targetE0EEEvSP_.kd
    .uniform_work_group_size: 1
    .uses_dynamic_stack: false
    .vgpr_count:     11
    .vgpr_spill_count: 0
    .wavefront_size: 32
    .workgroup_processor_mode: 1
  - .args:
      - .offset:         0
        .size:           56
        .value_kind:     by_value
    .group_segment_fixed_size: 0
    .kernarg_segment_align: 8
    .kernarg_segment_size: 56
    .language:       OpenCL C
    .language_version:
      - 2
      - 0
    .max_flat_workgroup_size: 256
    .name:           _ZN7rocprim17ROCPRIM_400000_NS6detail17trampoline_kernelINS0_14default_configENS1_27lower_bound_config_selectorIjiEEZNS1_14transform_implILb0ES3_S5_N6thrust23THRUST_200600_302600_NS6detail15normal_iteratorINS8_10device_ptrIjEEEENSA_INSB_IiEEEEZNS1_13binary_searchIS3_S5_SD_SD_SF_NS1_21lower_bound_search_opENS9_16wrapped_functionINS0_4lessIvEEbEEEE10hipError_tPvRmT1_T2_T3_mmT4_T5_P12ihipStream_tbEUlRKjE_EESM_SQ_SR_mSS_SV_bEUlT_E_NS1_11comp_targetILNS1_3genE8ELNS1_11target_archE1030ELNS1_3gpuE2ELNS1_3repE0EEENS1_30default_config_static_selectorELNS0_4arch9wavefront6targetE0EEEvSP_
    .private_segment_fixed_size: 0
    .sgpr_count:     0
    .sgpr_spill_count: 0
    .symbol:         _ZN7rocprim17ROCPRIM_400000_NS6detail17trampoline_kernelINS0_14default_configENS1_27lower_bound_config_selectorIjiEEZNS1_14transform_implILb0ES3_S5_N6thrust23THRUST_200600_302600_NS6detail15normal_iteratorINS8_10device_ptrIjEEEENSA_INSB_IiEEEEZNS1_13binary_searchIS3_S5_SD_SD_SF_NS1_21lower_bound_search_opENS9_16wrapped_functionINS0_4lessIvEEbEEEE10hipError_tPvRmT1_T2_T3_mmT4_T5_P12ihipStream_tbEUlRKjE_EESM_SQ_SR_mSS_SV_bEUlT_E_NS1_11comp_targetILNS1_3genE8ELNS1_11target_archE1030ELNS1_3gpuE2ELNS1_3repE0EEENS1_30default_config_static_selectorELNS0_4arch9wavefront6targetE0EEEvSP_.kd
    .uniform_work_group_size: 1
    .uses_dynamic_stack: false
    .vgpr_count:     0
    .vgpr_spill_count: 0
    .wavefront_size: 32
    .workgroup_processor_mode: 1
  - .args:
      - .offset:         0
        .size:           16
        .value_kind:     by_value
      - .offset:         16
        .size:           8
        .value_kind:     by_value
      - .offset:         24
        .size:           8
        .value_kind:     by_value
    .group_segment_fixed_size: 0
    .kernarg_segment_align: 8
    .kernarg_segment_size: 32
    .language:       OpenCL C
    .language_version:
      - 2
      - 0
    .max_flat_workgroup_size: 256
    .name:           _ZN6thrust23THRUST_200600_302600_NS11hip_rocprim14__parallel_for6kernelILj256ENS1_10__tabulate7functorINS0_6detail15normal_iteratorINS0_10device_ptrItEEEENS0_6system6detail7generic6detail22compute_sequence_valueItvEElEElLj1EEEvT0_T1_SJ_
    .private_segment_fixed_size: 0
    .sgpr_count:     18
    .sgpr_spill_count: 0
    .symbol:         _ZN6thrust23THRUST_200600_302600_NS11hip_rocprim14__parallel_for6kernelILj256ENS1_10__tabulate7functorINS0_6detail15normal_iteratorINS0_10device_ptrItEEEENS0_6system6detail7generic6detail22compute_sequence_valueItvEElEElLj1EEEvT0_T1_SJ_.kd
    .uniform_work_group_size: 1
    .uses_dynamic_stack: false
    .vgpr_count:     4
    .vgpr_spill_count: 0
    .wavefront_size: 32
    .workgroup_processor_mode: 1
  - .args:
      - .offset:         0
        .size:           56
        .value_kind:     by_value
    .group_segment_fixed_size: 0
    .kernarg_segment_align: 8
    .kernarg_segment_size: 56
    .language:       OpenCL C
    .language_version:
      - 2
      - 0
    .max_flat_workgroup_size: 256
    .name:           _ZN7rocprim17ROCPRIM_400000_NS6detail17trampoline_kernelINS0_14default_configENS1_27lower_bound_config_selectorItiEEZNS1_14transform_implILb0ES3_S5_N6thrust23THRUST_200600_302600_NS6detail15normal_iteratorINS8_10device_ptrItEEEENSA_INSB_IiEEEEZNS1_13binary_searchIS3_S5_SD_SD_SF_NS1_21lower_bound_search_opENS9_16wrapped_functionINS0_4lessIvEEbEEEE10hipError_tPvRmT1_T2_T3_mmT4_T5_P12ihipStream_tbEUlRKtE_EESM_SQ_SR_mSS_SV_bEUlT_E_NS1_11comp_targetILNS1_3genE0ELNS1_11target_archE4294967295ELNS1_3gpuE0ELNS1_3repE0EEENS1_30default_config_static_selectorELNS0_4arch9wavefront6targetE0EEEvSP_
    .private_segment_fixed_size: 0
    .sgpr_count:     0
    .sgpr_spill_count: 0
    .symbol:         _ZN7rocprim17ROCPRIM_400000_NS6detail17trampoline_kernelINS0_14default_configENS1_27lower_bound_config_selectorItiEEZNS1_14transform_implILb0ES3_S5_N6thrust23THRUST_200600_302600_NS6detail15normal_iteratorINS8_10device_ptrItEEEENSA_INSB_IiEEEEZNS1_13binary_searchIS3_S5_SD_SD_SF_NS1_21lower_bound_search_opENS9_16wrapped_functionINS0_4lessIvEEbEEEE10hipError_tPvRmT1_T2_T3_mmT4_T5_P12ihipStream_tbEUlRKtE_EESM_SQ_SR_mSS_SV_bEUlT_E_NS1_11comp_targetILNS1_3genE0ELNS1_11target_archE4294967295ELNS1_3gpuE0ELNS1_3repE0EEENS1_30default_config_static_selectorELNS0_4arch9wavefront6targetE0EEEvSP_.kd
    .uniform_work_group_size: 1
    .uses_dynamic_stack: false
    .vgpr_count:     0
    .vgpr_spill_count: 0
    .wavefront_size: 32
    .workgroup_processor_mode: 1
  - .args:
      - .offset:         0
        .size:           56
        .value_kind:     by_value
    .group_segment_fixed_size: 0
    .kernarg_segment_align: 8
    .kernarg_segment_size: 56
    .language:       OpenCL C
    .language_version:
      - 2
      - 0
    .max_flat_workgroup_size: 256
    .name:           _ZN7rocprim17ROCPRIM_400000_NS6detail17trampoline_kernelINS0_14default_configENS1_27lower_bound_config_selectorItiEEZNS1_14transform_implILb0ES3_S5_N6thrust23THRUST_200600_302600_NS6detail15normal_iteratorINS8_10device_ptrItEEEENSA_INSB_IiEEEEZNS1_13binary_searchIS3_S5_SD_SD_SF_NS1_21lower_bound_search_opENS9_16wrapped_functionINS0_4lessIvEEbEEEE10hipError_tPvRmT1_T2_T3_mmT4_T5_P12ihipStream_tbEUlRKtE_EESM_SQ_SR_mSS_SV_bEUlT_E_NS1_11comp_targetILNS1_3genE5ELNS1_11target_archE942ELNS1_3gpuE9ELNS1_3repE0EEENS1_30default_config_static_selectorELNS0_4arch9wavefront6targetE0EEEvSP_
    .private_segment_fixed_size: 0
    .sgpr_count:     0
    .sgpr_spill_count: 0
    .symbol:         _ZN7rocprim17ROCPRIM_400000_NS6detail17trampoline_kernelINS0_14default_configENS1_27lower_bound_config_selectorItiEEZNS1_14transform_implILb0ES3_S5_N6thrust23THRUST_200600_302600_NS6detail15normal_iteratorINS8_10device_ptrItEEEENSA_INSB_IiEEEEZNS1_13binary_searchIS3_S5_SD_SD_SF_NS1_21lower_bound_search_opENS9_16wrapped_functionINS0_4lessIvEEbEEEE10hipError_tPvRmT1_T2_T3_mmT4_T5_P12ihipStream_tbEUlRKtE_EESM_SQ_SR_mSS_SV_bEUlT_E_NS1_11comp_targetILNS1_3genE5ELNS1_11target_archE942ELNS1_3gpuE9ELNS1_3repE0EEENS1_30default_config_static_selectorELNS0_4arch9wavefront6targetE0EEEvSP_.kd
    .uniform_work_group_size: 1
    .uses_dynamic_stack: false
    .vgpr_count:     0
    .vgpr_spill_count: 0
    .wavefront_size: 32
    .workgroup_processor_mode: 1
  - .args:
      - .offset:         0
        .size:           56
        .value_kind:     by_value
    .group_segment_fixed_size: 0
    .kernarg_segment_align: 8
    .kernarg_segment_size: 56
    .language:       OpenCL C
    .language_version:
      - 2
      - 0
    .max_flat_workgroup_size: 256
    .name:           _ZN7rocprim17ROCPRIM_400000_NS6detail17trampoline_kernelINS0_14default_configENS1_27lower_bound_config_selectorItiEEZNS1_14transform_implILb0ES3_S5_N6thrust23THRUST_200600_302600_NS6detail15normal_iteratorINS8_10device_ptrItEEEENSA_INSB_IiEEEEZNS1_13binary_searchIS3_S5_SD_SD_SF_NS1_21lower_bound_search_opENS9_16wrapped_functionINS0_4lessIvEEbEEEE10hipError_tPvRmT1_T2_T3_mmT4_T5_P12ihipStream_tbEUlRKtE_EESM_SQ_SR_mSS_SV_bEUlT_E_NS1_11comp_targetILNS1_3genE4ELNS1_11target_archE910ELNS1_3gpuE8ELNS1_3repE0EEENS1_30default_config_static_selectorELNS0_4arch9wavefront6targetE0EEEvSP_
    .private_segment_fixed_size: 0
    .sgpr_count:     0
    .sgpr_spill_count: 0
    .symbol:         _ZN7rocprim17ROCPRIM_400000_NS6detail17trampoline_kernelINS0_14default_configENS1_27lower_bound_config_selectorItiEEZNS1_14transform_implILb0ES3_S5_N6thrust23THRUST_200600_302600_NS6detail15normal_iteratorINS8_10device_ptrItEEEENSA_INSB_IiEEEEZNS1_13binary_searchIS3_S5_SD_SD_SF_NS1_21lower_bound_search_opENS9_16wrapped_functionINS0_4lessIvEEbEEEE10hipError_tPvRmT1_T2_T3_mmT4_T5_P12ihipStream_tbEUlRKtE_EESM_SQ_SR_mSS_SV_bEUlT_E_NS1_11comp_targetILNS1_3genE4ELNS1_11target_archE910ELNS1_3gpuE8ELNS1_3repE0EEENS1_30default_config_static_selectorELNS0_4arch9wavefront6targetE0EEEvSP_.kd
    .uniform_work_group_size: 1
    .uses_dynamic_stack: false
    .vgpr_count:     0
    .vgpr_spill_count: 0
    .wavefront_size: 32
    .workgroup_processor_mode: 1
  - .args:
      - .offset:         0
        .size:           56
        .value_kind:     by_value
    .group_segment_fixed_size: 0
    .kernarg_segment_align: 8
    .kernarg_segment_size: 56
    .language:       OpenCL C
    .language_version:
      - 2
      - 0
    .max_flat_workgroup_size: 256
    .name:           _ZN7rocprim17ROCPRIM_400000_NS6detail17trampoline_kernelINS0_14default_configENS1_27lower_bound_config_selectorItiEEZNS1_14transform_implILb0ES3_S5_N6thrust23THRUST_200600_302600_NS6detail15normal_iteratorINS8_10device_ptrItEEEENSA_INSB_IiEEEEZNS1_13binary_searchIS3_S5_SD_SD_SF_NS1_21lower_bound_search_opENS9_16wrapped_functionINS0_4lessIvEEbEEEE10hipError_tPvRmT1_T2_T3_mmT4_T5_P12ihipStream_tbEUlRKtE_EESM_SQ_SR_mSS_SV_bEUlT_E_NS1_11comp_targetILNS1_3genE3ELNS1_11target_archE908ELNS1_3gpuE7ELNS1_3repE0EEENS1_30default_config_static_selectorELNS0_4arch9wavefront6targetE0EEEvSP_
    .private_segment_fixed_size: 0
    .sgpr_count:     0
    .sgpr_spill_count: 0
    .symbol:         _ZN7rocprim17ROCPRIM_400000_NS6detail17trampoline_kernelINS0_14default_configENS1_27lower_bound_config_selectorItiEEZNS1_14transform_implILb0ES3_S5_N6thrust23THRUST_200600_302600_NS6detail15normal_iteratorINS8_10device_ptrItEEEENSA_INSB_IiEEEEZNS1_13binary_searchIS3_S5_SD_SD_SF_NS1_21lower_bound_search_opENS9_16wrapped_functionINS0_4lessIvEEbEEEE10hipError_tPvRmT1_T2_T3_mmT4_T5_P12ihipStream_tbEUlRKtE_EESM_SQ_SR_mSS_SV_bEUlT_E_NS1_11comp_targetILNS1_3genE3ELNS1_11target_archE908ELNS1_3gpuE7ELNS1_3repE0EEENS1_30default_config_static_selectorELNS0_4arch9wavefront6targetE0EEEvSP_.kd
    .uniform_work_group_size: 1
    .uses_dynamic_stack: false
    .vgpr_count:     0
    .vgpr_spill_count: 0
    .wavefront_size: 32
    .workgroup_processor_mode: 1
  - .args:
      - .offset:         0
        .size:           56
        .value_kind:     by_value
    .group_segment_fixed_size: 0
    .kernarg_segment_align: 8
    .kernarg_segment_size: 56
    .language:       OpenCL C
    .language_version:
      - 2
      - 0
    .max_flat_workgroup_size: 256
    .name:           _ZN7rocprim17ROCPRIM_400000_NS6detail17trampoline_kernelINS0_14default_configENS1_27lower_bound_config_selectorItiEEZNS1_14transform_implILb0ES3_S5_N6thrust23THRUST_200600_302600_NS6detail15normal_iteratorINS8_10device_ptrItEEEENSA_INSB_IiEEEEZNS1_13binary_searchIS3_S5_SD_SD_SF_NS1_21lower_bound_search_opENS9_16wrapped_functionINS0_4lessIvEEbEEEE10hipError_tPvRmT1_T2_T3_mmT4_T5_P12ihipStream_tbEUlRKtE_EESM_SQ_SR_mSS_SV_bEUlT_E_NS1_11comp_targetILNS1_3genE2ELNS1_11target_archE906ELNS1_3gpuE6ELNS1_3repE0EEENS1_30default_config_static_selectorELNS0_4arch9wavefront6targetE0EEEvSP_
    .private_segment_fixed_size: 0
    .sgpr_count:     0
    .sgpr_spill_count: 0
    .symbol:         _ZN7rocprim17ROCPRIM_400000_NS6detail17trampoline_kernelINS0_14default_configENS1_27lower_bound_config_selectorItiEEZNS1_14transform_implILb0ES3_S5_N6thrust23THRUST_200600_302600_NS6detail15normal_iteratorINS8_10device_ptrItEEEENSA_INSB_IiEEEEZNS1_13binary_searchIS3_S5_SD_SD_SF_NS1_21lower_bound_search_opENS9_16wrapped_functionINS0_4lessIvEEbEEEE10hipError_tPvRmT1_T2_T3_mmT4_T5_P12ihipStream_tbEUlRKtE_EESM_SQ_SR_mSS_SV_bEUlT_E_NS1_11comp_targetILNS1_3genE2ELNS1_11target_archE906ELNS1_3gpuE6ELNS1_3repE0EEENS1_30default_config_static_selectorELNS0_4arch9wavefront6targetE0EEEvSP_.kd
    .uniform_work_group_size: 1
    .uses_dynamic_stack: false
    .vgpr_count:     0
    .vgpr_spill_count: 0
    .wavefront_size: 32
    .workgroup_processor_mode: 1
  - .args:
      - .offset:         0
        .size:           56
        .value_kind:     by_value
    .group_segment_fixed_size: 0
    .kernarg_segment_align: 8
    .kernarg_segment_size: 56
    .language:       OpenCL C
    .language_version:
      - 2
      - 0
    .max_flat_workgroup_size: 256
    .name:           _ZN7rocprim17ROCPRIM_400000_NS6detail17trampoline_kernelINS0_14default_configENS1_27lower_bound_config_selectorItiEEZNS1_14transform_implILb0ES3_S5_N6thrust23THRUST_200600_302600_NS6detail15normal_iteratorINS8_10device_ptrItEEEENSA_INSB_IiEEEEZNS1_13binary_searchIS3_S5_SD_SD_SF_NS1_21lower_bound_search_opENS9_16wrapped_functionINS0_4lessIvEEbEEEE10hipError_tPvRmT1_T2_T3_mmT4_T5_P12ihipStream_tbEUlRKtE_EESM_SQ_SR_mSS_SV_bEUlT_E_NS1_11comp_targetILNS1_3genE10ELNS1_11target_archE1201ELNS1_3gpuE5ELNS1_3repE0EEENS1_30default_config_static_selectorELNS0_4arch9wavefront6targetE0EEEvSP_
    .private_segment_fixed_size: 0
    .sgpr_count:     0
    .sgpr_spill_count: 0
    .symbol:         _ZN7rocprim17ROCPRIM_400000_NS6detail17trampoline_kernelINS0_14default_configENS1_27lower_bound_config_selectorItiEEZNS1_14transform_implILb0ES3_S5_N6thrust23THRUST_200600_302600_NS6detail15normal_iteratorINS8_10device_ptrItEEEENSA_INSB_IiEEEEZNS1_13binary_searchIS3_S5_SD_SD_SF_NS1_21lower_bound_search_opENS9_16wrapped_functionINS0_4lessIvEEbEEEE10hipError_tPvRmT1_T2_T3_mmT4_T5_P12ihipStream_tbEUlRKtE_EESM_SQ_SR_mSS_SV_bEUlT_E_NS1_11comp_targetILNS1_3genE10ELNS1_11target_archE1201ELNS1_3gpuE5ELNS1_3repE0EEENS1_30default_config_static_selectorELNS0_4arch9wavefront6targetE0EEEvSP_.kd
    .uniform_work_group_size: 1
    .uses_dynamic_stack: false
    .vgpr_count:     0
    .vgpr_spill_count: 0
    .wavefront_size: 32
    .workgroup_processor_mode: 1
  - .args:
      - .offset:         0
        .size:           56
        .value_kind:     by_value
    .group_segment_fixed_size: 0
    .kernarg_segment_align: 8
    .kernarg_segment_size: 56
    .language:       OpenCL C
    .language_version:
      - 2
      - 0
    .max_flat_workgroup_size: 256
    .name:           _ZN7rocprim17ROCPRIM_400000_NS6detail17trampoline_kernelINS0_14default_configENS1_27lower_bound_config_selectorItiEEZNS1_14transform_implILb0ES3_S5_N6thrust23THRUST_200600_302600_NS6detail15normal_iteratorINS8_10device_ptrItEEEENSA_INSB_IiEEEEZNS1_13binary_searchIS3_S5_SD_SD_SF_NS1_21lower_bound_search_opENS9_16wrapped_functionINS0_4lessIvEEbEEEE10hipError_tPvRmT1_T2_T3_mmT4_T5_P12ihipStream_tbEUlRKtE_EESM_SQ_SR_mSS_SV_bEUlT_E_NS1_11comp_targetILNS1_3genE10ELNS1_11target_archE1200ELNS1_3gpuE4ELNS1_3repE0EEENS1_30default_config_static_selectorELNS0_4arch9wavefront6targetE0EEEvSP_
    .private_segment_fixed_size: 0
    .sgpr_count:     0
    .sgpr_spill_count: 0
    .symbol:         _ZN7rocprim17ROCPRIM_400000_NS6detail17trampoline_kernelINS0_14default_configENS1_27lower_bound_config_selectorItiEEZNS1_14transform_implILb0ES3_S5_N6thrust23THRUST_200600_302600_NS6detail15normal_iteratorINS8_10device_ptrItEEEENSA_INSB_IiEEEEZNS1_13binary_searchIS3_S5_SD_SD_SF_NS1_21lower_bound_search_opENS9_16wrapped_functionINS0_4lessIvEEbEEEE10hipError_tPvRmT1_T2_T3_mmT4_T5_P12ihipStream_tbEUlRKtE_EESM_SQ_SR_mSS_SV_bEUlT_E_NS1_11comp_targetILNS1_3genE10ELNS1_11target_archE1200ELNS1_3gpuE4ELNS1_3repE0EEENS1_30default_config_static_selectorELNS0_4arch9wavefront6targetE0EEEvSP_.kd
    .uniform_work_group_size: 1
    .uses_dynamic_stack: false
    .vgpr_count:     0
    .vgpr_spill_count: 0
    .wavefront_size: 32
    .workgroup_processor_mode: 1
  - .args:
      - .offset:         0
        .size:           56
        .value_kind:     by_value
      - .offset:         56
        .size:           4
        .value_kind:     hidden_block_count_x
      - .offset:         60
        .size:           4
        .value_kind:     hidden_block_count_y
      - .offset:         64
        .size:           4
        .value_kind:     hidden_block_count_z
      - .offset:         68
        .size:           2
        .value_kind:     hidden_group_size_x
      - .offset:         70
        .size:           2
        .value_kind:     hidden_group_size_y
      - .offset:         72
        .size:           2
        .value_kind:     hidden_group_size_z
      - .offset:         74
        .size:           2
        .value_kind:     hidden_remainder_x
      - .offset:         76
        .size:           2
        .value_kind:     hidden_remainder_y
      - .offset:         78
        .size:           2
        .value_kind:     hidden_remainder_z
      - .offset:         96
        .size:           8
        .value_kind:     hidden_global_offset_x
      - .offset:         104
        .size:           8
        .value_kind:     hidden_global_offset_y
      - .offset:         112
        .size:           8
        .value_kind:     hidden_global_offset_z
      - .offset:         120
        .size:           2
        .value_kind:     hidden_grid_dims
    .group_segment_fixed_size: 0
    .kernarg_segment_align: 8
    .kernarg_segment_size: 312
    .language:       OpenCL C
    .language_version:
      - 2
      - 0
    .max_flat_workgroup_size: 64
    .name:           _ZN7rocprim17ROCPRIM_400000_NS6detail17trampoline_kernelINS0_14default_configENS1_27lower_bound_config_selectorItiEEZNS1_14transform_implILb0ES3_S5_N6thrust23THRUST_200600_302600_NS6detail15normal_iteratorINS8_10device_ptrItEEEENSA_INSB_IiEEEEZNS1_13binary_searchIS3_S5_SD_SD_SF_NS1_21lower_bound_search_opENS9_16wrapped_functionINS0_4lessIvEEbEEEE10hipError_tPvRmT1_T2_T3_mmT4_T5_P12ihipStream_tbEUlRKtE_EESM_SQ_SR_mSS_SV_bEUlT_E_NS1_11comp_targetILNS1_3genE9ELNS1_11target_archE1100ELNS1_3gpuE3ELNS1_3repE0EEENS1_30default_config_static_selectorELNS0_4arch9wavefront6targetE0EEEvSP_
    .private_segment_fixed_size: 0
    .sgpr_count:     22
    .sgpr_spill_count: 0
    .symbol:         _ZN7rocprim17ROCPRIM_400000_NS6detail17trampoline_kernelINS0_14default_configENS1_27lower_bound_config_selectorItiEEZNS1_14transform_implILb0ES3_S5_N6thrust23THRUST_200600_302600_NS6detail15normal_iteratorINS8_10device_ptrItEEEENSA_INSB_IiEEEEZNS1_13binary_searchIS3_S5_SD_SD_SF_NS1_21lower_bound_search_opENS9_16wrapped_functionINS0_4lessIvEEbEEEE10hipError_tPvRmT1_T2_T3_mmT4_T5_P12ihipStream_tbEUlRKtE_EESM_SQ_SR_mSS_SV_bEUlT_E_NS1_11comp_targetILNS1_3genE9ELNS1_11target_archE1100ELNS1_3gpuE3ELNS1_3repE0EEENS1_30default_config_static_selectorELNS0_4arch9wavefront6targetE0EEEvSP_.kd
    .uniform_work_group_size: 1
    .uses_dynamic_stack: false
    .vgpr_count:     19
    .vgpr_spill_count: 0
    .wavefront_size: 32
    .workgroup_processor_mode: 1
  - .args:
      - .offset:         0
        .size:           56
        .value_kind:     by_value
    .group_segment_fixed_size: 0
    .kernarg_segment_align: 8
    .kernarg_segment_size: 56
    .language:       OpenCL C
    .language_version:
      - 2
      - 0
    .max_flat_workgroup_size: 128
    .name:           _ZN7rocprim17ROCPRIM_400000_NS6detail17trampoline_kernelINS0_14default_configENS1_27lower_bound_config_selectorItiEEZNS1_14transform_implILb0ES3_S5_N6thrust23THRUST_200600_302600_NS6detail15normal_iteratorINS8_10device_ptrItEEEENSA_INSB_IiEEEEZNS1_13binary_searchIS3_S5_SD_SD_SF_NS1_21lower_bound_search_opENS9_16wrapped_functionINS0_4lessIvEEbEEEE10hipError_tPvRmT1_T2_T3_mmT4_T5_P12ihipStream_tbEUlRKtE_EESM_SQ_SR_mSS_SV_bEUlT_E_NS1_11comp_targetILNS1_3genE8ELNS1_11target_archE1030ELNS1_3gpuE2ELNS1_3repE0EEENS1_30default_config_static_selectorELNS0_4arch9wavefront6targetE0EEEvSP_
    .private_segment_fixed_size: 0
    .sgpr_count:     0
    .sgpr_spill_count: 0
    .symbol:         _ZN7rocprim17ROCPRIM_400000_NS6detail17trampoline_kernelINS0_14default_configENS1_27lower_bound_config_selectorItiEEZNS1_14transform_implILb0ES3_S5_N6thrust23THRUST_200600_302600_NS6detail15normal_iteratorINS8_10device_ptrItEEEENSA_INSB_IiEEEEZNS1_13binary_searchIS3_S5_SD_SD_SF_NS1_21lower_bound_search_opENS9_16wrapped_functionINS0_4lessIvEEbEEEE10hipError_tPvRmT1_T2_T3_mmT4_T5_P12ihipStream_tbEUlRKtE_EESM_SQ_SR_mSS_SV_bEUlT_E_NS1_11comp_targetILNS1_3genE8ELNS1_11target_archE1030ELNS1_3gpuE2ELNS1_3repE0EEENS1_30default_config_static_selectorELNS0_4arch9wavefront6targetE0EEEvSP_.kd
    .uniform_work_group_size: 1
    .uses_dynamic_stack: false
    .vgpr_count:     0
    .vgpr_spill_count: 0
    .wavefront_size: 32
    .workgroup_processor_mode: 1
  - .args:
      - .offset:         0
        .size:           24
        .value_kind:     by_value
      - .offset:         24
        .size:           8
        .value_kind:     by_value
      - .offset:         32
        .size:           8
        .value_kind:     by_value
    .group_segment_fixed_size: 0
    .kernarg_segment_align: 8
    .kernarg_segment_size: 40
    .language:       OpenCL C
    .language_version:
      - 2
      - 0
    .max_flat_workgroup_size: 256
    .name:           _ZN6thrust23THRUST_200600_302600_NS11hip_rocprim14__parallel_for6kernelILj256ENS1_10__tabulate7functorINS0_6detail15normal_iteratorINS0_10device_ptrIxEEEENS0_6system6detail7generic6detail22compute_sequence_valueIxvEElEElLj1EEEvT0_T1_SJ_
    .private_segment_fixed_size: 0
    .sgpr_count:     18
    .sgpr_spill_count: 0
    .symbol:         _ZN6thrust23THRUST_200600_302600_NS11hip_rocprim14__parallel_for6kernelILj256ENS1_10__tabulate7functorINS0_6detail15normal_iteratorINS0_10device_ptrIxEEEENS0_6system6detail7generic6detail22compute_sequence_valueIxvEElEElLj1EEEvT0_T1_SJ_.kd
    .uniform_work_group_size: 1
    .uses_dynamic_stack: false
    .vgpr_count:     6
    .vgpr_spill_count: 0
    .wavefront_size: 32
    .workgroup_processor_mode: 1
  - .args:
      - .offset:         0
        .size:           56
        .value_kind:     by_value
    .group_segment_fixed_size: 0
    .kernarg_segment_align: 8
    .kernarg_segment_size: 56
    .language:       OpenCL C
    .language_version:
      - 2
      - 0
    .max_flat_workgroup_size: 256
    .name:           _ZN7rocprim17ROCPRIM_400000_NS6detail17trampoline_kernelINS0_14default_configENS1_27lower_bound_config_selectorIxiEEZNS1_14transform_implILb0ES3_S5_N6thrust23THRUST_200600_302600_NS6detail15normal_iteratorINS8_10device_ptrIxEEEENSA_INSB_IiEEEEZNS1_13binary_searchIS3_S5_SD_SD_SF_NS1_21lower_bound_search_opENS9_16wrapped_functionINS0_4lessIvEEbEEEE10hipError_tPvRmT1_T2_T3_mmT4_T5_P12ihipStream_tbEUlRKxE_EESM_SQ_SR_mSS_SV_bEUlT_E_NS1_11comp_targetILNS1_3genE0ELNS1_11target_archE4294967295ELNS1_3gpuE0ELNS1_3repE0EEENS1_30default_config_static_selectorELNS0_4arch9wavefront6targetE0EEEvSP_
    .private_segment_fixed_size: 0
    .sgpr_count:     0
    .sgpr_spill_count: 0
    .symbol:         _ZN7rocprim17ROCPRIM_400000_NS6detail17trampoline_kernelINS0_14default_configENS1_27lower_bound_config_selectorIxiEEZNS1_14transform_implILb0ES3_S5_N6thrust23THRUST_200600_302600_NS6detail15normal_iteratorINS8_10device_ptrIxEEEENSA_INSB_IiEEEEZNS1_13binary_searchIS3_S5_SD_SD_SF_NS1_21lower_bound_search_opENS9_16wrapped_functionINS0_4lessIvEEbEEEE10hipError_tPvRmT1_T2_T3_mmT4_T5_P12ihipStream_tbEUlRKxE_EESM_SQ_SR_mSS_SV_bEUlT_E_NS1_11comp_targetILNS1_3genE0ELNS1_11target_archE4294967295ELNS1_3gpuE0ELNS1_3repE0EEENS1_30default_config_static_selectorELNS0_4arch9wavefront6targetE0EEEvSP_.kd
    .uniform_work_group_size: 1
    .uses_dynamic_stack: false
    .vgpr_count:     0
    .vgpr_spill_count: 0
    .wavefront_size: 32
    .workgroup_processor_mode: 1
  - .args:
      - .offset:         0
        .size:           56
        .value_kind:     by_value
    .group_segment_fixed_size: 0
    .kernarg_segment_align: 8
    .kernarg_segment_size: 56
    .language:       OpenCL C
    .language_version:
      - 2
      - 0
    .max_flat_workgroup_size: 64
    .name:           _ZN7rocprim17ROCPRIM_400000_NS6detail17trampoline_kernelINS0_14default_configENS1_27lower_bound_config_selectorIxiEEZNS1_14transform_implILb0ES3_S5_N6thrust23THRUST_200600_302600_NS6detail15normal_iteratorINS8_10device_ptrIxEEEENSA_INSB_IiEEEEZNS1_13binary_searchIS3_S5_SD_SD_SF_NS1_21lower_bound_search_opENS9_16wrapped_functionINS0_4lessIvEEbEEEE10hipError_tPvRmT1_T2_T3_mmT4_T5_P12ihipStream_tbEUlRKxE_EESM_SQ_SR_mSS_SV_bEUlT_E_NS1_11comp_targetILNS1_3genE5ELNS1_11target_archE942ELNS1_3gpuE9ELNS1_3repE0EEENS1_30default_config_static_selectorELNS0_4arch9wavefront6targetE0EEEvSP_
    .private_segment_fixed_size: 0
    .sgpr_count:     0
    .sgpr_spill_count: 0
    .symbol:         _ZN7rocprim17ROCPRIM_400000_NS6detail17trampoline_kernelINS0_14default_configENS1_27lower_bound_config_selectorIxiEEZNS1_14transform_implILb0ES3_S5_N6thrust23THRUST_200600_302600_NS6detail15normal_iteratorINS8_10device_ptrIxEEEENSA_INSB_IiEEEEZNS1_13binary_searchIS3_S5_SD_SD_SF_NS1_21lower_bound_search_opENS9_16wrapped_functionINS0_4lessIvEEbEEEE10hipError_tPvRmT1_T2_T3_mmT4_T5_P12ihipStream_tbEUlRKxE_EESM_SQ_SR_mSS_SV_bEUlT_E_NS1_11comp_targetILNS1_3genE5ELNS1_11target_archE942ELNS1_3gpuE9ELNS1_3repE0EEENS1_30default_config_static_selectorELNS0_4arch9wavefront6targetE0EEEvSP_.kd
    .uniform_work_group_size: 1
    .uses_dynamic_stack: false
    .vgpr_count:     0
    .vgpr_spill_count: 0
    .wavefront_size: 32
    .workgroup_processor_mode: 1
  - .args:
      - .offset:         0
        .size:           56
        .value_kind:     by_value
    .group_segment_fixed_size: 0
    .kernarg_segment_align: 8
    .kernarg_segment_size: 56
    .language:       OpenCL C
    .language_version:
      - 2
      - 0
    .max_flat_workgroup_size: 64
    .name:           _ZN7rocprim17ROCPRIM_400000_NS6detail17trampoline_kernelINS0_14default_configENS1_27lower_bound_config_selectorIxiEEZNS1_14transform_implILb0ES3_S5_N6thrust23THRUST_200600_302600_NS6detail15normal_iteratorINS8_10device_ptrIxEEEENSA_INSB_IiEEEEZNS1_13binary_searchIS3_S5_SD_SD_SF_NS1_21lower_bound_search_opENS9_16wrapped_functionINS0_4lessIvEEbEEEE10hipError_tPvRmT1_T2_T3_mmT4_T5_P12ihipStream_tbEUlRKxE_EESM_SQ_SR_mSS_SV_bEUlT_E_NS1_11comp_targetILNS1_3genE4ELNS1_11target_archE910ELNS1_3gpuE8ELNS1_3repE0EEENS1_30default_config_static_selectorELNS0_4arch9wavefront6targetE0EEEvSP_
    .private_segment_fixed_size: 0
    .sgpr_count:     0
    .sgpr_spill_count: 0
    .symbol:         _ZN7rocprim17ROCPRIM_400000_NS6detail17trampoline_kernelINS0_14default_configENS1_27lower_bound_config_selectorIxiEEZNS1_14transform_implILb0ES3_S5_N6thrust23THRUST_200600_302600_NS6detail15normal_iteratorINS8_10device_ptrIxEEEENSA_INSB_IiEEEEZNS1_13binary_searchIS3_S5_SD_SD_SF_NS1_21lower_bound_search_opENS9_16wrapped_functionINS0_4lessIvEEbEEEE10hipError_tPvRmT1_T2_T3_mmT4_T5_P12ihipStream_tbEUlRKxE_EESM_SQ_SR_mSS_SV_bEUlT_E_NS1_11comp_targetILNS1_3genE4ELNS1_11target_archE910ELNS1_3gpuE8ELNS1_3repE0EEENS1_30default_config_static_selectorELNS0_4arch9wavefront6targetE0EEEvSP_.kd
    .uniform_work_group_size: 1
    .uses_dynamic_stack: false
    .vgpr_count:     0
    .vgpr_spill_count: 0
    .wavefront_size: 32
    .workgroup_processor_mode: 1
  - .args:
      - .offset:         0
        .size:           56
        .value_kind:     by_value
    .group_segment_fixed_size: 0
    .kernarg_segment_align: 8
    .kernarg_segment_size: 56
    .language:       OpenCL C
    .language_version:
      - 2
      - 0
    .max_flat_workgroup_size: 256
    .name:           _ZN7rocprim17ROCPRIM_400000_NS6detail17trampoline_kernelINS0_14default_configENS1_27lower_bound_config_selectorIxiEEZNS1_14transform_implILb0ES3_S5_N6thrust23THRUST_200600_302600_NS6detail15normal_iteratorINS8_10device_ptrIxEEEENSA_INSB_IiEEEEZNS1_13binary_searchIS3_S5_SD_SD_SF_NS1_21lower_bound_search_opENS9_16wrapped_functionINS0_4lessIvEEbEEEE10hipError_tPvRmT1_T2_T3_mmT4_T5_P12ihipStream_tbEUlRKxE_EESM_SQ_SR_mSS_SV_bEUlT_E_NS1_11comp_targetILNS1_3genE3ELNS1_11target_archE908ELNS1_3gpuE7ELNS1_3repE0EEENS1_30default_config_static_selectorELNS0_4arch9wavefront6targetE0EEEvSP_
    .private_segment_fixed_size: 0
    .sgpr_count:     0
    .sgpr_spill_count: 0
    .symbol:         _ZN7rocprim17ROCPRIM_400000_NS6detail17trampoline_kernelINS0_14default_configENS1_27lower_bound_config_selectorIxiEEZNS1_14transform_implILb0ES3_S5_N6thrust23THRUST_200600_302600_NS6detail15normal_iteratorINS8_10device_ptrIxEEEENSA_INSB_IiEEEEZNS1_13binary_searchIS3_S5_SD_SD_SF_NS1_21lower_bound_search_opENS9_16wrapped_functionINS0_4lessIvEEbEEEE10hipError_tPvRmT1_T2_T3_mmT4_T5_P12ihipStream_tbEUlRKxE_EESM_SQ_SR_mSS_SV_bEUlT_E_NS1_11comp_targetILNS1_3genE3ELNS1_11target_archE908ELNS1_3gpuE7ELNS1_3repE0EEENS1_30default_config_static_selectorELNS0_4arch9wavefront6targetE0EEEvSP_.kd
    .uniform_work_group_size: 1
    .uses_dynamic_stack: false
    .vgpr_count:     0
    .vgpr_spill_count: 0
    .wavefront_size: 32
    .workgroup_processor_mode: 1
  - .args:
      - .offset:         0
        .size:           56
        .value_kind:     by_value
    .group_segment_fixed_size: 0
    .kernarg_segment_align: 8
    .kernarg_segment_size: 56
    .language:       OpenCL C
    .language_version:
      - 2
      - 0
    .max_flat_workgroup_size: 256
    .name:           _ZN7rocprim17ROCPRIM_400000_NS6detail17trampoline_kernelINS0_14default_configENS1_27lower_bound_config_selectorIxiEEZNS1_14transform_implILb0ES3_S5_N6thrust23THRUST_200600_302600_NS6detail15normal_iteratorINS8_10device_ptrIxEEEENSA_INSB_IiEEEEZNS1_13binary_searchIS3_S5_SD_SD_SF_NS1_21lower_bound_search_opENS9_16wrapped_functionINS0_4lessIvEEbEEEE10hipError_tPvRmT1_T2_T3_mmT4_T5_P12ihipStream_tbEUlRKxE_EESM_SQ_SR_mSS_SV_bEUlT_E_NS1_11comp_targetILNS1_3genE2ELNS1_11target_archE906ELNS1_3gpuE6ELNS1_3repE0EEENS1_30default_config_static_selectorELNS0_4arch9wavefront6targetE0EEEvSP_
    .private_segment_fixed_size: 0
    .sgpr_count:     0
    .sgpr_spill_count: 0
    .symbol:         _ZN7rocprim17ROCPRIM_400000_NS6detail17trampoline_kernelINS0_14default_configENS1_27lower_bound_config_selectorIxiEEZNS1_14transform_implILb0ES3_S5_N6thrust23THRUST_200600_302600_NS6detail15normal_iteratorINS8_10device_ptrIxEEEENSA_INSB_IiEEEEZNS1_13binary_searchIS3_S5_SD_SD_SF_NS1_21lower_bound_search_opENS9_16wrapped_functionINS0_4lessIvEEbEEEE10hipError_tPvRmT1_T2_T3_mmT4_T5_P12ihipStream_tbEUlRKxE_EESM_SQ_SR_mSS_SV_bEUlT_E_NS1_11comp_targetILNS1_3genE2ELNS1_11target_archE906ELNS1_3gpuE6ELNS1_3repE0EEENS1_30default_config_static_selectorELNS0_4arch9wavefront6targetE0EEEvSP_.kd
    .uniform_work_group_size: 1
    .uses_dynamic_stack: false
    .vgpr_count:     0
    .vgpr_spill_count: 0
    .wavefront_size: 32
    .workgroup_processor_mode: 1
  - .args:
      - .offset:         0
        .size:           56
        .value_kind:     by_value
    .group_segment_fixed_size: 0
    .kernarg_segment_align: 8
    .kernarg_segment_size: 56
    .language:       OpenCL C
    .language_version:
      - 2
      - 0
    .max_flat_workgroup_size: 128
    .name:           _ZN7rocprim17ROCPRIM_400000_NS6detail17trampoline_kernelINS0_14default_configENS1_27lower_bound_config_selectorIxiEEZNS1_14transform_implILb0ES3_S5_N6thrust23THRUST_200600_302600_NS6detail15normal_iteratorINS8_10device_ptrIxEEEENSA_INSB_IiEEEEZNS1_13binary_searchIS3_S5_SD_SD_SF_NS1_21lower_bound_search_opENS9_16wrapped_functionINS0_4lessIvEEbEEEE10hipError_tPvRmT1_T2_T3_mmT4_T5_P12ihipStream_tbEUlRKxE_EESM_SQ_SR_mSS_SV_bEUlT_E_NS1_11comp_targetILNS1_3genE10ELNS1_11target_archE1201ELNS1_3gpuE5ELNS1_3repE0EEENS1_30default_config_static_selectorELNS0_4arch9wavefront6targetE0EEEvSP_
    .private_segment_fixed_size: 0
    .sgpr_count:     0
    .sgpr_spill_count: 0
    .symbol:         _ZN7rocprim17ROCPRIM_400000_NS6detail17trampoline_kernelINS0_14default_configENS1_27lower_bound_config_selectorIxiEEZNS1_14transform_implILb0ES3_S5_N6thrust23THRUST_200600_302600_NS6detail15normal_iteratorINS8_10device_ptrIxEEEENSA_INSB_IiEEEEZNS1_13binary_searchIS3_S5_SD_SD_SF_NS1_21lower_bound_search_opENS9_16wrapped_functionINS0_4lessIvEEbEEEE10hipError_tPvRmT1_T2_T3_mmT4_T5_P12ihipStream_tbEUlRKxE_EESM_SQ_SR_mSS_SV_bEUlT_E_NS1_11comp_targetILNS1_3genE10ELNS1_11target_archE1201ELNS1_3gpuE5ELNS1_3repE0EEENS1_30default_config_static_selectorELNS0_4arch9wavefront6targetE0EEEvSP_.kd
    .uniform_work_group_size: 1
    .uses_dynamic_stack: false
    .vgpr_count:     0
    .vgpr_spill_count: 0
    .wavefront_size: 32
    .workgroup_processor_mode: 1
  - .args:
      - .offset:         0
        .size:           56
        .value_kind:     by_value
    .group_segment_fixed_size: 0
    .kernarg_segment_align: 8
    .kernarg_segment_size: 56
    .language:       OpenCL C
    .language_version:
      - 2
      - 0
    .max_flat_workgroup_size: 128
    .name:           _ZN7rocprim17ROCPRIM_400000_NS6detail17trampoline_kernelINS0_14default_configENS1_27lower_bound_config_selectorIxiEEZNS1_14transform_implILb0ES3_S5_N6thrust23THRUST_200600_302600_NS6detail15normal_iteratorINS8_10device_ptrIxEEEENSA_INSB_IiEEEEZNS1_13binary_searchIS3_S5_SD_SD_SF_NS1_21lower_bound_search_opENS9_16wrapped_functionINS0_4lessIvEEbEEEE10hipError_tPvRmT1_T2_T3_mmT4_T5_P12ihipStream_tbEUlRKxE_EESM_SQ_SR_mSS_SV_bEUlT_E_NS1_11comp_targetILNS1_3genE10ELNS1_11target_archE1200ELNS1_3gpuE4ELNS1_3repE0EEENS1_30default_config_static_selectorELNS0_4arch9wavefront6targetE0EEEvSP_
    .private_segment_fixed_size: 0
    .sgpr_count:     0
    .sgpr_spill_count: 0
    .symbol:         _ZN7rocprim17ROCPRIM_400000_NS6detail17trampoline_kernelINS0_14default_configENS1_27lower_bound_config_selectorIxiEEZNS1_14transform_implILb0ES3_S5_N6thrust23THRUST_200600_302600_NS6detail15normal_iteratorINS8_10device_ptrIxEEEENSA_INSB_IiEEEEZNS1_13binary_searchIS3_S5_SD_SD_SF_NS1_21lower_bound_search_opENS9_16wrapped_functionINS0_4lessIvEEbEEEE10hipError_tPvRmT1_T2_T3_mmT4_T5_P12ihipStream_tbEUlRKxE_EESM_SQ_SR_mSS_SV_bEUlT_E_NS1_11comp_targetILNS1_3genE10ELNS1_11target_archE1200ELNS1_3gpuE4ELNS1_3repE0EEENS1_30default_config_static_selectorELNS0_4arch9wavefront6targetE0EEEvSP_.kd
    .uniform_work_group_size: 1
    .uses_dynamic_stack: false
    .vgpr_count:     0
    .vgpr_spill_count: 0
    .wavefront_size: 32
    .workgroup_processor_mode: 1
  - .args:
      - .offset:         0
        .size:           56
        .value_kind:     by_value
      - .offset:         56
        .size:           4
        .value_kind:     hidden_block_count_x
      - .offset:         60
        .size:           4
        .value_kind:     hidden_block_count_y
      - .offset:         64
        .size:           4
        .value_kind:     hidden_block_count_z
      - .offset:         68
        .size:           2
        .value_kind:     hidden_group_size_x
      - .offset:         70
        .size:           2
        .value_kind:     hidden_group_size_y
      - .offset:         72
        .size:           2
        .value_kind:     hidden_group_size_z
      - .offset:         74
        .size:           2
        .value_kind:     hidden_remainder_x
      - .offset:         76
        .size:           2
        .value_kind:     hidden_remainder_y
      - .offset:         78
        .size:           2
        .value_kind:     hidden_remainder_z
      - .offset:         96
        .size:           8
        .value_kind:     hidden_global_offset_x
      - .offset:         104
        .size:           8
        .value_kind:     hidden_global_offset_y
      - .offset:         112
        .size:           8
        .value_kind:     hidden_global_offset_z
      - .offset:         120
        .size:           2
        .value_kind:     hidden_grid_dims
    .group_segment_fixed_size: 0
    .kernarg_segment_align: 8
    .kernarg_segment_size: 312
    .language:       OpenCL C
    .language_version:
      - 2
      - 0
    .max_flat_workgroup_size: 64
    .name:           _ZN7rocprim17ROCPRIM_400000_NS6detail17trampoline_kernelINS0_14default_configENS1_27lower_bound_config_selectorIxiEEZNS1_14transform_implILb0ES3_S5_N6thrust23THRUST_200600_302600_NS6detail15normal_iteratorINS8_10device_ptrIxEEEENSA_INSB_IiEEEEZNS1_13binary_searchIS3_S5_SD_SD_SF_NS1_21lower_bound_search_opENS9_16wrapped_functionINS0_4lessIvEEbEEEE10hipError_tPvRmT1_T2_T3_mmT4_T5_P12ihipStream_tbEUlRKxE_EESM_SQ_SR_mSS_SV_bEUlT_E_NS1_11comp_targetILNS1_3genE9ELNS1_11target_archE1100ELNS1_3gpuE3ELNS1_3repE0EEENS1_30default_config_static_selectorELNS0_4arch9wavefront6targetE0EEEvSP_
    .private_segment_fixed_size: 0
    .sgpr_count:     30
    .sgpr_spill_count: 0
    .symbol:         _ZN7rocprim17ROCPRIM_400000_NS6detail17trampoline_kernelINS0_14default_configENS1_27lower_bound_config_selectorIxiEEZNS1_14transform_implILb0ES3_S5_N6thrust23THRUST_200600_302600_NS6detail15normal_iteratorINS8_10device_ptrIxEEEENSA_INSB_IiEEEEZNS1_13binary_searchIS3_S5_SD_SD_SF_NS1_21lower_bound_search_opENS9_16wrapped_functionINS0_4lessIvEEbEEEE10hipError_tPvRmT1_T2_T3_mmT4_T5_P12ihipStream_tbEUlRKxE_EESM_SQ_SR_mSS_SV_bEUlT_E_NS1_11comp_targetILNS1_3genE9ELNS1_11target_archE1100ELNS1_3gpuE3ELNS1_3repE0EEENS1_30default_config_static_selectorELNS0_4arch9wavefront6targetE0EEEvSP_.kd
    .uniform_work_group_size: 1
    .uses_dynamic_stack: false
    .vgpr_count:     42
    .vgpr_spill_count: 0
    .wavefront_size: 32
    .workgroup_processor_mode: 1
  - .args:
      - .offset:         0
        .size:           56
        .value_kind:     by_value
    .group_segment_fixed_size: 0
    .kernarg_segment_align: 8
    .kernarg_segment_size: 56
    .language:       OpenCL C
    .language_version:
      - 2
      - 0
    .max_flat_workgroup_size: 256
    .name:           _ZN7rocprim17ROCPRIM_400000_NS6detail17trampoline_kernelINS0_14default_configENS1_27lower_bound_config_selectorIxiEEZNS1_14transform_implILb0ES3_S5_N6thrust23THRUST_200600_302600_NS6detail15normal_iteratorINS8_10device_ptrIxEEEENSA_INSB_IiEEEEZNS1_13binary_searchIS3_S5_SD_SD_SF_NS1_21lower_bound_search_opENS9_16wrapped_functionINS0_4lessIvEEbEEEE10hipError_tPvRmT1_T2_T3_mmT4_T5_P12ihipStream_tbEUlRKxE_EESM_SQ_SR_mSS_SV_bEUlT_E_NS1_11comp_targetILNS1_3genE8ELNS1_11target_archE1030ELNS1_3gpuE2ELNS1_3repE0EEENS1_30default_config_static_selectorELNS0_4arch9wavefront6targetE0EEEvSP_
    .private_segment_fixed_size: 0
    .sgpr_count:     0
    .sgpr_spill_count: 0
    .symbol:         _ZN7rocprim17ROCPRIM_400000_NS6detail17trampoline_kernelINS0_14default_configENS1_27lower_bound_config_selectorIxiEEZNS1_14transform_implILb0ES3_S5_N6thrust23THRUST_200600_302600_NS6detail15normal_iteratorINS8_10device_ptrIxEEEENSA_INSB_IiEEEEZNS1_13binary_searchIS3_S5_SD_SD_SF_NS1_21lower_bound_search_opENS9_16wrapped_functionINS0_4lessIvEEbEEEE10hipError_tPvRmT1_T2_T3_mmT4_T5_P12ihipStream_tbEUlRKxE_EESM_SQ_SR_mSS_SV_bEUlT_E_NS1_11comp_targetILNS1_3genE8ELNS1_11target_archE1030ELNS1_3gpuE2ELNS1_3repE0EEENS1_30default_config_static_selectorELNS0_4arch9wavefront6targetE0EEEvSP_.kd
    .uniform_work_group_size: 1
    .uses_dynamic_stack: false
    .vgpr_count:     0
    .vgpr_spill_count: 0
    .wavefront_size: 32
    .workgroup_processor_mode: 1
  - .args:
      - .offset:         0
        .size:           16
        .value_kind:     by_value
      - .offset:         16
        .size:           8
        .value_kind:     by_value
      - .offset:         24
        .size:           8
        .value_kind:     by_value
    .group_segment_fixed_size: 0
    .kernarg_segment_align: 8
    .kernarg_segment_size: 32
    .language:       OpenCL C
    .language_version:
      - 2
      - 0
    .max_flat_workgroup_size: 256
    .name:           _ZN6thrust23THRUST_200600_302600_NS11hip_rocprim14__parallel_for6kernelILj256ENS1_10__tabulate7functorINS0_6detail15normal_iteratorINS0_10device_ptrIiEEEENS0_6system6detail7generic6detail22compute_sequence_valueIivEElEElLj1EEEvT0_T1_SJ_
    .private_segment_fixed_size: 0
    .sgpr_count:     18
    .sgpr_spill_count: 0
    .symbol:         _ZN6thrust23THRUST_200600_302600_NS11hip_rocprim14__parallel_for6kernelILj256ENS1_10__tabulate7functorINS0_6detail15normal_iteratorINS0_10device_ptrIiEEEENS0_6system6detail7generic6detail22compute_sequence_valueIivEElEElLj1EEEvT0_T1_SJ_.kd
    .uniform_work_group_size: 1
    .uses_dynamic_stack: false
    .vgpr_count:     5
    .vgpr_spill_count: 0
    .wavefront_size: 32
    .workgroup_processor_mode: 1
  - .args:
      - .offset:         0
        .size:           56
        .value_kind:     by_value
    .group_segment_fixed_size: 0
    .kernarg_segment_align: 8
    .kernarg_segment_size: 56
    .language:       OpenCL C
    .language_version:
      - 2
      - 0
    .max_flat_workgroup_size: 64
    .name:           _ZN7rocprim17ROCPRIM_400000_NS6detail17trampoline_kernelINS0_14default_configENS1_27lower_bound_config_selectorIiiEEZNS1_14transform_implILb0ES3_S5_N6thrust23THRUST_200600_302600_NS6detail15normal_iteratorINS8_10device_ptrIiEEEESD_ZNS1_13binary_searchIS3_S5_SD_SD_SD_NS1_21lower_bound_search_opENS9_16wrapped_functionINS0_4lessIvEEbEEEE10hipError_tPvRmT1_T2_T3_mmT4_T5_P12ihipStream_tbEUlRKiE_EESK_SO_SP_mSQ_ST_bEUlT_E_NS1_11comp_targetILNS1_3genE0ELNS1_11target_archE4294967295ELNS1_3gpuE0ELNS1_3repE0EEENS1_30default_config_static_selectorELNS0_4arch9wavefront6targetE0EEEvSN_
    .private_segment_fixed_size: 0
    .sgpr_count:     0
    .sgpr_spill_count: 0
    .symbol:         _ZN7rocprim17ROCPRIM_400000_NS6detail17trampoline_kernelINS0_14default_configENS1_27lower_bound_config_selectorIiiEEZNS1_14transform_implILb0ES3_S5_N6thrust23THRUST_200600_302600_NS6detail15normal_iteratorINS8_10device_ptrIiEEEESD_ZNS1_13binary_searchIS3_S5_SD_SD_SD_NS1_21lower_bound_search_opENS9_16wrapped_functionINS0_4lessIvEEbEEEE10hipError_tPvRmT1_T2_T3_mmT4_T5_P12ihipStream_tbEUlRKiE_EESK_SO_SP_mSQ_ST_bEUlT_E_NS1_11comp_targetILNS1_3genE0ELNS1_11target_archE4294967295ELNS1_3gpuE0ELNS1_3repE0EEENS1_30default_config_static_selectorELNS0_4arch9wavefront6targetE0EEEvSN_.kd
    .uniform_work_group_size: 1
    .uses_dynamic_stack: false
    .vgpr_count:     0
    .vgpr_spill_count: 0
    .wavefront_size: 32
    .workgroup_processor_mode: 1
  - .args:
      - .offset:         0
        .size:           56
        .value_kind:     by_value
    .group_segment_fixed_size: 0
    .kernarg_segment_align: 8
    .kernarg_segment_size: 56
    .language:       OpenCL C
    .language_version:
      - 2
      - 0
    .max_flat_workgroup_size: 256
    .name:           _ZN7rocprim17ROCPRIM_400000_NS6detail17trampoline_kernelINS0_14default_configENS1_27lower_bound_config_selectorIiiEEZNS1_14transform_implILb0ES3_S5_N6thrust23THRUST_200600_302600_NS6detail15normal_iteratorINS8_10device_ptrIiEEEESD_ZNS1_13binary_searchIS3_S5_SD_SD_SD_NS1_21lower_bound_search_opENS9_16wrapped_functionINS0_4lessIvEEbEEEE10hipError_tPvRmT1_T2_T3_mmT4_T5_P12ihipStream_tbEUlRKiE_EESK_SO_SP_mSQ_ST_bEUlT_E_NS1_11comp_targetILNS1_3genE5ELNS1_11target_archE942ELNS1_3gpuE9ELNS1_3repE0EEENS1_30default_config_static_selectorELNS0_4arch9wavefront6targetE0EEEvSN_
    .private_segment_fixed_size: 0
    .sgpr_count:     0
    .sgpr_spill_count: 0
    .symbol:         _ZN7rocprim17ROCPRIM_400000_NS6detail17trampoline_kernelINS0_14default_configENS1_27lower_bound_config_selectorIiiEEZNS1_14transform_implILb0ES3_S5_N6thrust23THRUST_200600_302600_NS6detail15normal_iteratorINS8_10device_ptrIiEEEESD_ZNS1_13binary_searchIS3_S5_SD_SD_SD_NS1_21lower_bound_search_opENS9_16wrapped_functionINS0_4lessIvEEbEEEE10hipError_tPvRmT1_T2_T3_mmT4_T5_P12ihipStream_tbEUlRKiE_EESK_SO_SP_mSQ_ST_bEUlT_E_NS1_11comp_targetILNS1_3genE5ELNS1_11target_archE942ELNS1_3gpuE9ELNS1_3repE0EEENS1_30default_config_static_selectorELNS0_4arch9wavefront6targetE0EEEvSN_.kd
    .uniform_work_group_size: 1
    .uses_dynamic_stack: false
    .vgpr_count:     0
    .vgpr_spill_count: 0
    .wavefront_size: 32
    .workgroup_processor_mode: 1
  - .args:
      - .offset:         0
        .size:           56
        .value_kind:     by_value
    .group_segment_fixed_size: 0
    .kernarg_segment_align: 8
    .kernarg_segment_size: 56
    .language:       OpenCL C
    .language_version:
      - 2
      - 0
    .max_flat_workgroup_size: 256
    .name:           _ZN7rocprim17ROCPRIM_400000_NS6detail17trampoline_kernelINS0_14default_configENS1_27lower_bound_config_selectorIiiEEZNS1_14transform_implILb0ES3_S5_N6thrust23THRUST_200600_302600_NS6detail15normal_iteratorINS8_10device_ptrIiEEEESD_ZNS1_13binary_searchIS3_S5_SD_SD_SD_NS1_21lower_bound_search_opENS9_16wrapped_functionINS0_4lessIvEEbEEEE10hipError_tPvRmT1_T2_T3_mmT4_T5_P12ihipStream_tbEUlRKiE_EESK_SO_SP_mSQ_ST_bEUlT_E_NS1_11comp_targetILNS1_3genE4ELNS1_11target_archE910ELNS1_3gpuE8ELNS1_3repE0EEENS1_30default_config_static_selectorELNS0_4arch9wavefront6targetE0EEEvSN_
    .private_segment_fixed_size: 0
    .sgpr_count:     0
    .sgpr_spill_count: 0
    .symbol:         _ZN7rocprim17ROCPRIM_400000_NS6detail17trampoline_kernelINS0_14default_configENS1_27lower_bound_config_selectorIiiEEZNS1_14transform_implILb0ES3_S5_N6thrust23THRUST_200600_302600_NS6detail15normal_iteratorINS8_10device_ptrIiEEEESD_ZNS1_13binary_searchIS3_S5_SD_SD_SD_NS1_21lower_bound_search_opENS9_16wrapped_functionINS0_4lessIvEEbEEEE10hipError_tPvRmT1_T2_T3_mmT4_T5_P12ihipStream_tbEUlRKiE_EESK_SO_SP_mSQ_ST_bEUlT_E_NS1_11comp_targetILNS1_3genE4ELNS1_11target_archE910ELNS1_3gpuE8ELNS1_3repE0EEENS1_30default_config_static_selectorELNS0_4arch9wavefront6targetE0EEEvSN_.kd
    .uniform_work_group_size: 1
    .uses_dynamic_stack: false
    .vgpr_count:     0
    .vgpr_spill_count: 0
    .wavefront_size: 32
    .workgroup_processor_mode: 1
  - .args:
      - .offset:         0
        .size:           56
        .value_kind:     by_value
    .group_segment_fixed_size: 0
    .kernarg_segment_align: 8
    .kernarg_segment_size: 56
    .language:       OpenCL C
    .language_version:
      - 2
      - 0
    .max_flat_workgroup_size: 64
    .name:           _ZN7rocprim17ROCPRIM_400000_NS6detail17trampoline_kernelINS0_14default_configENS1_27lower_bound_config_selectorIiiEEZNS1_14transform_implILb0ES3_S5_N6thrust23THRUST_200600_302600_NS6detail15normal_iteratorINS8_10device_ptrIiEEEESD_ZNS1_13binary_searchIS3_S5_SD_SD_SD_NS1_21lower_bound_search_opENS9_16wrapped_functionINS0_4lessIvEEbEEEE10hipError_tPvRmT1_T2_T3_mmT4_T5_P12ihipStream_tbEUlRKiE_EESK_SO_SP_mSQ_ST_bEUlT_E_NS1_11comp_targetILNS1_3genE3ELNS1_11target_archE908ELNS1_3gpuE7ELNS1_3repE0EEENS1_30default_config_static_selectorELNS0_4arch9wavefront6targetE0EEEvSN_
    .private_segment_fixed_size: 0
    .sgpr_count:     0
    .sgpr_spill_count: 0
    .symbol:         _ZN7rocprim17ROCPRIM_400000_NS6detail17trampoline_kernelINS0_14default_configENS1_27lower_bound_config_selectorIiiEEZNS1_14transform_implILb0ES3_S5_N6thrust23THRUST_200600_302600_NS6detail15normal_iteratorINS8_10device_ptrIiEEEESD_ZNS1_13binary_searchIS3_S5_SD_SD_SD_NS1_21lower_bound_search_opENS9_16wrapped_functionINS0_4lessIvEEbEEEE10hipError_tPvRmT1_T2_T3_mmT4_T5_P12ihipStream_tbEUlRKiE_EESK_SO_SP_mSQ_ST_bEUlT_E_NS1_11comp_targetILNS1_3genE3ELNS1_11target_archE908ELNS1_3gpuE7ELNS1_3repE0EEENS1_30default_config_static_selectorELNS0_4arch9wavefront6targetE0EEEvSN_.kd
    .uniform_work_group_size: 1
    .uses_dynamic_stack: false
    .vgpr_count:     0
    .vgpr_spill_count: 0
    .wavefront_size: 32
    .workgroup_processor_mode: 1
  - .args:
      - .offset:         0
        .size:           56
        .value_kind:     by_value
    .group_segment_fixed_size: 0
    .kernarg_segment_align: 8
    .kernarg_segment_size: 56
    .language:       OpenCL C
    .language_version:
      - 2
      - 0
    .max_flat_workgroup_size: 256
    .name:           _ZN7rocprim17ROCPRIM_400000_NS6detail17trampoline_kernelINS0_14default_configENS1_27lower_bound_config_selectorIiiEEZNS1_14transform_implILb0ES3_S5_N6thrust23THRUST_200600_302600_NS6detail15normal_iteratorINS8_10device_ptrIiEEEESD_ZNS1_13binary_searchIS3_S5_SD_SD_SD_NS1_21lower_bound_search_opENS9_16wrapped_functionINS0_4lessIvEEbEEEE10hipError_tPvRmT1_T2_T3_mmT4_T5_P12ihipStream_tbEUlRKiE_EESK_SO_SP_mSQ_ST_bEUlT_E_NS1_11comp_targetILNS1_3genE2ELNS1_11target_archE906ELNS1_3gpuE6ELNS1_3repE0EEENS1_30default_config_static_selectorELNS0_4arch9wavefront6targetE0EEEvSN_
    .private_segment_fixed_size: 0
    .sgpr_count:     0
    .sgpr_spill_count: 0
    .symbol:         _ZN7rocprim17ROCPRIM_400000_NS6detail17trampoline_kernelINS0_14default_configENS1_27lower_bound_config_selectorIiiEEZNS1_14transform_implILb0ES3_S5_N6thrust23THRUST_200600_302600_NS6detail15normal_iteratorINS8_10device_ptrIiEEEESD_ZNS1_13binary_searchIS3_S5_SD_SD_SD_NS1_21lower_bound_search_opENS9_16wrapped_functionINS0_4lessIvEEbEEEE10hipError_tPvRmT1_T2_T3_mmT4_T5_P12ihipStream_tbEUlRKiE_EESK_SO_SP_mSQ_ST_bEUlT_E_NS1_11comp_targetILNS1_3genE2ELNS1_11target_archE906ELNS1_3gpuE6ELNS1_3repE0EEENS1_30default_config_static_selectorELNS0_4arch9wavefront6targetE0EEEvSN_.kd
    .uniform_work_group_size: 1
    .uses_dynamic_stack: false
    .vgpr_count:     0
    .vgpr_spill_count: 0
    .wavefront_size: 32
    .workgroup_processor_mode: 1
  - .args:
      - .offset:         0
        .size:           56
        .value_kind:     by_value
    .group_segment_fixed_size: 0
    .kernarg_segment_align: 8
    .kernarg_segment_size: 56
    .language:       OpenCL C
    .language_version:
      - 2
      - 0
    .max_flat_workgroup_size: 128
    .name:           _ZN7rocprim17ROCPRIM_400000_NS6detail17trampoline_kernelINS0_14default_configENS1_27lower_bound_config_selectorIiiEEZNS1_14transform_implILb0ES3_S5_N6thrust23THRUST_200600_302600_NS6detail15normal_iteratorINS8_10device_ptrIiEEEESD_ZNS1_13binary_searchIS3_S5_SD_SD_SD_NS1_21lower_bound_search_opENS9_16wrapped_functionINS0_4lessIvEEbEEEE10hipError_tPvRmT1_T2_T3_mmT4_T5_P12ihipStream_tbEUlRKiE_EESK_SO_SP_mSQ_ST_bEUlT_E_NS1_11comp_targetILNS1_3genE10ELNS1_11target_archE1201ELNS1_3gpuE5ELNS1_3repE0EEENS1_30default_config_static_selectorELNS0_4arch9wavefront6targetE0EEEvSN_
    .private_segment_fixed_size: 0
    .sgpr_count:     0
    .sgpr_spill_count: 0
    .symbol:         _ZN7rocprim17ROCPRIM_400000_NS6detail17trampoline_kernelINS0_14default_configENS1_27lower_bound_config_selectorIiiEEZNS1_14transform_implILb0ES3_S5_N6thrust23THRUST_200600_302600_NS6detail15normal_iteratorINS8_10device_ptrIiEEEESD_ZNS1_13binary_searchIS3_S5_SD_SD_SD_NS1_21lower_bound_search_opENS9_16wrapped_functionINS0_4lessIvEEbEEEE10hipError_tPvRmT1_T2_T3_mmT4_T5_P12ihipStream_tbEUlRKiE_EESK_SO_SP_mSQ_ST_bEUlT_E_NS1_11comp_targetILNS1_3genE10ELNS1_11target_archE1201ELNS1_3gpuE5ELNS1_3repE0EEENS1_30default_config_static_selectorELNS0_4arch9wavefront6targetE0EEEvSN_.kd
    .uniform_work_group_size: 1
    .uses_dynamic_stack: false
    .vgpr_count:     0
    .vgpr_spill_count: 0
    .wavefront_size: 32
    .workgroup_processor_mode: 1
  - .args:
      - .offset:         0
        .size:           56
        .value_kind:     by_value
    .group_segment_fixed_size: 0
    .kernarg_segment_align: 8
    .kernarg_segment_size: 56
    .language:       OpenCL C
    .language_version:
      - 2
      - 0
    .max_flat_workgroup_size: 128
    .name:           _ZN7rocprim17ROCPRIM_400000_NS6detail17trampoline_kernelINS0_14default_configENS1_27lower_bound_config_selectorIiiEEZNS1_14transform_implILb0ES3_S5_N6thrust23THRUST_200600_302600_NS6detail15normal_iteratorINS8_10device_ptrIiEEEESD_ZNS1_13binary_searchIS3_S5_SD_SD_SD_NS1_21lower_bound_search_opENS9_16wrapped_functionINS0_4lessIvEEbEEEE10hipError_tPvRmT1_T2_T3_mmT4_T5_P12ihipStream_tbEUlRKiE_EESK_SO_SP_mSQ_ST_bEUlT_E_NS1_11comp_targetILNS1_3genE10ELNS1_11target_archE1200ELNS1_3gpuE4ELNS1_3repE0EEENS1_30default_config_static_selectorELNS0_4arch9wavefront6targetE0EEEvSN_
    .private_segment_fixed_size: 0
    .sgpr_count:     0
    .sgpr_spill_count: 0
    .symbol:         _ZN7rocprim17ROCPRIM_400000_NS6detail17trampoline_kernelINS0_14default_configENS1_27lower_bound_config_selectorIiiEEZNS1_14transform_implILb0ES3_S5_N6thrust23THRUST_200600_302600_NS6detail15normal_iteratorINS8_10device_ptrIiEEEESD_ZNS1_13binary_searchIS3_S5_SD_SD_SD_NS1_21lower_bound_search_opENS9_16wrapped_functionINS0_4lessIvEEbEEEE10hipError_tPvRmT1_T2_T3_mmT4_T5_P12ihipStream_tbEUlRKiE_EESK_SO_SP_mSQ_ST_bEUlT_E_NS1_11comp_targetILNS1_3genE10ELNS1_11target_archE1200ELNS1_3gpuE4ELNS1_3repE0EEENS1_30default_config_static_selectorELNS0_4arch9wavefront6targetE0EEEvSN_.kd
    .uniform_work_group_size: 1
    .uses_dynamic_stack: false
    .vgpr_count:     0
    .vgpr_spill_count: 0
    .wavefront_size: 32
    .workgroup_processor_mode: 1
  - .args:
      - .offset:         0
        .size:           56
        .value_kind:     by_value
      - .offset:         56
        .size:           4
        .value_kind:     hidden_block_count_x
      - .offset:         60
        .size:           4
        .value_kind:     hidden_block_count_y
      - .offset:         64
        .size:           4
        .value_kind:     hidden_block_count_z
      - .offset:         68
        .size:           2
        .value_kind:     hidden_group_size_x
      - .offset:         70
        .size:           2
        .value_kind:     hidden_group_size_y
      - .offset:         72
        .size:           2
        .value_kind:     hidden_group_size_z
      - .offset:         74
        .size:           2
        .value_kind:     hidden_remainder_x
      - .offset:         76
        .size:           2
        .value_kind:     hidden_remainder_y
      - .offset:         78
        .size:           2
        .value_kind:     hidden_remainder_z
      - .offset:         96
        .size:           8
        .value_kind:     hidden_global_offset_x
      - .offset:         104
        .size:           8
        .value_kind:     hidden_global_offset_y
      - .offset:         112
        .size:           8
        .value_kind:     hidden_global_offset_z
      - .offset:         120
        .size:           2
        .value_kind:     hidden_grid_dims
    .group_segment_fixed_size: 0
    .kernarg_segment_align: 8
    .kernarg_segment_size: 312
    .language:       OpenCL C
    .language_version:
      - 2
      - 0
    .max_flat_workgroup_size: 128
    .name:           _ZN7rocprim17ROCPRIM_400000_NS6detail17trampoline_kernelINS0_14default_configENS1_27lower_bound_config_selectorIiiEEZNS1_14transform_implILb0ES3_S5_N6thrust23THRUST_200600_302600_NS6detail15normal_iteratorINS8_10device_ptrIiEEEESD_ZNS1_13binary_searchIS3_S5_SD_SD_SD_NS1_21lower_bound_search_opENS9_16wrapped_functionINS0_4lessIvEEbEEEE10hipError_tPvRmT1_T2_T3_mmT4_T5_P12ihipStream_tbEUlRKiE_EESK_SO_SP_mSQ_ST_bEUlT_E_NS1_11comp_targetILNS1_3genE9ELNS1_11target_archE1100ELNS1_3gpuE3ELNS1_3repE0EEENS1_30default_config_static_selectorELNS0_4arch9wavefront6targetE0EEEvSN_
    .private_segment_fixed_size: 0
    .sgpr_count:     22
    .sgpr_spill_count: 0
    .symbol:         _ZN7rocprim17ROCPRIM_400000_NS6detail17trampoline_kernelINS0_14default_configENS1_27lower_bound_config_selectorIiiEEZNS1_14transform_implILb0ES3_S5_N6thrust23THRUST_200600_302600_NS6detail15normal_iteratorINS8_10device_ptrIiEEEESD_ZNS1_13binary_searchIS3_S5_SD_SD_SD_NS1_21lower_bound_search_opENS9_16wrapped_functionINS0_4lessIvEEbEEEE10hipError_tPvRmT1_T2_T3_mmT4_T5_P12ihipStream_tbEUlRKiE_EESK_SO_SP_mSQ_ST_bEUlT_E_NS1_11comp_targetILNS1_3genE9ELNS1_11target_archE1100ELNS1_3gpuE3ELNS1_3repE0EEENS1_30default_config_static_selectorELNS0_4arch9wavefront6targetE0EEEvSN_.kd
    .uniform_work_group_size: 1
    .uses_dynamic_stack: false
    .vgpr_count:     11
    .vgpr_spill_count: 0
    .wavefront_size: 32
    .workgroup_processor_mode: 1
  - .args:
      - .offset:         0
        .size:           56
        .value_kind:     by_value
    .group_segment_fixed_size: 0
    .kernarg_segment_align: 8
    .kernarg_segment_size: 56
    .language:       OpenCL C
    .language_version:
      - 2
      - 0
    .max_flat_workgroup_size: 256
    .name:           _ZN7rocprim17ROCPRIM_400000_NS6detail17trampoline_kernelINS0_14default_configENS1_27lower_bound_config_selectorIiiEEZNS1_14transform_implILb0ES3_S5_N6thrust23THRUST_200600_302600_NS6detail15normal_iteratorINS8_10device_ptrIiEEEESD_ZNS1_13binary_searchIS3_S5_SD_SD_SD_NS1_21lower_bound_search_opENS9_16wrapped_functionINS0_4lessIvEEbEEEE10hipError_tPvRmT1_T2_T3_mmT4_T5_P12ihipStream_tbEUlRKiE_EESK_SO_SP_mSQ_ST_bEUlT_E_NS1_11comp_targetILNS1_3genE8ELNS1_11target_archE1030ELNS1_3gpuE2ELNS1_3repE0EEENS1_30default_config_static_selectorELNS0_4arch9wavefront6targetE0EEEvSN_
    .private_segment_fixed_size: 0
    .sgpr_count:     0
    .sgpr_spill_count: 0
    .symbol:         _ZN7rocprim17ROCPRIM_400000_NS6detail17trampoline_kernelINS0_14default_configENS1_27lower_bound_config_selectorIiiEEZNS1_14transform_implILb0ES3_S5_N6thrust23THRUST_200600_302600_NS6detail15normal_iteratorINS8_10device_ptrIiEEEESD_ZNS1_13binary_searchIS3_S5_SD_SD_SD_NS1_21lower_bound_search_opENS9_16wrapped_functionINS0_4lessIvEEbEEEE10hipError_tPvRmT1_T2_T3_mmT4_T5_P12ihipStream_tbEUlRKiE_EESK_SO_SP_mSQ_ST_bEUlT_E_NS1_11comp_targetILNS1_3genE8ELNS1_11target_archE1030ELNS1_3gpuE2ELNS1_3repE0EEENS1_30default_config_static_selectorELNS0_4arch9wavefront6targetE0EEEvSN_.kd
    .uniform_work_group_size: 1
    .uses_dynamic_stack: false
    .vgpr_count:     0
    .vgpr_spill_count: 0
    .wavefront_size: 32
    .workgroup_processor_mode: 1
  - .args:
      - .offset:         0
        .size:           16
        .value_kind:     by_value
      - .offset:         16
        .size:           8
        .value_kind:     by_value
      - .offset:         24
        .size:           8
        .value_kind:     by_value
    .group_segment_fixed_size: 0
    .kernarg_segment_align: 8
    .kernarg_segment_size: 32
    .language:       OpenCL C
    .language_version:
      - 2
      - 0
    .max_flat_workgroup_size: 256
    .name:           _ZN6thrust23THRUST_200600_302600_NS11hip_rocprim14__parallel_for6kernelILj256ENS1_10__tabulate7functorINS0_6detail15normal_iteratorINS0_10device_ptrIsEEEENS0_6system6detail7generic6detail22compute_sequence_valueIsvEElEElLj1EEEvT0_T1_SJ_
    .private_segment_fixed_size: 0
    .sgpr_count:     18
    .sgpr_spill_count: 0
    .symbol:         _ZN6thrust23THRUST_200600_302600_NS11hip_rocprim14__parallel_for6kernelILj256ENS1_10__tabulate7functorINS0_6detail15normal_iteratorINS0_10device_ptrIsEEEENS0_6system6detail7generic6detail22compute_sequence_valueIsvEElEElLj1EEEvT0_T1_SJ_.kd
    .uniform_work_group_size: 1
    .uses_dynamic_stack: false
    .vgpr_count:     4
    .vgpr_spill_count: 0
    .wavefront_size: 32
    .workgroup_processor_mode: 1
  - .args:
      - .offset:         0
        .size:           56
        .value_kind:     by_value
    .group_segment_fixed_size: 0
    .kernarg_segment_align: 8
    .kernarg_segment_size: 56
    .language:       OpenCL C
    .language_version:
      - 2
      - 0
    .max_flat_workgroup_size: 256
    .name:           _ZN7rocprim17ROCPRIM_400000_NS6detail17trampoline_kernelINS0_14default_configENS1_27lower_bound_config_selectorIsiEEZNS1_14transform_implILb0ES3_S5_N6thrust23THRUST_200600_302600_NS6detail15normal_iteratorINS8_10device_ptrIsEEEENSA_INSB_IiEEEEZNS1_13binary_searchIS3_S5_SD_SD_SF_NS1_21lower_bound_search_opENS9_16wrapped_functionINS0_4lessIvEEbEEEE10hipError_tPvRmT1_T2_T3_mmT4_T5_P12ihipStream_tbEUlRKsE_EESM_SQ_SR_mSS_SV_bEUlT_E_NS1_11comp_targetILNS1_3genE0ELNS1_11target_archE4294967295ELNS1_3gpuE0ELNS1_3repE0EEENS1_30default_config_static_selectorELNS0_4arch9wavefront6targetE0EEEvSP_
    .private_segment_fixed_size: 0
    .sgpr_count:     0
    .sgpr_spill_count: 0
    .symbol:         _ZN7rocprim17ROCPRIM_400000_NS6detail17trampoline_kernelINS0_14default_configENS1_27lower_bound_config_selectorIsiEEZNS1_14transform_implILb0ES3_S5_N6thrust23THRUST_200600_302600_NS6detail15normal_iteratorINS8_10device_ptrIsEEEENSA_INSB_IiEEEEZNS1_13binary_searchIS3_S5_SD_SD_SF_NS1_21lower_bound_search_opENS9_16wrapped_functionINS0_4lessIvEEbEEEE10hipError_tPvRmT1_T2_T3_mmT4_T5_P12ihipStream_tbEUlRKsE_EESM_SQ_SR_mSS_SV_bEUlT_E_NS1_11comp_targetILNS1_3genE0ELNS1_11target_archE4294967295ELNS1_3gpuE0ELNS1_3repE0EEENS1_30default_config_static_selectorELNS0_4arch9wavefront6targetE0EEEvSP_.kd
    .uniform_work_group_size: 1
    .uses_dynamic_stack: false
    .vgpr_count:     0
    .vgpr_spill_count: 0
    .wavefront_size: 32
    .workgroup_processor_mode: 1
  - .args:
      - .offset:         0
        .size:           56
        .value_kind:     by_value
    .group_segment_fixed_size: 0
    .kernarg_segment_align: 8
    .kernarg_segment_size: 56
    .language:       OpenCL C
    .language_version:
      - 2
      - 0
    .max_flat_workgroup_size: 256
    .name:           _ZN7rocprim17ROCPRIM_400000_NS6detail17trampoline_kernelINS0_14default_configENS1_27lower_bound_config_selectorIsiEEZNS1_14transform_implILb0ES3_S5_N6thrust23THRUST_200600_302600_NS6detail15normal_iteratorINS8_10device_ptrIsEEEENSA_INSB_IiEEEEZNS1_13binary_searchIS3_S5_SD_SD_SF_NS1_21lower_bound_search_opENS9_16wrapped_functionINS0_4lessIvEEbEEEE10hipError_tPvRmT1_T2_T3_mmT4_T5_P12ihipStream_tbEUlRKsE_EESM_SQ_SR_mSS_SV_bEUlT_E_NS1_11comp_targetILNS1_3genE5ELNS1_11target_archE942ELNS1_3gpuE9ELNS1_3repE0EEENS1_30default_config_static_selectorELNS0_4arch9wavefront6targetE0EEEvSP_
    .private_segment_fixed_size: 0
    .sgpr_count:     0
    .sgpr_spill_count: 0
    .symbol:         _ZN7rocprim17ROCPRIM_400000_NS6detail17trampoline_kernelINS0_14default_configENS1_27lower_bound_config_selectorIsiEEZNS1_14transform_implILb0ES3_S5_N6thrust23THRUST_200600_302600_NS6detail15normal_iteratorINS8_10device_ptrIsEEEENSA_INSB_IiEEEEZNS1_13binary_searchIS3_S5_SD_SD_SF_NS1_21lower_bound_search_opENS9_16wrapped_functionINS0_4lessIvEEbEEEE10hipError_tPvRmT1_T2_T3_mmT4_T5_P12ihipStream_tbEUlRKsE_EESM_SQ_SR_mSS_SV_bEUlT_E_NS1_11comp_targetILNS1_3genE5ELNS1_11target_archE942ELNS1_3gpuE9ELNS1_3repE0EEENS1_30default_config_static_selectorELNS0_4arch9wavefront6targetE0EEEvSP_.kd
    .uniform_work_group_size: 1
    .uses_dynamic_stack: false
    .vgpr_count:     0
    .vgpr_spill_count: 0
    .wavefront_size: 32
    .workgroup_processor_mode: 1
  - .args:
      - .offset:         0
        .size:           56
        .value_kind:     by_value
    .group_segment_fixed_size: 0
    .kernarg_segment_align: 8
    .kernarg_segment_size: 56
    .language:       OpenCL C
    .language_version:
      - 2
      - 0
    .max_flat_workgroup_size: 256
    .name:           _ZN7rocprim17ROCPRIM_400000_NS6detail17trampoline_kernelINS0_14default_configENS1_27lower_bound_config_selectorIsiEEZNS1_14transform_implILb0ES3_S5_N6thrust23THRUST_200600_302600_NS6detail15normal_iteratorINS8_10device_ptrIsEEEENSA_INSB_IiEEEEZNS1_13binary_searchIS3_S5_SD_SD_SF_NS1_21lower_bound_search_opENS9_16wrapped_functionINS0_4lessIvEEbEEEE10hipError_tPvRmT1_T2_T3_mmT4_T5_P12ihipStream_tbEUlRKsE_EESM_SQ_SR_mSS_SV_bEUlT_E_NS1_11comp_targetILNS1_3genE4ELNS1_11target_archE910ELNS1_3gpuE8ELNS1_3repE0EEENS1_30default_config_static_selectorELNS0_4arch9wavefront6targetE0EEEvSP_
    .private_segment_fixed_size: 0
    .sgpr_count:     0
    .sgpr_spill_count: 0
    .symbol:         _ZN7rocprim17ROCPRIM_400000_NS6detail17trampoline_kernelINS0_14default_configENS1_27lower_bound_config_selectorIsiEEZNS1_14transform_implILb0ES3_S5_N6thrust23THRUST_200600_302600_NS6detail15normal_iteratorINS8_10device_ptrIsEEEENSA_INSB_IiEEEEZNS1_13binary_searchIS3_S5_SD_SD_SF_NS1_21lower_bound_search_opENS9_16wrapped_functionINS0_4lessIvEEbEEEE10hipError_tPvRmT1_T2_T3_mmT4_T5_P12ihipStream_tbEUlRKsE_EESM_SQ_SR_mSS_SV_bEUlT_E_NS1_11comp_targetILNS1_3genE4ELNS1_11target_archE910ELNS1_3gpuE8ELNS1_3repE0EEENS1_30default_config_static_selectorELNS0_4arch9wavefront6targetE0EEEvSP_.kd
    .uniform_work_group_size: 1
    .uses_dynamic_stack: false
    .vgpr_count:     0
    .vgpr_spill_count: 0
    .wavefront_size: 32
    .workgroup_processor_mode: 1
  - .args:
      - .offset:         0
        .size:           56
        .value_kind:     by_value
    .group_segment_fixed_size: 0
    .kernarg_segment_align: 8
    .kernarg_segment_size: 56
    .language:       OpenCL C
    .language_version:
      - 2
      - 0
    .max_flat_workgroup_size: 256
    .name:           _ZN7rocprim17ROCPRIM_400000_NS6detail17trampoline_kernelINS0_14default_configENS1_27lower_bound_config_selectorIsiEEZNS1_14transform_implILb0ES3_S5_N6thrust23THRUST_200600_302600_NS6detail15normal_iteratorINS8_10device_ptrIsEEEENSA_INSB_IiEEEEZNS1_13binary_searchIS3_S5_SD_SD_SF_NS1_21lower_bound_search_opENS9_16wrapped_functionINS0_4lessIvEEbEEEE10hipError_tPvRmT1_T2_T3_mmT4_T5_P12ihipStream_tbEUlRKsE_EESM_SQ_SR_mSS_SV_bEUlT_E_NS1_11comp_targetILNS1_3genE3ELNS1_11target_archE908ELNS1_3gpuE7ELNS1_3repE0EEENS1_30default_config_static_selectorELNS0_4arch9wavefront6targetE0EEEvSP_
    .private_segment_fixed_size: 0
    .sgpr_count:     0
    .sgpr_spill_count: 0
    .symbol:         _ZN7rocprim17ROCPRIM_400000_NS6detail17trampoline_kernelINS0_14default_configENS1_27lower_bound_config_selectorIsiEEZNS1_14transform_implILb0ES3_S5_N6thrust23THRUST_200600_302600_NS6detail15normal_iteratorINS8_10device_ptrIsEEEENSA_INSB_IiEEEEZNS1_13binary_searchIS3_S5_SD_SD_SF_NS1_21lower_bound_search_opENS9_16wrapped_functionINS0_4lessIvEEbEEEE10hipError_tPvRmT1_T2_T3_mmT4_T5_P12ihipStream_tbEUlRKsE_EESM_SQ_SR_mSS_SV_bEUlT_E_NS1_11comp_targetILNS1_3genE3ELNS1_11target_archE908ELNS1_3gpuE7ELNS1_3repE0EEENS1_30default_config_static_selectorELNS0_4arch9wavefront6targetE0EEEvSP_.kd
    .uniform_work_group_size: 1
    .uses_dynamic_stack: false
    .vgpr_count:     0
    .vgpr_spill_count: 0
    .wavefront_size: 32
    .workgroup_processor_mode: 1
  - .args:
      - .offset:         0
        .size:           56
        .value_kind:     by_value
    .group_segment_fixed_size: 0
    .kernarg_segment_align: 8
    .kernarg_segment_size: 56
    .language:       OpenCL C
    .language_version:
      - 2
      - 0
    .max_flat_workgroup_size: 256
    .name:           _ZN7rocprim17ROCPRIM_400000_NS6detail17trampoline_kernelINS0_14default_configENS1_27lower_bound_config_selectorIsiEEZNS1_14transform_implILb0ES3_S5_N6thrust23THRUST_200600_302600_NS6detail15normal_iteratorINS8_10device_ptrIsEEEENSA_INSB_IiEEEEZNS1_13binary_searchIS3_S5_SD_SD_SF_NS1_21lower_bound_search_opENS9_16wrapped_functionINS0_4lessIvEEbEEEE10hipError_tPvRmT1_T2_T3_mmT4_T5_P12ihipStream_tbEUlRKsE_EESM_SQ_SR_mSS_SV_bEUlT_E_NS1_11comp_targetILNS1_3genE2ELNS1_11target_archE906ELNS1_3gpuE6ELNS1_3repE0EEENS1_30default_config_static_selectorELNS0_4arch9wavefront6targetE0EEEvSP_
    .private_segment_fixed_size: 0
    .sgpr_count:     0
    .sgpr_spill_count: 0
    .symbol:         _ZN7rocprim17ROCPRIM_400000_NS6detail17trampoline_kernelINS0_14default_configENS1_27lower_bound_config_selectorIsiEEZNS1_14transform_implILb0ES3_S5_N6thrust23THRUST_200600_302600_NS6detail15normal_iteratorINS8_10device_ptrIsEEEENSA_INSB_IiEEEEZNS1_13binary_searchIS3_S5_SD_SD_SF_NS1_21lower_bound_search_opENS9_16wrapped_functionINS0_4lessIvEEbEEEE10hipError_tPvRmT1_T2_T3_mmT4_T5_P12ihipStream_tbEUlRKsE_EESM_SQ_SR_mSS_SV_bEUlT_E_NS1_11comp_targetILNS1_3genE2ELNS1_11target_archE906ELNS1_3gpuE6ELNS1_3repE0EEENS1_30default_config_static_selectorELNS0_4arch9wavefront6targetE0EEEvSP_.kd
    .uniform_work_group_size: 1
    .uses_dynamic_stack: false
    .vgpr_count:     0
    .vgpr_spill_count: 0
    .wavefront_size: 32
    .workgroup_processor_mode: 1
  - .args:
      - .offset:         0
        .size:           56
        .value_kind:     by_value
    .group_segment_fixed_size: 0
    .kernarg_segment_align: 8
    .kernarg_segment_size: 56
    .language:       OpenCL C
    .language_version:
      - 2
      - 0
    .max_flat_workgroup_size: 256
    .name:           _ZN7rocprim17ROCPRIM_400000_NS6detail17trampoline_kernelINS0_14default_configENS1_27lower_bound_config_selectorIsiEEZNS1_14transform_implILb0ES3_S5_N6thrust23THRUST_200600_302600_NS6detail15normal_iteratorINS8_10device_ptrIsEEEENSA_INSB_IiEEEEZNS1_13binary_searchIS3_S5_SD_SD_SF_NS1_21lower_bound_search_opENS9_16wrapped_functionINS0_4lessIvEEbEEEE10hipError_tPvRmT1_T2_T3_mmT4_T5_P12ihipStream_tbEUlRKsE_EESM_SQ_SR_mSS_SV_bEUlT_E_NS1_11comp_targetILNS1_3genE10ELNS1_11target_archE1201ELNS1_3gpuE5ELNS1_3repE0EEENS1_30default_config_static_selectorELNS0_4arch9wavefront6targetE0EEEvSP_
    .private_segment_fixed_size: 0
    .sgpr_count:     0
    .sgpr_spill_count: 0
    .symbol:         _ZN7rocprim17ROCPRIM_400000_NS6detail17trampoline_kernelINS0_14default_configENS1_27lower_bound_config_selectorIsiEEZNS1_14transform_implILb0ES3_S5_N6thrust23THRUST_200600_302600_NS6detail15normal_iteratorINS8_10device_ptrIsEEEENSA_INSB_IiEEEEZNS1_13binary_searchIS3_S5_SD_SD_SF_NS1_21lower_bound_search_opENS9_16wrapped_functionINS0_4lessIvEEbEEEE10hipError_tPvRmT1_T2_T3_mmT4_T5_P12ihipStream_tbEUlRKsE_EESM_SQ_SR_mSS_SV_bEUlT_E_NS1_11comp_targetILNS1_3genE10ELNS1_11target_archE1201ELNS1_3gpuE5ELNS1_3repE0EEENS1_30default_config_static_selectorELNS0_4arch9wavefront6targetE0EEEvSP_.kd
    .uniform_work_group_size: 1
    .uses_dynamic_stack: false
    .vgpr_count:     0
    .vgpr_spill_count: 0
    .wavefront_size: 32
    .workgroup_processor_mode: 1
  - .args:
      - .offset:         0
        .size:           56
        .value_kind:     by_value
    .group_segment_fixed_size: 0
    .kernarg_segment_align: 8
    .kernarg_segment_size: 56
    .language:       OpenCL C
    .language_version:
      - 2
      - 0
    .max_flat_workgroup_size: 256
    .name:           _ZN7rocprim17ROCPRIM_400000_NS6detail17trampoline_kernelINS0_14default_configENS1_27lower_bound_config_selectorIsiEEZNS1_14transform_implILb0ES3_S5_N6thrust23THRUST_200600_302600_NS6detail15normal_iteratorINS8_10device_ptrIsEEEENSA_INSB_IiEEEEZNS1_13binary_searchIS3_S5_SD_SD_SF_NS1_21lower_bound_search_opENS9_16wrapped_functionINS0_4lessIvEEbEEEE10hipError_tPvRmT1_T2_T3_mmT4_T5_P12ihipStream_tbEUlRKsE_EESM_SQ_SR_mSS_SV_bEUlT_E_NS1_11comp_targetILNS1_3genE10ELNS1_11target_archE1200ELNS1_3gpuE4ELNS1_3repE0EEENS1_30default_config_static_selectorELNS0_4arch9wavefront6targetE0EEEvSP_
    .private_segment_fixed_size: 0
    .sgpr_count:     0
    .sgpr_spill_count: 0
    .symbol:         _ZN7rocprim17ROCPRIM_400000_NS6detail17trampoline_kernelINS0_14default_configENS1_27lower_bound_config_selectorIsiEEZNS1_14transform_implILb0ES3_S5_N6thrust23THRUST_200600_302600_NS6detail15normal_iteratorINS8_10device_ptrIsEEEENSA_INSB_IiEEEEZNS1_13binary_searchIS3_S5_SD_SD_SF_NS1_21lower_bound_search_opENS9_16wrapped_functionINS0_4lessIvEEbEEEE10hipError_tPvRmT1_T2_T3_mmT4_T5_P12ihipStream_tbEUlRKsE_EESM_SQ_SR_mSS_SV_bEUlT_E_NS1_11comp_targetILNS1_3genE10ELNS1_11target_archE1200ELNS1_3gpuE4ELNS1_3repE0EEENS1_30default_config_static_selectorELNS0_4arch9wavefront6targetE0EEEvSP_.kd
    .uniform_work_group_size: 1
    .uses_dynamic_stack: false
    .vgpr_count:     0
    .vgpr_spill_count: 0
    .wavefront_size: 32
    .workgroup_processor_mode: 1
  - .args:
      - .offset:         0
        .size:           56
        .value_kind:     by_value
      - .offset:         56
        .size:           4
        .value_kind:     hidden_block_count_x
      - .offset:         60
        .size:           4
        .value_kind:     hidden_block_count_y
      - .offset:         64
        .size:           4
        .value_kind:     hidden_block_count_z
      - .offset:         68
        .size:           2
        .value_kind:     hidden_group_size_x
      - .offset:         70
        .size:           2
        .value_kind:     hidden_group_size_y
      - .offset:         72
        .size:           2
        .value_kind:     hidden_group_size_z
      - .offset:         74
        .size:           2
        .value_kind:     hidden_remainder_x
      - .offset:         76
        .size:           2
        .value_kind:     hidden_remainder_y
      - .offset:         78
        .size:           2
        .value_kind:     hidden_remainder_z
      - .offset:         96
        .size:           8
        .value_kind:     hidden_global_offset_x
      - .offset:         104
        .size:           8
        .value_kind:     hidden_global_offset_y
      - .offset:         112
        .size:           8
        .value_kind:     hidden_global_offset_z
      - .offset:         120
        .size:           2
        .value_kind:     hidden_grid_dims
    .group_segment_fixed_size: 0
    .kernarg_segment_align: 8
    .kernarg_segment_size: 312
    .language:       OpenCL C
    .language_version:
      - 2
      - 0
    .max_flat_workgroup_size: 64
    .name:           _ZN7rocprim17ROCPRIM_400000_NS6detail17trampoline_kernelINS0_14default_configENS1_27lower_bound_config_selectorIsiEEZNS1_14transform_implILb0ES3_S5_N6thrust23THRUST_200600_302600_NS6detail15normal_iteratorINS8_10device_ptrIsEEEENSA_INSB_IiEEEEZNS1_13binary_searchIS3_S5_SD_SD_SF_NS1_21lower_bound_search_opENS9_16wrapped_functionINS0_4lessIvEEbEEEE10hipError_tPvRmT1_T2_T3_mmT4_T5_P12ihipStream_tbEUlRKsE_EESM_SQ_SR_mSS_SV_bEUlT_E_NS1_11comp_targetILNS1_3genE9ELNS1_11target_archE1100ELNS1_3gpuE3ELNS1_3repE0EEENS1_30default_config_static_selectorELNS0_4arch9wavefront6targetE0EEEvSP_
    .private_segment_fixed_size: 0
    .sgpr_count:     22
    .sgpr_spill_count: 0
    .symbol:         _ZN7rocprim17ROCPRIM_400000_NS6detail17trampoline_kernelINS0_14default_configENS1_27lower_bound_config_selectorIsiEEZNS1_14transform_implILb0ES3_S5_N6thrust23THRUST_200600_302600_NS6detail15normal_iteratorINS8_10device_ptrIsEEEENSA_INSB_IiEEEEZNS1_13binary_searchIS3_S5_SD_SD_SF_NS1_21lower_bound_search_opENS9_16wrapped_functionINS0_4lessIvEEbEEEE10hipError_tPvRmT1_T2_T3_mmT4_T5_P12ihipStream_tbEUlRKsE_EESM_SQ_SR_mSS_SV_bEUlT_E_NS1_11comp_targetILNS1_3genE9ELNS1_11target_archE1100ELNS1_3gpuE3ELNS1_3repE0EEENS1_30default_config_static_selectorELNS0_4arch9wavefront6targetE0EEEvSP_.kd
    .uniform_work_group_size: 1
    .uses_dynamic_stack: false
    .vgpr_count:     19
    .vgpr_spill_count: 0
    .wavefront_size: 32
    .workgroup_processor_mode: 1
  - .args:
      - .offset:         0
        .size:           56
        .value_kind:     by_value
    .group_segment_fixed_size: 0
    .kernarg_segment_align: 8
    .kernarg_segment_size: 56
    .language:       OpenCL C
    .language_version:
      - 2
      - 0
    .max_flat_workgroup_size: 128
    .name:           _ZN7rocprim17ROCPRIM_400000_NS6detail17trampoline_kernelINS0_14default_configENS1_27lower_bound_config_selectorIsiEEZNS1_14transform_implILb0ES3_S5_N6thrust23THRUST_200600_302600_NS6detail15normal_iteratorINS8_10device_ptrIsEEEENSA_INSB_IiEEEEZNS1_13binary_searchIS3_S5_SD_SD_SF_NS1_21lower_bound_search_opENS9_16wrapped_functionINS0_4lessIvEEbEEEE10hipError_tPvRmT1_T2_T3_mmT4_T5_P12ihipStream_tbEUlRKsE_EESM_SQ_SR_mSS_SV_bEUlT_E_NS1_11comp_targetILNS1_3genE8ELNS1_11target_archE1030ELNS1_3gpuE2ELNS1_3repE0EEENS1_30default_config_static_selectorELNS0_4arch9wavefront6targetE0EEEvSP_
    .private_segment_fixed_size: 0
    .sgpr_count:     0
    .sgpr_spill_count: 0
    .symbol:         _ZN7rocprim17ROCPRIM_400000_NS6detail17trampoline_kernelINS0_14default_configENS1_27lower_bound_config_selectorIsiEEZNS1_14transform_implILb0ES3_S5_N6thrust23THRUST_200600_302600_NS6detail15normal_iteratorINS8_10device_ptrIsEEEENSA_INSB_IiEEEEZNS1_13binary_searchIS3_S5_SD_SD_SF_NS1_21lower_bound_search_opENS9_16wrapped_functionINS0_4lessIvEEbEEEE10hipError_tPvRmT1_T2_T3_mmT4_T5_P12ihipStream_tbEUlRKsE_EESM_SQ_SR_mSS_SV_bEUlT_E_NS1_11comp_targetILNS1_3genE8ELNS1_11target_archE1030ELNS1_3gpuE2ELNS1_3repE0EEENS1_30default_config_static_selectorELNS0_4arch9wavefront6targetE0EEEvSP_.kd
    .uniform_work_group_size: 1
    .uses_dynamic_stack: false
    .vgpr_count:     0
    .vgpr_spill_count: 0
    .wavefront_size: 32
    .workgroup_processor_mode: 1
  - .args:
      - .offset:         0
        .size:           56
        .value_kind:     by_value
    .group_segment_fixed_size: 0
    .kernarg_segment_align: 8
    .kernarg_segment_size: 56
    .language:       OpenCL C
    .language_version:
      - 2
      - 0
    .max_flat_workgroup_size: 64
    .name:           _ZN7rocprim17ROCPRIM_400000_NS6detail17trampoline_kernelINS0_14default_configENS1_27upper_bound_config_selectorIdiEEZNS1_14transform_implILb0ES3_S5_N6thrust23THRUST_200600_302600_NS6detail15normal_iteratorINS8_10device_ptrIdEEEENSA_INSB_IiEEEEZNS1_13binary_searchIS3_S5_SD_SD_SF_NS1_21upper_bound_search_opENS9_16wrapped_functionINS0_4lessIvEEbEEEE10hipError_tPvRmT1_T2_T3_mmT4_T5_P12ihipStream_tbEUlRKdE_EESM_SQ_SR_mSS_SV_bEUlT_E_NS1_11comp_targetILNS1_3genE0ELNS1_11target_archE4294967295ELNS1_3gpuE0ELNS1_3repE0EEENS1_30default_config_static_selectorELNS0_4arch9wavefront6targetE0EEEvSP_
    .private_segment_fixed_size: 0
    .sgpr_count:     0
    .sgpr_spill_count: 0
    .symbol:         _ZN7rocprim17ROCPRIM_400000_NS6detail17trampoline_kernelINS0_14default_configENS1_27upper_bound_config_selectorIdiEEZNS1_14transform_implILb0ES3_S5_N6thrust23THRUST_200600_302600_NS6detail15normal_iteratorINS8_10device_ptrIdEEEENSA_INSB_IiEEEEZNS1_13binary_searchIS3_S5_SD_SD_SF_NS1_21upper_bound_search_opENS9_16wrapped_functionINS0_4lessIvEEbEEEE10hipError_tPvRmT1_T2_T3_mmT4_T5_P12ihipStream_tbEUlRKdE_EESM_SQ_SR_mSS_SV_bEUlT_E_NS1_11comp_targetILNS1_3genE0ELNS1_11target_archE4294967295ELNS1_3gpuE0ELNS1_3repE0EEENS1_30default_config_static_selectorELNS0_4arch9wavefront6targetE0EEEvSP_.kd
    .uniform_work_group_size: 1
    .uses_dynamic_stack: false
    .vgpr_count:     0
    .vgpr_spill_count: 0
    .wavefront_size: 32
    .workgroup_processor_mode: 1
  - .args:
      - .offset:         0
        .size:           56
        .value_kind:     by_value
    .group_segment_fixed_size: 0
    .kernarg_segment_align: 8
    .kernarg_segment_size: 56
    .language:       OpenCL C
    .language_version:
      - 2
      - 0
    .max_flat_workgroup_size: 64
    .name:           _ZN7rocprim17ROCPRIM_400000_NS6detail17trampoline_kernelINS0_14default_configENS1_27upper_bound_config_selectorIdiEEZNS1_14transform_implILb0ES3_S5_N6thrust23THRUST_200600_302600_NS6detail15normal_iteratorINS8_10device_ptrIdEEEENSA_INSB_IiEEEEZNS1_13binary_searchIS3_S5_SD_SD_SF_NS1_21upper_bound_search_opENS9_16wrapped_functionINS0_4lessIvEEbEEEE10hipError_tPvRmT1_T2_T3_mmT4_T5_P12ihipStream_tbEUlRKdE_EESM_SQ_SR_mSS_SV_bEUlT_E_NS1_11comp_targetILNS1_3genE5ELNS1_11target_archE942ELNS1_3gpuE9ELNS1_3repE0EEENS1_30default_config_static_selectorELNS0_4arch9wavefront6targetE0EEEvSP_
    .private_segment_fixed_size: 0
    .sgpr_count:     0
    .sgpr_spill_count: 0
    .symbol:         _ZN7rocprim17ROCPRIM_400000_NS6detail17trampoline_kernelINS0_14default_configENS1_27upper_bound_config_selectorIdiEEZNS1_14transform_implILb0ES3_S5_N6thrust23THRUST_200600_302600_NS6detail15normal_iteratorINS8_10device_ptrIdEEEENSA_INSB_IiEEEEZNS1_13binary_searchIS3_S5_SD_SD_SF_NS1_21upper_bound_search_opENS9_16wrapped_functionINS0_4lessIvEEbEEEE10hipError_tPvRmT1_T2_T3_mmT4_T5_P12ihipStream_tbEUlRKdE_EESM_SQ_SR_mSS_SV_bEUlT_E_NS1_11comp_targetILNS1_3genE5ELNS1_11target_archE942ELNS1_3gpuE9ELNS1_3repE0EEENS1_30default_config_static_selectorELNS0_4arch9wavefront6targetE0EEEvSP_.kd
    .uniform_work_group_size: 1
    .uses_dynamic_stack: false
    .vgpr_count:     0
    .vgpr_spill_count: 0
    .wavefront_size: 32
    .workgroup_processor_mode: 1
  - .args:
      - .offset:         0
        .size:           56
        .value_kind:     by_value
    .group_segment_fixed_size: 0
    .kernarg_segment_align: 8
    .kernarg_segment_size: 56
    .language:       OpenCL C
    .language_version:
      - 2
      - 0
    .max_flat_workgroup_size: 64
    .name:           _ZN7rocprim17ROCPRIM_400000_NS6detail17trampoline_kernelINS0_14default_configENS1_27upper_bound_config_selectorIdiEEZNS1_14transform_implILb0ES3_S5_N6thrust23THRUST_200600_302600_NS6detail15normal_iteratorINS8_10device_ptrIdEEEENSA_INSB_IiEEEEZNS1_13binary_searchIS3_S5_SD_SD_SF_NS1_21upper_bound_search_opENS9_16wrapped_functionINS0_4lessIvEEbEEEE10hipError_tPvRmT1_T2_T3_mmT4_T5_P12ihipStream_tbEUlRKdE_EESM_SQ_SR_mSS_SV_bEUlT_E_NS1_11comp_targetILNS1_3genE4ELNS1_11target_archE910ELNS1_3gpuE8ELNS1_3repE0EEENS1_30default_config_static_selectorELNS0_4arch9wavefront6targetE0EEEvSP_
    .private_segment_fixed_size: 0
    .sgpr_count:     0
    .sgpr_spill_count: 0
    .symbol:         _ZN7rocprim17ROCPRIM_400000_NS6detail17trampoline_kernelINS0_14default_configENS1_27upper_bound_config_selectorIdiEEZNS1_14transform_implILb0ES3_S5_N6thrust23THRUST_200600_302600_NS6detail15normal_iteratorINS8_10device_ptrIdEEEENSA_INSB_IiEEEEZNS1_13binary_searchIS3_S5_SD_SD_SF_NS1_21upper_bound_search_opENS9_16wrapped_functionINS0_4lessIvEEbEEEE10hipError_tPvRmT1_T2_T3_mmT4_T5_P12ihipStream_tbEUlRKdE_EESM_SQ_SR_mSS_SV_bEUlT_E_NS1_11comp_targetILNS1_3genE4ELNS1_11target_archE910ELNS1_3gpuE8ELNS1_3repE0EEENS1_30default_config_static_selectorELNS0_4arch9wavefront6targetE0EEEvSP_.kd
    .uniform_work_group_size: 1
    .uses_dynamic_stack: false
    .vgpr_count:     0
    .vgpr_spill_count: 0
    .wavefront_size: 32
    .workgroup_processor_mode: 1
  - .args:
      - .offset:         0
        .size:           56
        .value_kind:     by_value
    .group_segment_fixed_size: 0
    .kernarg_segment_align: 8
    .kernarg_segment_size: 56
    .language:       OpenCL C
    .language_version:
      - 2
      - 0
    .max_flat_workgroup_size: 64
    .name:           _ZN7rocprim17ROCPRIM_400000_NS6detail17trampoline_kernelINS0_14default_configENS1_27upper_bound_config_selectorIdiEEZNS1_14transform_implILb0ES3_S5_N6thrust23THRUST_200600_302600_NS6detail15normal_iteratorINS8_10device_ptrIdEEEENSA_INSB_IiEEEEZNS1_13binary_searchIS3_S5_SD_SD_SF_NS1_21upper_bound_search_opENS9_16wrapped_functionINS0_4lessIvEEbEEEE10hipError_tPvRmT1_T2_T3_mmT4_T5_P12ihipStream_tbEUlRKdE_EESM_SQ_SR_mSS_SV_bEUlT_E_NS1_11comp_targetILNS1_3genE3ELNS1_11target_archE908ELNS1_3gpuE7ELNS1_3repE0EEENS1_30default_config_static_selectorELNS0_4arch9wavefront6targetE0EEEvSP_
    .private_segment_fixed_size: 0
    .sgpr_count:     0
    .sgpr_spill_count: 0
    .symbol:         _ZN7rocprim17ROCPRIM_400000_NS6detail17trampoline_kernelINS0_14default_configENS1_27upper_bound_config_selectorIdiEEZNS1_14transform_implILb0ES3_S5_N6thrust23THRUST_200600_302600_NS6detail15normal_iteratorINS8_10device_ptrIdEEEENSA_INSB_IiEEEEZNS1_13binary_searchIS3_S5_SD_SD_SF_NS1_21upper_bound_search_opENS9_16wrapped_functionINS0_4lessIvEEbEEEE10hipError_tPvRmT1_T2_T3_mmT4_T5_P12ihipStream_tbEUlRKdE_EESM_SQ_SR_mSS_SV_bEUlT_E_NS1_11comp_targetILNS1_3genE3ELNS1_11target_archE908ELNS1_3gpuE7ELNS1_3repE0EEENS1_30default_config_static_selectorELNS0_4arch9wavefront6targetE0EEEvSP_.kd
    .uniform_work_group_size: 1
    .uses_dynamic_stack: false
    .vgpr_count:     0
    .vgpr_spill_count: 0
    .wavefront_size: 32
    .workgroup_processor_mode: 1
  - .args:
      - .offset:         0
        .size:           56
        .value_kind:     by_value
    .group_segment_fixed_size: 0
    .kernarg_segment_align: 8
    .kernarg_segment_size: 56
    .language:       OpenCL C
    .language_version:
      - 2
      - 0
    .max_flat_workgroup_size: 256
    .name:           _ZN7rocprim17ROCPRIM_400000_NS6detail17trampoline_kernelINS0_14default_configENS1_27upper_bound_config_selectorIdiEEZNS1_14transform_implILb0ES3_S5_N6thrust23THRUST_200600_302600_NS6detail15normal_iteratorINS8_10device_ptrIdEEEENSA_INSB_IiEEEEZNS1_13binary_searchIS3_S5_SD_SD_SF_NS1_21upper_bound_search_opENS9_16wrapped_functionINS0_4lessIvEEbEEEE10hipError_tPvRmT1_T2_T3_mmT4_T5_P12ihipStream_tbEUlRKdE_EESM_SQ_SR_mSS_SV_bEUlT_E_NS1_11comp_targetILNS1_3genE2ELNS1_11target_archE906ELNS1_3gpuE6ELNS1_3repE0EEENS1_30default_config_static_selectorELNS0_4arch9wavefront6targetE0EEEvSP_
    .private_segment_fixed_size: 0
    .sgpr_count:     0
    .sgpr_spill_count: 0
    .symbol:         _ZN7rocprim17ROCPRIM_400000_NS6detail17trampoline_kernelINS0_14default_configENS1_27upper_bound_config_selectorIdiEEZNS1_14transform_implILb0ES3_S5_N6thrust23THRUST_200600_302600_NS6detail15normal_iteratorINS8_10device_ptrIdEEEENSA_INSB_IiEEEEZNS1_13binary_searchIS3_S5_SD_SD_SF_NS1_21upper_bound_search_opENS9_16wrapped_functionINS0_4lessIvEEbEEEE10hipError_tPvRmT1_T2_T3_mmT4_T5_P12ihipStream_tbEUlRKdE_EESM_SQ_SR_mSS_SV_bEUlT_E_NS1_11comp_targetILNS1_3genE2ELNS1_11target_archE906ELNS1_3gpuE6ELNS1_3repE0EEENS1_30default_config_static_selectorELNS0_4arch9wavefront6targetE0EEEvSP_.kd
    .uniform_work_group_size: 1
    .uses_dynamic_stack: false
    .vgpr_count:     0
    .vgpr_spill_count: 0
    .wavefront_size: 32
    .workgroup_processor_mode: 1
  - .args:
      - .offset:         0
        .size:           56
        .value_kind:     by_value
    .group_segment_fixed_size: 0
    .kernarg_segment_align: 8
    .kernarg_segment_size: 56
    .language:       OpenCL C
    .language_version:
      - 2
      - 0
    .max_flat_workgroup_size: 128
    .name:           _ZN7rocprim17ROCPRIM_400000_NS6detail17trampoline_kernelINS0_14default_configENS1_27upper_bound_config_selectorIdiEEZNS1_14transform_implILb0ES3_S5_N6thrust23THRUST_200600_302600_NS6detail15normal_iteratorINS8_10device_ptrIdEEEENSA_INSB_IiEEEEZNS1_13binary_searchIS3_S5_SD_SD_SF_NS1_21upper_bound_search_opENS9_16wrapped_functionINS0_4lessIvEEbEEEE10hipError_tPvRmT1_T2_T3_mmT4_T5_P12ihipStream_tbEUlRKdE_EESM_SQ_SR_mSS_SV_bEUlT_E_NS1_11comp_targetILNS1_3genE10ELNS1_11target_archE1201ELNS1_3gpuE5ELNS1_3repE0EEENS1_30default_config_static_selectorELNS0_4arch9wavefront6targetE0EEEvSP_
    .private_segment_fixed_size: 0
    .sgpr_count:     0
    .sgpr_spill_count: 0
    .symbol:         _ZN7rocprim17ROCPRIM_400000_NS6detail17trampoline_kernelINS0_14default_configENS1_27upper_bound_config_selectorIdiEEZNS1_14transform_implILb0ES3_S5_N6thrust23THRUST_200600_302600_NS6detail15normal_iteratorINS8_10device_ptrIdEEEENSA_INSB_IiEEEEZNS1_13binary_searchIS3_S5_SD_SD_SF_NS1_21upper_bound_search_opENS9_16wrapped_functionINS0_4lessIvEEbEEEE10hipError_tPvRmT1_T2_T3_mmT4_T5_P12ihipStream_tbEUlRKdE_EESM_SQ_SR_mSS_SV_bEUlT_E_NS1_11comp_targetILNS1_3genE10ELNS1_11target_archE1201ELNS1_3gpuE5ELNS1_3repE0EEENS1_30default_config_static_selectorELNS0_4arch9wavefront6targetE0EEEvSP_.kd
    .uniform_work_group_size: 1
    .uses_dynamic_stack: false
    .vgpr_count:     0
    .vgpr_spill_count: 0
    .wavefront_size: 32
    .workgroup_processor_mode: 1
  - .args:
      - .offset:         0
        .size:           56
        .value_kind:     by_value
    .group_segment_fixed_size: 0
    .kernarg_segment_align: 8
    .kernarg_segment_size: 56
    .language:       OpenCL C
    .language_version:
      - 2
      - 0
    .max_flat_workgroup_size: 128
    .name:           _ZN7rocprim17ROCPRIM_400000_NS6detail17trampoline_kernelINS0_14default_configENS1_27upper_bound_config_selectorIdiEEZNS1_14transform_implILb0ES3_S5_N6thrust23THRUST_200600_302600_NS6detail15normal_iteratorINS8_10device_ptrIdEEEENSA_INSB_IiEEEEZNS1_13binary_searchIS3_S5_SD_SD_SF_NS1_21upper_bound_search_opENS9_16wrapped_functionINS0_4lessIvEEbEEEE10hipError_tPvRmT1_T2_T3_mmT4_T5_P12ihipStream_tbEUlRKdE_EESM_SQ_SR_mSS_SV_bEUlT_E_NS1_11comp_targetILNS1_3genE10ELNS1_11target_archE1200ELNS1_3gpuE4ELNS1_3repE0EEENS1_30default_config_static_selectorELNS0_4arch9wavefront6targetE0EEEvSP_
    .private_segment_fixed_size: 0
    .sgpr_count:     0
    .sgpr_spill_count: 0
    .symbol:         _ZN7rocprim17ROCPRIM_400000_NS6detail17trampoline_kernelINS0_14default_configENS1_27upper_bound_config_selectorIdiEEZNS1_14transform_implILb0ES3_S5_N6thrust23THRUST_200600_302600_NS6detail15normal_iteratorINS8_10device_ptrIdEEEENSA_INSB_IiEEEEZNS1_13binary_searchIS3_S5_SD_SD_SF_NS1_21upper_bound_search_opENS9_16wrapped_functionINS0_4lessIvEEbEEEE10hipError_tPvRmT1_T2_T3_mmT4_T5_P12ihipStream_tbEUlRKdE_EESM_SQ_SR_mSS_SV_bEUlT_E_NS1_11comp_targetILNS1_3genE10ELNS1_11target_archE1200ELNS1_3gpuE4ELNS1_3repE0EEENS1_30default_config_static_selectorELNS0_4arch9wavefront6targetE0EEEvSP_.kd
    .uniform_work_group_size: 1
    .uses_dynamic_stack: false
    .vgpr_count:     0
    .vgpr_spill_count: 0
    .wavefront_size: 32
    .workgroup_processor_mode: 1
  - .args:
      - .offset:         0
        .size:           56
        .value_kind:     by_value
      - .offset:         56
        .size:           4
        .value_kind:     hidden_block_count_x
      - .offset:         60
        .size:           4
        .value_kind:     hidden_block_count_y
      - .offset:         64
        .size:           4
        .value_kind:     hidden_block_count_z
      - .offset:         68
        .size:           2
        .value_kind:     hidden_group_size_x
      - .offset:         70
        .size:           2
        .value_kind:     hidden_group_size_y
      - .offset:         72
        .size:           2
        .value_kind:     hidden_group_size_z
      - .offset:         74
        .size:           2
        .value_kind:     hidden_remainder_x
      - .offset:         76
        .size:           2
        .value_kind:     hidden_remainder_y
      - .offset:         78
        .size:           2
        .value_kind:     hidden_remainder_z
      - .offset:         96
        .size:           8
        .value_kind:     hidden_global_offset_x
      - .offset:         104
        .size:           8
        .value_kind:     hidden_global_offset_y
      - .offset:         112
        .size:           8
        .value_kind:     hidden_global_offset_z
      - .offset:         120
        .size:           2
        .value_kind:     hidden_grid_dims
    .group_segment_fixed_size: 0
    .kernarg_segment_align: 8
    .kernarg_segment_size: 312
    .language:       OpenCL C
    .language_version:
      - 2
      - 0
    .max_flat_workgroup_size: 64
    .name:           _ZN7rocprim17ROCPRIM_400000_NS6detail17trampoline_kernelINS0_14default_configENS1_27upper_bound_config_selectorIdiEEZNS1_14transform_implILb0ES3_S5_N6thrust23THRUST_200600_302600_NS6detail15normal_iteratorINS8_10device_ptrIdEEEENSA_INSB_IiEEEEZNS1_13binary_searchIS3_S5_SD_SD_SF_NS1_21upper_bound_search_opENS9_16wrapped_functionINS0_4lessIvEEbEEEE10hipError_tPvRmT1_T2_T3_mmT4_T5_P12ihipStream_tbEUlRKdE_EESM_SQ_SR_mSS_SV_bEUlT_E_NS1_11comp_targetILNS1_3genE9ELNS1_11target_archE1100ELNS1_3gpuE3ELNS1_3repE0EEENS1_30default_config_static_selectorELNS0_4arch9wavefront6targetE0EEEvSP_
    .private_segment_fixed_size: 0
    .sgpr_count:     30
    .sgpr_spill_count: 0
    .symbol:         _ZN7rocprim17ROCPRIM_400000_NS6detail17trampoline_kernelINS0_14default_configENS1_27upper_bound_config_selectorIdiEEZNS1_14transform_implILb0ES3_S5_N6thrust23THRUST_200600_302600_NS6detail15normal_iteratorINS8_10device_ptrIdEEEENSA_INSB_IiEEEEZNS1_13binary_searchIS3_S5_SD_SD_SF_NS1_21upper_bound_search_opENS9_16wrapped_functionINS0_4lessIvEEbEEEE10hipError_tPvRmT1_T2_T3_mmT4_T5_P12ihipStream_tbEUlRKdE_EESM_SQ_SR_mSS_SV_bEUlT_E_NS1_11comp_targetILNS1_3genE9ELNS1_11target_archE1100ELNS1_3gpuE3ELNS1_3repE0EEENS1_30default_config_static_selectorELNS0_4arch9wavefront6targetE0EEEvSP_.kd
    .uniform_work_group_size: 1
    .uses_dynamic_stack: false
    .vgpr_count:     41
    .vgpr_spill_count: 0
    .wavefront_size: 32
    .workgroup_processor_mode: 1
  - .args:
      - .offset:         0
        .size:           56
        .value_kind:     by_value
    .group_segment_fixed_size: 0
    .kernarg_segment_align: 8
    .kernarg_segment_size: 56
    .language:       OpenCL C
    .language_version:
      - 2
      - 0
    .max_flat_workgroup_size: 256
    .name:           _ZN7rocprim17ROCPRIM_400000_NS6detail17trampoline_kernelINS0_14default_configENS1_27upper_bound_config_selectorIdiEEZNS1_14transform_implILb0ES3_S5_N6thrust23THRUST_200600_302600_NS6detail15normal_iteratorINS8_10device_ptrIdEEEENSA_INSB_IiEEEEZNS1_13binary_searchIS3_S5_SD_SD_SF_NS1_21upper_bound_search_opENS9_16wrapped_functionINS0_4lessIvEEbEEEE10hipError_tPvRmT1_T2_T3_mmT4_T5_P12ihipStream_tbEUlRKdE_EESM_SQ_SR_mSS_SV_bEUlT_E_NS1_11comp_targetILNS1_3genE8ELNS1_11target_archE1030ELNS1_3gpuE2ELNS1_3repE0EEENS1_30default_config_static_selectorELNS0_4arch9wavefront6targetE0EEEvSP_
    .private_segment_fixed_size: 0
    .sgpr_count:     0
    .sgpr_spill_count: 0
    .symbol:         _ZN7rocprim17ROCPRIM_400000_NS6detail17trampoline_kernelINS0_14default_configENS1_27upper_bound_config_selectorIdiEEZNS1_14transform_implILb0ES3_S5_N6thrust23THRUST_200600_302600_NS6detail15normal_iteratorINS8_10device_ptrIdEEEENSA_INSB_IiEEEEZNS1_13binary_searchIS3_S5_SD_SD_SF_NS1_21upper_bound_search_opENS9_16wrapped_functionINS0_4lessIvEEbEEEE10hipError_tPvRmT1_T2_T3_mmT4_T5_P12ihipStream_tbEUlRKdE_EESM_SQ_SR_mSS_SV_bEUlT_E_NS1_11comp_targetILNS1_3genE8ELNS1_11target_archE1030ELNS1_3gpuE2ELNS1_3repE0EEENS1_30default_config_static_selectorELNS0_4arch9wavefront6targetE0EEEvSP_.kd
    .uniform_work_group_size: 1
    .uses_dynamic_stack: false
    .vgpr_count:     0
    .vgpr_spill_count: 0
    .wavefront_size: 32
    .workgroup_processor_mode: 1
  - .args:
      - .offset:         0
        .size:           56
        .value_kind:     by_value
    .group_segment_fixed_size: 0
    .kernarg_segment_align: 8
    .kernarg_segment_size: 56
    .language:       OpenCL C
    .language_version:
      - 2
      - 0
    .max_flat_workgroup_size: 256
    .name:           _ZN7rocprim17ROCPRIM_400000_NS6detail17trampoline_kernelINS0_14default_configENS1_27upper_bound_config_selectorIfiEEZNS1_14transform_implILb0ES3_S5_N6thrust23THRUST_200600_302600_NS6detail15normal_iteratorINS8_10device_ptrIfEEEENSA_INSB_IiEEEEZNS1_13binary_searchIS3_S5_SD_SD_SF_NS1_21upper_bound_search_opENS9_16wrapped_functionINS0_4lessIvEEbEEEE10hipError_tPvRmT1_T2_T3_mmT4_T5_P12ihipStream_tbEUlRKfE_EESM_SQ_SR_mSS_SV_bEUlT_E_NS1_11comp_targetILNS1_3genE0ELNS1_11target_archE4294967295ELNS1_3gpuE0ELNS1_3repE0EEENS1_30default_config_static_selectorELNS0_4arch9wavefront6targetE0EEEvSP_
    .private_segment_fixed_size: 0
    .sgpr_count:     0
    .sgpr_spill_count: 0
    .symbol:         _ZN7rocprim17ROCPRIM_400000_NS6detail17trampoline_kernelINS0_14default_configENS1_27upper_bound_config_selectorIfiEEZNS1_14transform_implILb0ES3_S5_N6thrust23THRUST_200600_302600_NS6detail15normal_iteratorINS8_10device_ptrIfEEEENSA_INSB_IiEEEEZNS1_13binary_searchIS3_S5_SD_SD_SF_NS1_21upper_bound_search_opENS9_16wrapped_functionINS0_4lessIvEEbEEEE10hipError_tPvRmT1_T2_T3_mmT4_T5_P12ihipStream_tbEUlRKfE_EESM_SQ_SR_mSS_SV_bEUlT_E_NS1_11comp_targetILNS1_3genE0ELNS1_11target_archE4294967295ELNS1_3gpuE0ELNS1_3repE0EEENS1_30default_config_static_selectorELNS0_4arch9wavefront6targetE0EEEvSP_.kd
    .uniform_work_group_size: 1
    .uses_dynamic_stack: false
    .vgpr_count:     0
    .vgpr_spill_count: 0
    .wavefront_size: 32
    .workgroup_processor_mode: 1
  - .args:
      - .offset:         0
        .size:           56
        .value_kind:     by_value
    .group_segment_fixed_size: 0
    .kernarg_segment_align: 8
    .kernarg_segment_size: 56
    .language:       OpenCL C
    .language_version:
      - 2
      - 0
    .max_flat_workgroup_size: 256
    .name:           _ZN7rocprim17ROCPRIM_400000_NS6detail17trampoline_kernelINS0_14default_configENS1_27upper_bound_config_selectorIfiEEZNS1_14transform_implILb0ES3_S5_N6thrust23THRUST_200600_302600_NS6detail15normal_iteratorINS8_10device_ptrIfEEEENSA_INSB_IiEEEEZNS1_13binary_searchIS3_S5_SD_SD_SF_NS1_21upper_bound_search_opENS9_16wrapped_functionINS0_4lessIvEEbEEEE10hipError_tPvRmT1_T2_T3_mmT4_T5_P12ihipStream_tbEUlRKfE_EESM_SQ_SR_mSS_SV_bEUlT_E_NS1_11comp_targetILNS1_3genE5ELNS1_11target_archE942ELNS1_3gpuE9ELNS1_3repE0EEENS1_30default_config_static_selectorELNS0_4arch9wavefront6targetE0EEEvSP_
    .private_segment_fixed_size: 0
    .sgpr_count:     0
    .sgpr_spill_count: 0
    .symbol:         _ZN7rocprim17ROCPRIM_400000_NS6detail17trampoline_kernelINS0_14default_configENS1_27upper_bound_config_selectorIfiEEZNS1_14transform_implILb0ES3_S5_N6thrust23THRUST_200600_302600_NS6detail15normal_iteratorINS8_10device_ptrIfEEEENSA_INSB_IiEEEEZNS1_13binary_searchIS3_S5_SD_SD_SF_NS1_21upper_bound_search_opENS9_16wrapped_functionINS0_4lessIvEEbEEEE10hipError_tPvRmT1_T2_T3_mmT4_T5_P12ihipStream_tbEUlRKfE_EESM_SQ_SR_mSS_SV_bEUlT_E_NS1_11comp_targetILNS1_3genE5ELNS1_11target_archE942ELNS1_3gpuE9ELNS1_3repE0EEENS1_30default_config_static_selectorELNS0_4arch9wavefront6targetE0EEEvSP_.kd
    .uniform_work_group_size: 1
    .uses_dynamic_stack: false
    .vgpr_count:     0
    .vgpr_spill_count: 0
    .wavefront_size: 32
    .workgroup_processor_mode: 1
  - .args:
      - .offset:         0
        .size:           56
        .value_kind:     by_value
    .group_segment_fixed_size: 0
    .kernarg_segment_align: 8
    .kernarg_segment_size: 56
    .language:       OpenCL C
    .language_version:
      - 2
      - 0
    .max_flat_workgroup_size: 256
    .name:           _ZN7rocprim17ROCPRIM_400000_NS6detail17trampoline_kernelINS0_14default_configENS1_27upper_bound_config_selectorIfiEEZNS1_14transform_implILb0ES3_S5_N6thrust23THRUST_200600_302600_NS6detail15normal_iteratorINS8_10device_ptrIfEEEENSA_INSB_IiEEEEZNS1_13binary_searchIS3_S5_SD_SD_SF_NS1_21upper_bound_search_opENS9_16wrapped_functionINS0_4lessIvEEbEEEE10hipError_tPvRmT1_T2_T3_mmT4_T5_P12ihipStream_tbEUlRKfE_EESM_SQ_SR_mSS_SV_bEUlT_E_NS1_11comp_targetILNS1_3genE4ELNS1_11target_archE910ELNS1_3gpuE8ELNS1_3repE0EEENS1_30default_config_static_selectorELNS0_4arch9wavefront6targetE0EEEvSP_
    .private_segment_fixed_size: 0
    .sgpr_count:     0
    .sgpr_spill_count: 0
    .symbol:         _ZN7rocprim17ROCPRIM_400000_NS6detail17trampoline_kernelINS0_14default_configENS1_27upper_bound_config_selectorIfiEEZNS1_14transform_implILb0ES3_S5_N6thrust23THRUST_200600_302600_NS6detail15normal_iteratorINS8_10device_ptrIfEEEENSA_INSB_IiEEEEZNS1_13binary_searchIS3_S5_SD_SD_SF_NS1_21upper_bound_search_opENS9_16wrapped_functionINS0_4lessIvEEbEEEE10hipError_tPvRmT1_T2_T3_mmT4_T5_P12ihipStream_tbEUlRKfE_EESM_SQ_SR_mSS_SV_bEUlT_E_NS1_11comp_targetILNS1_3genE4ELNS1_11target_archE910ELNS1_3gpuE8ELNS1_3repE0EEENS1_30default_config_static_selectorELNS0_4arch9wavefront6targetE0EEEvSP_.kd
    .uniform_work_group_size: 1
    .uses_dynamic_stack: false
    .vgpr_count:     0
    .vgpr_spill_count: 0
    .wavefront_size: 32
    .workgroup_processor_mode: 1
  - .args:
      - .offset:         0
        .size:           56
        .value_kind:     by_value
    .group_segment_fixed_size: 0
    .kernarg_segment_align: 8
    .kernarg_segment_size: 56
    .language:       OpenCL C
    .language_version:
      - 2
      - 0
    .max_flat_workgroup_size: 256
    .name:           _ZN7rocprim17ROCPRIM_400000_NS6detail17trampoline_kernelINS0_14default_configENS1_27upper_bound_config_selectorIfiEEZNS1_14transform_implILb0ES3_S5_N6thrust23THRUST_200600_302600_NS6detail15normal_iteratorINS8_10device_ptrIfEEEENSA_INSB_IiEEEEZNS1_13binary_searchIS3_S5_SD_SD_SF_NS1_21upper_bound_search_opENS9_16wrapped_functionINS0_4lessIvEEbEEEE10hipError_tPvRmT1_T2_T3_mmT4_T5_P12ihipStream_tbEUlRKfE_EESM_SQ_SR_mSS_SV_bEUlT_E_NS1_11comp_targetILNS1_3genE3ELNS1_11target_archE908ELNS1_3gpuE7ELNS1_3repE0EEENS1_30default_config_static_selectorELNS0_4arch9wavefront6targetE0EEEvSP_
    .private_segment_fixed_size: 0
    .sgpr_count:     0
    .sgpr_spill_count: 0
    .symbol:         _ZN7rocprim17ROCPRIM_400000_NS6detail17trampoline_kernelINS0_14default_configENS1_27upper_bound_config_selectorIfiEEZNS1_14transform_implILb0ES3_S5_N6thrust23THRUST_200600_302600_NS6detail15normal_iteratorINS8_10device_ptrIfEEEENSA_INSB_IiEEEEZNS1_13binary_searchIS3_S5_SD_SD_SF_NS1_21upper_bound_search_opENS9_16wrapped_functionINS0_4lessIvEEbEEEE10hipError_tPvRmT1_T2_T3_mmT4_T5_P12ihipStream_tbEUlRKfE_EESM_SQ_SR_mSS_SV_bEUlT_E_NS1_11comp_targetILNS1_3genE3ELNS1_11target_archE908ELNS1_3gpuE7ELNS1_3repE0EEENS1_30default_config_static_selectorELNS0_4arch9wavefront6targetE0EEEvSP_.kd
    .uniform_work_group_size: 1
    .uses_dynamic_stack: false
    .vgpr_count:     0
    .vgpr_spill_count: 0
    .wavefront_size: 32
    .workgroup_processor_mode: 1
  - .args:
      - .offset:         0
        .size:           56
        .value_kind:     by_value
    .group_segment_fixed_size: 0
    .kernarg_segment_align: 8
    .kernarg_segment_size: 56
    .language:       OpenCL C
    .language_version:
      - 2
      - 0
    .max_flat_workgroup_size: 256
    .name:           _ZN7rocprim17ROCPRIM_400000_NS6detail17trampoline_kernelINS0_14default_configENS1_27upper_bound_config_selectorIfiEEZNS1_14transform_implILb0ES3_S5_N6thrust23THRUST_200600_302600_NS6detail15normal_iteratorINS8_10device_ptrIfEEEENSA_INSB_IiEEEEZNS1_13binary_searchIS3_S5_SD_SD_SF_NS1_21upper_bound_search_opENS9_16wrapped_functionINS0_4lessIvEEbEEEE10hipError_tPvRmT1_T2_T3_mmT4_T5_P12ihipStream_tbEUlRKfE_EESM_SQ_SR_mSS_SV_bEUlT_E_NS1_11comp_targetILNS1_3genE2ELNS1_11target_archE906ELNS1_3gpuE6ELNS1_3repE0EEENS1_30default_config_static_selectorELNS0_4arch9wavefront6targetE0EEEvSP_
    .private_segment_fixed_size: 0
    .sgpr_count:     0
    .sgpr_spill_count: 0
    .symbol:         _ZN7rocprim17ROCPRIM_400000_NS6detail17trampoline_kernelINS0_14default_configENS1_27upper_bound_config_selectorIfiEEZNS1_14transform_implILb0ES3_S5_N6thrust23THRUST_200600_302600_NS6detail15normal_iteratorINS8_10device_ptrIfEEEENSA_INSB_IiEEEEZNS1_13binary_searchIS3_S5_SD_SD_SF_NS1_21upper_bound_search_opENS9_16wrapped_functionINS0_4lessIvEEbEEEE10hipError_tPvRmT1_T2_T3_mmT4_T5_P12ihipStream_tbEUlRKfE_EESM_SQ_SR_mSS_SV_bEUlT_E_NS1_11comp_targetILNS1_3genE2ELNS1_11target_archE906ELNS1_3gpuE6ELNS1_3repE0EEENS1_30default_config_static_selectorELNS0_4arch9wavefront6targetE0EEEvSP_.kd
    .uniform_work_group_size: 1
    .uses_dynamic_stack: false
    .vgpr_count:     0
    .vgpr_spill_count: 0
    .wavefront_size: 32
    .workgroup_processor_mode: 1
  - .args:
      - .offset:         0
        .size:           56
        .value_kind:     by_value
    .group_segment_fixed_size: 0
    .kernarg_segment_align: 8
    .kernarg_segment_size: 56
    .language:       OpenCL C
    .language_version:
      - 2
      - 0
    .max_flat_workgroup_size: 128
    .name:           _ZN7rocprim17ROCPRIM_400000_NS6detail17trampoline_kernelINS0_14default_configENS1_27upper_bound_config_selectorIfiEEZNS1_14transform_implILb0ES3_S5_N6thrust23THRUST_200600_302600_NS6detail15normal_iteratorINS8_10device_ptrIfEEEENSA_INSB_IiEEEEZNS1_13binary_searchIS3_S5_SD_SD_SF_NS1_21upper_bound_search_opENS9_16wrapped_functionINS0_4lessIvEEbEEEE10hipError_tPvRmT1_T2_T3_mmT4_T5_P12ihipStream_tbEUlRKfE_EESM_SQ_SR_mSS_SV_bEUlT_E_NS1_11comp_targetILNS1_3genE10ELNS1_11target_archE1201ELNS1_3gpuE5ELNS1_3repE0EEENS1_30default_config_static_selectorELNS0_4arch9wavefront6targetE0EEEvSP_
    .private_segment_fixed_size: 0
    .sgpr_count:     0
    .sgpr_spill_count: 0
    .symbol:         _ZN7rocprim17ROCPRIM_400000_NS6detail17trampoline_kernelINS0_14default_configENS1_27upper_bound_config_selectorIfiEEZNS1_14transform_implILb0ES3_S5_N6thrust23THRUST_200600_302600_NS6detail15normal_iteratorINS8_10device_ptrIfEEEENSA_INSB_IiEEEEZNS1_13binary_searchIS3_S5_SD_SD_SF_NS1_21upper_bound_search_opENS9_16wrapped_functionINS0_4lessIvEEbEEEE10hipError_tPvRmT1_T2_T3_mmT4_T5_P12ihipStream_tbEUlRKfE_EESM_SQ_SR_mSS_SV_bEUlT_E_NS1_11comp_targetILNS1_3genE10ELNS1_11target_archE1201ELNS1_3gpuE5ELNS1_3repE0EEENS1_30default_config_static_selectorELNS0_4arch9wavefront6targetE0EEEvSP_.kd
    .uniform_work_group_size: 1
    .uses_dynamic_stack: false
    .vgpr_count:     0
    .vgpr_spill_count: 0
    .wavefront_size: 32
    .workgroup_processor_mode: 1
  - .args:
      - .offset:         0
        .size:           56
        .value_kind:     by_value
    .group_segment_fixed_size: 0
    .kernarg_segment_align: 8
    .kernarg_segment_size: 56
    .language:       OpenCL C
    .language_version:
      - 2
      - 0
    .max_flat_workgroup_size: 128
    .name:           _ZN7rocprim17ROCPRIM_400000_NS6detail17trampoline_kernelINS0_14default_configENS1_27upper_bound_config_selectorIfiEEZNS1_14transform_implILb0ES3_S5_N6thrust23THRUST_200600_302600_NS6detail15normal_iteratorINS8_10device_ptrIfEEEENSA_INSB_IiEEEEZNS1_13binary_searchIS3_S5_SD_SD_SF_NS1_21upper_bound_search_opENS9_16wrapped_functionINS0_4lessIvEEbEEEE10hipError_tPvRmT1_T2_T3_mmT4_T5_P12ihipStream_tbEUlRKfE_EESM_SQ_SR_mSS_SV_bEUlT_E_NS1_11comp_targetILNS1_3genE10ELNS1_11target_archE1200ELNS1_3gpuE4ELNS1_3repE0EEENS1_30default_config_static_selectorELNS0_4arch9wavefront6targetE0EEEvSP_
    .private_segment_fixed_size: 0
    .sgpr_count:     0
    .sgpr_spill_count: 0
    .symbol:         _ZN7rocprim17ROCPRIM_400000_NS6detail17trampoline_kernelINS0_14default_configENS1_27upper_bound_config_selectorIfiEEZNS1_14transform_implILb0ES3_S5_N6thrust23THRUST_200600_302600_NS6detail15normal_iteratorINS8_10device_ptrIfEEEENSA_INSB_IiEEEEZNS1_13binary_searchIS3_S5_SD_SD_SF_NS1_21upper_bound_search_opENS9_16wrapped_functionINS0_4lessIvEEbEEEE10hipError_tPvRmT1_T2_T3_mmT4_T5_P12ihipStream_tbEUlRKfE_EESM_SQ_SR_mSS_SV_bEUlT_E_NS1_11comp_targetILNS1_3genE10ELNS1_11target_archE1200ELNS1_3gpuE4ELNS1_3repE0EEENS1_30default_config_static_selectorELNS0_4arch9wavefront6targetE0EEEvSP_.kd
    .uniform_work_group_size: 1
    .uses_dynamic_stack: false
    .vgpr_count:     0
    .vgpr_spill_count: 0
    .wavefront_size: 32
    .workgroup_processor_mode: 1
  - .args:
      - .offset:         0
        .size:           56
        .value_kind:     by_value
      - .offset:         56
        .size:           4
        .value_kind:     hidden_block_count_x
      - .offset:         60
        .size:           4
        .value_kind:     hidden_block_count_y
      - .offset:         64
        .size:           4
        .value_kind:     hidden_block_count_z
      - .offset:         68
        .size:           2
        .value_kind:     hidden_group_size_x
      - .offset:         70
        .size:           2
        .value_kind:     hidden_group_size_y
      - .offset:         72
        .size:           2
        .value_kind:     hidden_group_size_z
      - .offset:         74
        .size:           2
        .value_kind:     hidden_remainder_x
      - .offset:         76
        .size:           2
        .value_kind:     hidden_remainder_y
      - .offset:         78
        .size:           2
        .value_kind:     hidden_remainder_z
      - .offset:         96
        .size:           8
        .value_kind:     hidden_global_offset_x
      - .offset:         104
        .size:           8
        .value_kind:     hidden_global_offset_y
      - .offset:         112
        .size:           8
        .value_kind:     hidden_global_offset_z
      - .offset:         120
        .size:           2
        .value_kind:     hidden_grid_dims
    .group_segment_fixed_size: 0
    .kernarg_segment_align: 8
    .kernarg_segment_size: 312
    .language:       OpenCL C
    .language_version:
      - 2
      - 0
    .max_flat_workgroup_size: 256
    .name:           _ZN7rocprim17ROCPRIM_400000_NS6detail17trampoline_kernelINS0_14default_configENS1_27upper_bound_config_selectorIfiEEZNS1_14transform_implILb0ES3_S5_N6thrust23THRUST_200600_302600_NS6detail15normal_iteratorINS8_10device_ptrIfEEEENSA_INSB_IiEEEEZNS1_13binary_searchIS3_S5_SD_SD_SF_NS1_21upper_bound_search_opENS9_16wrapped_functionINS0_4lessIvEEbEEEE10hipError_tPvRmT1_T2_T3_mmT4_T5_P12ihipStream_tbEUlRKfE_EESM_SQ_SR_mSS_SV_bEUlT_E_NS1_11comp_targetILNS1_3genE9ELNS1_11target_archE1100ELNS1_3gpuE3ELNS1_3repE0EEENS1_30default_config_static_selectorELNS0_4arch9wavefront6targetE0EEEvSP_
    .private_segment_fixed_size: 0
    .sgpr_count:     22
    .sgpr_spill_count: 0
    .symbol:         _ZN7rocprim17ROCPRIM_400000_NS6detail17trampoline_kernelINS0_14default_configENS1_27upper_bound_config_selectorIfiEEZNS1_14transform_implILb0ES3_S5_N6thrust23THRUST_200600_302600_NS6detail15normal_iteratorINS8_10device_ptrIfEEEENSA_INSB_IiEEEEZNS1_13binary_searchIS3_S5_SD_SD_SF_NS1_21upper_bound_search_opENS9_16wrapped_functionINS0_4lessIvEEbEEEE10hipError_tPvRmT1_T2_T3_mmT4_T5_P12ihipStream_tbEUlRKfE_EESM_SQ_SR_mSS_SV_bEUlT_E_NS1_11comp_targetILNS1_3genE9ELNS1_11target_archE1100ELNS1_3gpuE3ELNS1_3repE0EEENS1_30default_config_static_selectorELNS0_4arch9wavefront6targetE0EEEvSP_.kd
    .uniform_work_group_size: 1
    .uses_dynamic_stack: false
    .vgpr_count:     11
    .vgpr_spill_count: 0
    .wavefront_size: 32
    .workgroup_processor_mode: 1
  - .args:
      - .offset:         0
        .size:           56
        .value_kind:     by_value
    .group_segment_fixed_size: 0
    .kernarg_segment_align: 8
    .kernarg_segment_size: 56
    .language:       OpenCL C
    .language_version:
      - 2
      - 0
    .max_flat_workgroup_size: 256
    .name:           _ZN7rocprim17ROCPRIM_400000_NS6detail17trampoline_kernelINS0_14default_configENS1_27upper_bound_config_selectorIfiEEZNS1_14transform_implILb0ES3_S5_N6thrust23THRUST_200600_302600_NS6detail15normal_iteratorINS8_10device_ptrIfEEEENSA_INSB_IiEEEEZNS1_13binary_searchIS3_S5_SD_SD_SF_NS1_21upper_bound_search_opENS9_16wrapped_functionINS0_4lessIvEEbEEEE10hipError_tPvRmT1_T2_T3_mmT4_T5_P12ihipStream_tbEUlRKfE_EESM_SQ_SR_mSS_SV_bEUlT_E_NS1_11comp_targetILNS1_3genE8ELNS1_11target_archE1030ELNS1_3gpuE2ELNS1_3repE0EEENS1_30default_config_static_selectorELNS0_4arch9wavefront6targetE0EEEvSP_
    .private_segment_fixed_size: 0
    .sgpr_count:     0
    .sgpr_spill_count: 0
    .symbol:         _ZN7rocprim17ROCPRIM_400000_NS6detail17trampoline_kernelINS0_14default_configENS1_27upper_bound_config_selectorIfiEEZNS1_14transform_implILb0ES3_S5_N6thrust23THRUST_200600_302600_NS6detail15normal_iteratorINS8_10device_ptrIfEEEENSA_INSB_IiEEEEZNS1_13binary_searchIS3_S5_SD_SD_SF_NS1_21upper_bound_search_opENS9_16wrapped_functionINS0_4lessIvEEbEEEE10hipError_tPvRmT1_T2_T3_mmT4_T5_P12ihipStream_tbEUlRKfE_EESM_SQ_SR_mSS_SV_bEUlT_E_NS1_11comp_targetILNS1_3genE8ELNS1_11target_archE1030ELNS1_3gpuE2ELNS1_3repE0EEENS1_30default_config_static_selectorELNS0_4arch9wavefront6targetE0EEEvSP_.kd
    .uniform_work_group_size: 1
    .uses_dynamic_stack: false
    .vgpr_count:     0
    .vgpr_spill_count: 0
    .wavefront_size: 32
    .workgroup_processor_mode: 1
  - .args:
      - .offset:         0
        .size:           56
        .value_kind:     by_value
    .group_segment_fixed_size: 0
    .kernarg_segment_align: 8
    .kernarg_segment_size: 56
    .language:       OpenCL C
    .language_version:
      - 2
      - 0
    .max_flat_workgroup_size: 64
    .name:           _ZN7rocprim17ROCPRIM_400000_NS6detail17trampoline_kernelINS0_14default_configENS1_27upper_bound_config_selectorIyiEEZNS1_14transform_implILb0ES3_S5_N6thrust23THRUST_200600_302600_NS6detail15normal_iteratorINS8_10device_ptrIyEEEENSA_INSB_IiEEEEZNS1_13binary_searchIS3_S5_SD_SD_SF_NS1_21upper_bound_search_opENS9_16wrapped_functionINS0_4lessIvEEbEEEE10hipError_tPvRmT1_T2_T3_mmT4_T5_P12ihipStream_tbEUlRKyE_EESM_SQ_SR_mSS_SV_bEUlT_E_NS1_11comp_targetILNS1_3genE0ELNS1_11target_archE4294967295ELNS1_3gpuE0ELNS1_3repE0EEENS1_30default_config_static_selectorELNS0_4arch9wavefront6targetE0EEEvSP_
    .private_segment_fixed_size: 0
    .sgpr_count:     0
    .sgpr_spill_count: 0
    .symbol:         _ZN7rocprim17ROCPRIM_400000_NS6detail17trampoline_kernelINS0_14default_configENS1_27upper_bound_config_selectorIyiEEZNS1_14transform_implILb0ES3_S5_N6thrust23THRUST_200600_302600_NS6detail15normal_iteratorINS8_10device_ptrIyEEEENSA_INSB_IiEEEEZNS1_13binary_searchIS3_S5_SD_SD_SF_NS1_21upper_bound_search_opENS9_16wrapped_functionINS0_4lessIvEEbEEEE10hipError_tPvRmT1_T2_T3_mmT4_T5_P12ihipStream_tbEUlRKyE_EESM_SQ_SR_mSS_SV_bEUlT_E_NS1_11comp_targetILNS1_3genE0ELNS1_11target_archE4294967295ELNS1_3gpuE0ELNS1_3repE0EEENS1_30default_config_static_selectorELNS0_4arch9wavefront6targetE0EEEvSP_.kd
    .uniform_work_group_size: 1
    .uses_dynamic_stack: false
    .vgpr_count:     0
    .vgpr_spill_count: 0
    .wavefront_size: 32
    .workgroup_processor_mode: 1
  - .args:
      - .offset:         0
        .size:           56
        .value_kind:     by_value
    .group_segment_fixed_size: 0
    .kernarg_segment_align: 8
    .kernarg_segment_size: 56
    .language:       OpenCL C
    .language_version:
      - 2
      - 0
    .max_flat_workgroup_size: 64
    .name:           _ZN7rocprim17ROCPRIM_400000_NS6detail17trampoline_kernelINS0_14default_configENS1_27upper_bound_config_selectorIyiEEZNS1_14transform_implILb0ES3_S5_N6thrust23THRUST_200600_302600_NS6detail15normal_iteratorINS8_10device_ptrIyEEEENSA_INSB_IiEEEEZNS1_13binary_searchIS3_S5_SD_SD_SF_NS1_21upper_bound_search_opENS9_16wrapped_functionINS0_4lessIvEEbEEEE10hipError_tPvRmT1_T2_T3_mmT4_T5_P12ihipStream_tbEUlRKyE_EESM_SQ_SR_mSS_SV_bEUlT_E_NS1_11comp_targetILNS1_3genE5ELNS1_11target_archE942ELNS1_3gpuE9ELNS1_3repE0EEENS1_30default_config_static_selectorELNS0_4arch9wavefront6targetE0EEEvSP_
    .private_segment_fixed_size: 0
    .sgpr_count:     0
    .sgpr_spill_count: 0
    .symbol:         _ZN7rocprim17ROCPRIM_400000_NS6detail17trampoline_kernelINS0_14default_configENS1_27upper_bound_config_selectorIyiEEZNS1_14transform_implILb0ES3_S5_N6thrust23THRUST_200600_302600_NS6detail15normal_iteratorINS8_10device_ptrIyEEEENSA_INSB_IiEEEEZNS1_13binary_searchIS3_S5_SD_SD_SF_NS1_21upper_bound_search_opENS9_16wrapped_functionINS0_4lessIvEEbEEEE10hipError_tPvRmT1_T2_T3_mmT4_T5_P12ihipStream_tbEUlRKyE_EESM_SQ_SR_mSS_SV_bEUlT_E_NS1_11comp_targetILNS1_3genE5ELNS1_11target_archE942ELNS1_3gpuE9ELNS1_3repE0EEENS1_30default_config_static_selectorELNS0_4arch9wavefront6targetE0EEEvSP_.kd
    .uniform_work_group_size: 1
    .uses_dynamic_stack: false
    .vgpr_count:     0
    .vgpr_spill_count: 0
    .wavefront_size: 32
    .workgroup_processor_mode: 1
  - .args:
      - .offset:         0
        .size:           56
        .value_kind:     by_value
    .group_segment_fixed_size: 0
    .kernarg_segment_align: 8
    .kernarg_segment_size: 56
    .language:       OpenCL C
    .language_version:
      - 2
      - 0
    .max_flat_workgroup_size: 64
    .name:           _ZN7rocprim17ROCPRIM_400000_NS6detail17trampoline_kernelINS0_14default_configENS1_27upper_bound_config_selectorIyiEEZNS1_14transform_implILb0ES3_S5_N6thrust23THRUST_200600_302600_NS6detail15normal_iteratorINS8_10device_ptrIyEEEENSA_INSB_IiEEEEZNS1_13binary_searchIS3_S5_SD_SD_SF_NS1_21upper_bound_search_opENS9_16wrapped_functionINS0_4lessIvEEbEEEE10hipError_tPvRmT1_T2_T3_mmT4_T5_P12ihipStream_tbEUlRKyE_EESM_SQ_SR_mSS_SV_bEUlT_E_NS1_11comp_targetILNS1_3genE4ELNS1_11target_archE910ELNS1_3gpuE8ELNS1_3repE0EEENS1_30default_config_static_selectorELNS0_4arch9wavefront6targetE0EEEvSP_
    .private_segment_fixed_size: 0
    .sgpr_count:     0
    .sgpr_spill_count: 0
    .symbol:         _ZN7rocprim17ROCPRIM_400000_NS6detail17trampoline_kernelINS0_14default_configENS1_27upper_bound_config_selectorIyiEEZNS1_14transform_implILb0ES3_S5_N6thrust23THRUST_200600_302600_NS6detail15normal_iteratorINS8_10device_ptrIyEEEENSA_INSB_IiEEEEZNS1_13binary_searchIS3_S5_SD_SD_SF_NS1_21upper_bound_search_opENS9_16wrapped_functionINS0_4lessIvEEbEEEE10hipError_tPvRmT1_T2_T3_mmT4_T5_P12ihipStream_tbEUlRKyE_EESM_SQ_SR_mSS_SV_bEUlT_E_NS1_11comp_targetILNS1_3genE4ELNS1_11target_archE910ELNS1_3gpuE8ELNS1_3repE0EEENS1_30default_config_static_selectorELNS0_4arch9wavefront6targetE0EEEvSP_.kd
    .uniform_work_group_size: 1
    .uses_dynamic_stack: false
    .vgpr_count:     0
    .vgpr_spill_count: 0
    .wavefront_size: 32
    .workgroup_processor_mode: 1
  - .args:
      - .offset:         0
        .size:           56
        .value_kind:     by_value
    .group_segment_fixed_size: 0
    .kernarg_segment_align: 8
    .kernarg_segment_size: 56
    .language:       OpenCL C
    .language_version:
      - 2
      - 0
    .max_flat_workgroup_size: 64
    .name:           _ZN7rocprim17ROCPRIM_400000_NS6detail17trampoline_kernelINS0_14default_configENS1_27upper_bound_config_selectorIyiEEZNS1_14transform_implILb0ES3_S5_N6thrust23THRUST_200600_302600_NS6detail15normal_iteratorINS8_10device_ptrIyEEEENSA_INSB_IiEEEEZNS1_13binary_searchIS3_S5_SD_SD_SF_NS1_21upper_bound_search_opENS9_16wrapped_functionINS0_4lessIvEEbEEEE10hipError_tPvRmT1_T2_T3_mmT4_T5_P12ihipStream_tbEUlRKyE_EESM_SQ_SR_mSS_SV_bEUlT_E_NS1_11comp_targetILNS1_3genE3ELNS1_11target_archE908ELNS1_3gpuE7ELNS1_3repE0EEENS1_30default_config_static_selectorELNS0_4arch9wavefront6targetE0EEEvSP_
    .private_segment_fixed_size: 0
    .sgpr_count:     0
    .sgpr_spill_count: 0
    .symbol:         _ZN7rocprim17ROCPRIM_400000_NS6detail17trampoline_kernelINS0_14default_configENS1_27upper_bound_config_selectorIyiEEZNS1_14transform_implILb0ES3_S5_N6thrust23THRUST_200600_302600_NS6detail15normal_iteratorINS8_10device_ptrIyEEEENSA_INSB_IiEEEEZNS1_13binary_searchIS3_S5_SD_SD_SF_NS1_21upper_bound_search_opENS9_16wrapped_functionINS0_4lessIvEEbEEEE10hipError_tPvRmT1_T2_T3_mmT4_T5_P12ihipStream_tbEUlRKyE_EESM_SQ_SR_mSS_SV_bEUlT_E_NS1_11comp_targetILNS1_3genE3ELNS1_11target_archE908ELNS1_3gpuE7ELNS1_3repE0EEENS1_30default_config_static_selectorELNS0_4arch9wavefront6targetE0EEEvSP_.kd
    .uniform_work_group_size: 1
    .uses_dynamic_stack: false
    .vgpr_count:     0
    .vgpr_spill_count: 0
    .wavefront_size: 32
    .workgroup_processor_mode: 1
  - .args:
      - .offset:         0
        .size:           56
        .value_kind:     by_value
    .group_segment_fixed_size: 0
    .kernarg_segment_align: 8
    .kernarg_segment_size: 56
    .language:       OpenCL C
    .language_version:
      - 2
      - 0
    .max_flat_workgroup_size: 256
    .name:           _ZN7rocprim17ROCPRIM_400000_NS6detail17trampoline_kernelINS0_14default_configENS1_27upper_bound_config_selectorIyiEEZNS1_14transform_implILb0ES3_S5_N6thrust23THRUST_200600_302600_NS6detail15normal_iteratorINS8_10device_ptrIyEEEENSA_INSB_IiEEEEZNS1_13binary_searchIS3_S5_SD_SD_SF_NS1_21upper_bound_search_opENS9_16wrapped_functionINS0_4lessIvEEbEEEE10hipError_tPvRmT1_T2_T3_mmT4_T5_P12ihipStream_tbEUlRKyE_EESM_SQ_SR_mSS_SV_bEUlT_E_NS1_11comp_targetILNS1_3genE2ELNS1_11target_archE906ELNS1_3gpuE6ELNS1_3repE0EEENS1_30default_config_static_selectorELNS0_4arch9wavefront6targetE0EEEvSP_
    .private_segment_fixed_size: 0
    .sgpr_count:     0
    .sgpr_spill_count: 0
    .symbol:         _ZN7rocprim17ROCPRIM_400000_NS6detail17trampoline_kernelINS0_14default_configENS1_27upper_bound_config_selectorIyiEEZNS1_14transform_implILb0ES3_S5_N6thrust23THRUST_200600_302600_NS6detail15normal_iteratorINS8_10device_ptrIyEEEENSA_INSB_IiEEEEZNS1_13binary_searchIS3_S5_SD_SD_SF_NS1_21upper_bound_search_opENS9_16wrapped_functionINS0_4lessIvEEbEEEE10hipError_tPvRmT1_T2_T3_mmT4_T5_P12ihipStream_tbEUlRKyE_EESM_SQ_SR_mSS_SV_bEUlT_E_NS1_11comp_targetILNS1_3genE2ELNS1_11target_archE906ELNS1_3gpuE6ELNS1_3repE0EEENS1_30default_config_static_selectorELNS0_4arch9wavefront6targetE0EEEvSP_.kd
    .uniform_work_group_size: 1
    .uses_dynamic_stack: false
    .vgpr_count:     0
    .vgpr_spill_count: 0
    .wavefront_size: 32
    .workgroup_processor_mode: 1
  - .args:
      - .offset:         0
        .size:           56
        .value_kind:     by_value
    .group_segment_fixed_size: 0
    .kernarg_segment_align: 8
    .kernarg_segment_size: 56
    .language:       OpenCL C
    .language_version:
      - 2
      - 0
    .max_flat_workgroup_size: 128
    .name:           _ZN7rocprim17ROCPRIM_400000_NS6detail17trampoline_kernelINS0_14default_configENS1_27upper_bound_config_selectorIyiEEZNS1_14transform_implILb0ES3_S5_N6thrust23THRUST_200600_302600_NS6detail15normal_iteratorINS8_10device_ptrIyEEEENSA_INSB_IiEEEEZNS1_13binary_searchIS3_S5_SD_SD_SF_NS1_21upper_bound_search_opENS9_16wrapped_functionINS0_4lessIvEEbEEEE10hipError_tPvRmT1_T2_T3_mmT4_T5_P12ihipStream_tbEUlRKyE_EESM_SQ_SR_mSS_SV_bEUlT_E_NS1_11comp_targetILNS1_3genE10ELNS1_11target_archE1201ELNS1_3gpuE5ELNS1_3repE0EEENS1_30default_config_static_selectorELNS0_4arch9wavefront6targetE0EEEvSP_
    .private_segment_fixed_size: 0
    .sgpr_count:     0
    .sgpr_spill_count: 0
    .symbol:         _ZN7rocprim17ROCPRIM_400000_NS6detail17trampoline_kernelINS0_14default_configENS1_27upper_bound_config_selectorIyiEEZNS1_14transform_implILb0ES3_S5_N6thrust23THRUST_200600_302600_NS6detail15normal_iteratorINS8_10device_ptrIyEEEENSA_INSB_IiEEEEZNS1_13binary_searchIS3_S5_SD_SD_SF_NS1_21upper_bound_search_opENS9_16wrapped_functionINS0_4lessIvEEbEEEE10hipError_tPvRmT1_T2_T3_mmT4_T5_P12ihipStream_tbEUlRKyE_EESM_SQ_SR_mSS_SV_bEUlT_E_NS1_11comp_targetILNS1_3genE10ELNS1_11target_archE1201ELNS1_3gpuE5ELNS1_3repE0EEENS1_30default_config_static_selectorELNS0_4arch9wavefront6targetE0EEEvSP_.kd
    .uniform_work_group_size: 1
    .uses_dynamic_stack: false
    .vgpr_count:     0
    .vgpr_spill_count: 0
    .wavefront_size: 32
    .workgroup_processor_mode: 1
  - .args:
      - .offset:         0
        .size:           56
        .value_kind:     by_value
    .group_segment_fixed_size: 0
    .kernarg_segment_align: 8
    .kernarg_segment_size: 56
    .language:       OpenCL C
    .language_version:
      - 2
      - 0
    .max_flat_workgroup_size: 128
    .name:           _ZN7rocprim17ROCPRIM_400000_NS6detail17trampoline_kernelINS0_14default_configENS1_27upper_bound_config_selectorIyiEEZNS1_14transform_implILb0ES3_S5_N6thrust23THRUST_200600_302600_NS6detail15normal_iteratorINS8_10device_ptrIyEEEENSA_INSB_IiEEEEZNS1_13binary_searchIS3_S5_SD_SD_SF_NS1_21upper_bound_search_opENS9_16wrapped_functionINS0_4lessIvEEbEEEE10hipError_tPvRmT1_T2_T3_mmT4_T5_P12ihipStream_tbEUlRKyE_EESM_SQ_SR_mSS_SV_bEUlT_E_NS1_11comp_targetILNS1_3genE10ELNS1_11target_archE1200ELNS1_3gpuE4ELNS1_3repE0EEENS1_30default_config_static_selectorELNS0_4arch9wavefront6targetE0EEEvSP_
    .private_segment_fixed_size: 0
    .sgpr_count:     0
    .sgpr_spill_count: 0
    .symbol:         _ZN7rocprim17ROCPRIM_400000_NS6detail17trampoline_kernelINS0_14default_configENS1_27upper_bound_config_selectorIyiEEZNS1_14transform_implILb0ES3_S5_N6thrust23THRUST_200600_302600_NS6detail15normal_iteratorINS8_10device_ptrIyEEEENSA_INSB_IiEEEEZNS1_13binary_searchIS3_S5_SD_SD_SF_NS1_21upper_bound_search_opENS9_16wrapped_functionINS0_4lessIvEEbEEEE10hipError_tPvRmT1_T2_T3_mmT4_T5_P12ihipStream_tbEUlRKyE_EESM_SQ_SR_mSS_SV_bEUlT_E_NS1_11comp_targetILNS1_3genE10ELNS1_11target_archE1200ELNS1_3gpuE4ELNS1_3repE0EEENS1_30default_config_static_selectorELNS0_4arch9wavefront6targetE0EEEvSP_.kd
    .uniform_work_group_size: 1
    .uses_dynamic_stack: false
    .vgpr_count:     0
    .vgpr_spill_count: 0
    .wavefront_size: 32
    .workgroup_processor_mode: 1
  - .args:
      - .offset:         0
        .size:           56
        .value_kind:     by_value
      - .offset:         56
        .size:           4
        .value_kind:     hidden_block_count_x
      - .offset:         60
        .size:           4
        .value_kind:     hidden_block_count_y
      - .offset:         64
        .size:           4
        .value_kind:     hidden_block_count_z
      - .offset:         68
        .size:           2
        .value_kind:     hidden_group_size_x
      - .offset:         70
        .size:           2
        .value_kind:     hidden_group_size_y
      - .offset:         72
        .size:           2
        .value_kind:     hidden_group_size_z
      - .offset:         74
        .size:           2
        .value_kind:     hidden_remainder_x
      - .offset:         76
        .size:           2
        .value_kind:     hidden_remainder_y
      - .offset:         78
        .size:           2
        .value_kind:     hidden_remainder_z
      - .offset:         96
        .size:           8
        .value_kind:     hidden_global_offset_x
      - .offset:         104
        .size:           8
        .value_kind:     hidden_global_offset_y
      - .offset:         112
        .size:           8
        .value_kind:     hidden_global_offset_z
      - .offset:         120
        .size:           2
        .value_kind:     hidden_grid_dims
    .group_segment_fixed_size: 0
    .kernarg_segment_align: 8
    .kernarg_segment_size: 312
    .language:       OpenCL C
    .language_version:
      - 2
      - 0
    .max_flat_workgroup_size: 64
    .name:           _ZN7rocprim17ROCPRIM_400000_NS6detail17trampoline_kernelINS0_14default_configENS1_27upper_bound_config_selectorIyiEEZNS1_14transform_implILb0ES3_S5_N6thrust23THRUST_200600_302600_NS6detail15normal_iteratorINS8_10device_ptrIyEEEENSA_INSB_IiEEEEZNS1_13binary_searchIS3_S5_SD_SD_SF_NS1_21upper_bound_search_opENS9_16wrapped_functionINS0_4lessIvEEbEEEE10hipError_tPvRmT1_T2_T3_mmT4_T5_P12ihipStream_tbEUlRKyE_EESM_SQ_SR_mSS_SV_bEUlT_E_NS1_11comp_targetILNS1_3genE9ELNS1_11target_archE1100ELNS1_3gpuE3ELNS1_3repE0EEENS1_30default_config_static_selectorELNS0_4arch9wavefront6targetE0EEEvSP_
    .private_segment_fixed_size: 0
    .sgpr_count:     30
    .sgpr_spill_count: 0
    .symbol:         _ZN7rocprim17ROCPRIM_400000_NS6detail17trampoline_kernelINS0_14default_configENS1_27upper_bound_config_selectorIyiEEZNS1_14transform_implILb0ES3_S5_N6thrust23THRUST_200600_302600_NS6detail15normal_iteratorINS8_10device_ptrIyEEEENSA_INSB_IiEEEEZNS1_13binary_searchIS3_S5_SD_SD_SF_NS1_21upper_bound_search_opENS9_16wrapped_functionINS0_4lessIvEEbEEEE10hipError_tPvRmT1_T2_T3_mmT4_T5_P12ihipStream_tbEUlRKyE_EESM_SQ_SR_mSS_SV_bEUlT_E_NS1_11comp_targetILNS1_3genE9ELNS1_11target_archE1100ELNS1_3gpuE3ELNS1_3repE0EEENS1_30default_config_static_selectorELNS0_4arch9wavefront6targetE0EEEvSP_.kd
    .uniform_work_group_size: 1
    .uses_dynamic_stack: false
    .vgpr_count:     42
    .vgpr_spill_count: 0
    .wavefront_size: 32
    .workgroup_processor_mode: 1
  - .args:
      - .offset:         0
        .size:           56
        .value_kind:     by_value
    .group_segment_fixed_size: 0
    .kernarg_segment_align: 8
    .kernarg_segment_size: 56
    .language:       OpenCL C
    .language_version:
      - 2
      - 0
    .max_flat_workgroup_size: 256
    .name:           _ZN7rocprim17ROCPRIM_400000_NS6detail17trampoline_kernelINS0_14default_configENS1_27upper_bound_config_selectorIyiEEZNS1_14transform_implILb0ES3_S5_N6thrust23THRUST_200600_302600_NS6detail15normal_iteratorINS8_10device_ptrIyEEEENSA_INSB_IiEEEEZNS1_13binary_searchIS3_S5_SD_SD_SF_NS1_21upper_bound_search_opENS9_16wrapped_functionINS0_4lessIvEEbEEEE10hipError_tPvRmT1_T2_T3_mmT4_T5_P12ihipStream_tbEUlRKyE_EESM_SQ_SR_mSS_SV_bEUlT_E_NS1_11comp_targetILNS1_3genE8ELNS1_11target_archE1030ELNS1_3gpuE2ELNS1_3repE0EEENS1_30default_config_static_selectorELNS0_4arch9wavefront6targetE0EEEvSP_
    .private_segment_fixed_size: 0
    .sgpr_count:     0
    .sgpr_spill_count: 0
    .symbol:         _ZN7rocprim17ROCPRIM_400000_NS6detail17trampoline_kernelINS0_14default_configENS1_27upper_bound_config_selectorIyiEEZNS1_14transform_implILb0ES3_S5_N6thrust23THRUST_200600_302600_NS6detail15normal_iteratorINS8_10device_ptrIyEEEENSA_INSB_IiEEEEZNS1_13binary_searchIS3_S5_SD_SD_SF_NS1_21upper_bound_search_opENS9_16wrapped_functionINS0_4lessIvEEbEEEE10hipError_tPvRmT1_T2_T3_mmT4_T5_P12ihipStream_tbEUlRKyE_EESM_SQ_SR_mSS_SV_bEUlT_E_NS1_11comp_targetILNS1_3genE8ELNS1_11target_archE1030ELNS1_3gpuE2ELNS1_3repE0EEENS1_30default_config_static_selectorELNS0_4arch9wavefront6targetE0EEEvSP_.kd
    .uniform_work_group_size: 1
    .uses_dynamic_stack: false
    .vgpr_count:     0
    .vgpr_spill_count: 0
    .wavefront_size: 32
    .workgroup_processor_mode: 1
  - .args:
      - .offset:         0
        .size:           56
        .value_kind:     by_value
    .group_segment_fixed_size: 0
    .kernarg_segment_align: 8
    .kernarg_segment_size: 56
    .language:       OpenCL C
    .language_version:
      - 2
      - 0
    .max_flat_workgroup_size: 256
    .name:           _ZN7rocprim17ROCPRIM_400000_NS6detail17trampoline_kernelINS0_14default_configENS1_27upper_bound_config_selectorIjiEEZNS1_14transform_implILb0ES3_S5_N6thrust23THRUST_200600_302600_NS6detail15normal_iteratorINS8_10device_ptrIjEEEENSA_INSB_IiEEEEZNS1_13binary_searchIS3_S5_SD_SD_SF_NS1_21upper_bound_search_opENS9_16wrapped_functionINS0_4lessIvEEbEEEE10hipError_tPvRmT1_T2_T3_mmT4_T5_P12ihipStream_tbEUlRKjE_EESM_SQ_SR_mSS_SV_bEUlT_E_NS1_11comp_targetILNS1_3genE0ELNS1_11target_archE4294967295ELNS1_3gpuE0ELNS1_3repE0EEENS1_30default_config_static_selectorELNS0_4arch9wavefront6targetE0EEEvSP_
    .private_segment_fixed_size: 0
    .sgpr_count:     0
    .sgpr_spill_count: 0
    .symbol:         _ZN7rocprim17ROCPRIM_400000_NS6detail17trampoline_kernelINS0_14default_configENS1_27upper_bound_config_selectorIjiEEZNS1_14transform_implILb0ES3_S5_N6thrust23THRUST_200600_302600_NS6detail15normal_iteratorINS8_10device_ptrIjEEEENSA_INSB_IiEEEEZNS1_13binary_searchIS3_S5_SD_SD_SF_NS1_21upper_bound_search_opENS9_16wrapped_functionINS0_4lessIvEEbEEEE10hipError_tPvRmT1_T2_T3_mmT4_T5_P12ihipStream_tbEUlRKjE_EESM_SQ_SR_mSS_SV_bEUlT_E_NS1_11comp_targetILNS1_3genE0ELNS1_11target_archE4294967295ELNS1_3gpuE0ELNS1_3repE0EEENS1_30default_config_static_selectorELNS0_4arch9wavefront6targetE0EEEvSP_.kd
    .uniform_work_group_size: 1
    .uses_dynamic_stack: false
    .vgpr_count:     0
    .vgpr_spill_count: 0
    .wavefront_size: 32
    .workgroup_processor_mode: 1
  - .args:
      - .offset:         0
        .size:           56
        .value_kind:     by_value
    .group_segment_fixed_size: 0
    .kernarg_segment_align: 8
    .kernarg_segment_size: 56
    .language:       OpenCL C
    .language_version:
      - 2
      - 0
    .max_flat_workgroup_size: 256
    .name:           _ZN7rocprim17ROCPRIM_400000_NS6detail17trampoline_kernelINS0_14default_configENS1_27upper_bound_config_selectorIjiEEZNS1_14transform_implILb0ES3_S5_N6thrust23THRUST_200600_302600_NS6detail15normal_iteratorINS8_10device_ptrIjEEEENSA_INSB_IiEEEEZNS1_13binary_searchIS3_S5_SD_SD_SF_NS1_21upper_bound_search_opENS9_16wrapped_functionINS0_4lessIvEEbEEEE10hipError_tPvRmT1_T2_T3_mmT4_T5_P12ihipStream_tbEUlRKjE_EESM_SQ_SR_mSS_SV_bEUlT_E_NS1_11comp_targetILNS1_3genE5ELNS1_11target_archE942ELNS1_3gpuE9ELNS1_3repE0EEENS1_30default_config_static_selectorELNS0_4arch9wavefront6targetE0EEEvSP_
    .private_segment_fixed_size: 0
    .sgpr_count:     0
    .sgpr_spill_count: 0
    .symbol:         _ZN7rocprim17ROCPRIM_400000_NS6detail17trampoline_kernelINS0_14default_configENS1_27upper_bound_config_selectorIjiEEZNS1_14transform_implILb0ES3_S5_N6thrust23THRUST_200600_302600_NS6detail15normal_iteratorINS8_10device_ptrIjEEEENSA_INSB_IiEEEEZNS1_13binary_searchIS3_S5_SD_SD_SF_NS1_21upper_bound_search_opENS9_16wrapped_functionINS0_4lessIvEEbEEEE10hipError_tPvRmT1_T2_T3_mmT4_T5_P12ihipStream_tbEUlRKjE_EESM_SQ_SR_mSS_SV_bEUlT_E_NS1_11comp_targetILNS1_3genE5ELNS1_11target_archE942ELNS1_3gpuE9ELNS1_3repE0EEENS1_30default_config_static_selectorELNS0_4arch9wavefront6targetE0EEEvSP_.kd
    .uniform_work_group_size: 1
    .uses_dynamic_stack: false
    .vgpr_count:     0
    .vgpr_spill_count: 0
    .wavefront_size: 32
    .workgroup_processor_mode: 1
  - .args:
      - .offset:         0
        .size:           56
        .value_kind:     by_value
    .group_segment_fixed_size: 0
    .kernarg_segment_align: 8
    .kernarg_segment_size: 56
    .language:       OpenCL C
    .language_version:
      - 2
      - 0
    .max_flat_workgroup_size: 256
    .name:           _ZN7rocprim17ROCPRIM_400000_NS6detail17trampoline_kernelINS0_14default_configENS1_27upper_bound_config_selectorIjiEEZNS1_14transform_implILb0ES3_S5_N6thrust23THRUST_200600_302600_NS6detail15normal_iteratorINS8_10device_ptrIjEEEENSA_INSB_IiEEEEZNS1_13binary_searchIS3_S5_SD_SD_SF_NS1_21upper_bound_search_opENS9_16wrapped_functionINS0_4lessIvEEbEEEE10hipError_tPvRmT1_T2_T3_mmT4_T5_P12ihipStream_tbEUlRKjE_EESM_SQ_SR_mSS_SV_bEUlT_E_NS1_11comp_targetILNS1_3genE4ELNS1_11target_archE910ELNS1_3gpuE8ELNS1_3repE0EEENS1_30default_config_static_selectorELNS0_4arch9wavefront6targetE0EEEvSP_
    .private_segment_fixed_size: 0
    .sgpr_count:     0
    .sgpr_spill_count: 0
    .symbol:         _ZN7rocprim17ROCPRIM_400000_NS6detail17trampoline_kernelINS0_14default_configENS1_27upper_bound_config_selectorIjiEEZNS1_14transform_implILb0ES3_S5_N6thrust23THRUST_200600_302600_NS6detail15normal_iteratorINS8_10device_ptrIjEEEENSA_INSB_IiEEEEZNS1_13binary_searchIS3_S5_SD_SD_SF_NS1_21upper_bound_search_opENS9_16wrapped_functionINS0_4lessIvEEbEEEE10hipError_tPvRmT1_T2_T3_mmT4_T5_P12ihipStream_tbEUlRKjE_EESM_SQ_SR_mSS_SV_bEUlT_E_NS1_11comp_targetILNS1_3genE4ELNS1_11target_archE910ELNS1_3gpuE8ELNS1_3repE0EEENS1_30default_config_static_selectorELNS0_4arch9wavefront6targetE0EEEvSP_.kd
    .uniform_work_group_size: 1
    .uses_dynamic_stack: false
    .vgpr_count:     0
    .vgpr_spill_count: 0
    .wavefront_size: 32
    .workgroup_processor_mode: 1
  - .args:
      - .offset:         0
        .size:           56
        .value_kind:     by_value
    .group_segment_fixed_size: 0
    .kernarg_segment_align: 8
    .kernarg_segment_size: 56
    .language:       OpenCL C
    .language_version:
      - 2
      - 0
    .max_flat_workgroup_size: 256
    .name:           _ZN7rocprim17ROCPRIM_400000_NS6detail17trampoline_kernelINS0_14default_configENS1_27upper_bound_config_selectorIjiEEZNS1_14transform_implILb0ES3_S5_N6thrust23THRUST_200600_302600_NS6detail15normal_iteratorINS8_10device_ptrIjEEEENSA_INSB_IiEEEEZNS1_13binary_searchIS3_S5_SD_SD_SF_NS1_21upper_bound_search_opENS9_16wrapped_functionINS0_4lessIvEEbEEEE10hipError_tPvRmT1_T2_T3_mmT4_T5_P12ihipStream_tbEUlRKjE_EESM_SQ_SR_mSS_SV_bEUlT_E_NS1_11comp_targetILNS1_3genE3ELNS1_11target_archE908ELNS1_3gpuE7ELNS1_3repE0EEENS1_30default_config_static_selectorELNS0_4arch9wavefront6targetE0EEEvSP_
    .private_segment_fixed_size: 0
    .sgpr_count:     0
    .sgpr_spill_count: 0
    .symbol:         _ZN7rocprim17ROCPRIM_400000_NS6detail17trampoline_kernelINS0_14default_configENS1_27upper_bound_config_selectorIjiEEZNS1_14transform_implILb0ES3_S5_N6thrust23THRUST_200600_302600_NS6detail15normal_iteratorINS8_10device_ptrIjEEEENSA_INSB_IiEEEEZNS1_13binary_searchIS3_S5_SD_SD_SF_NS1_21upper_bound_search_opENS9_16wrapped_functionINS0_4lessIvEEbEEEE10hipError_tPvRmT1_T2_T3_mmT4_T5_P12ihipStream_tbEUlRKjE_EESM_SQ_SR_mSS_SV_bEUlT_E_NS1_11comp_targetILNS1_3genE3ELNS1_11target_archE908ELNS1_3gpuE7ELNS1_3repE0EEENS1_30default_config_static_selectorELNS0_4arch9wavefront6targetE0EEEvSP_.kd
    .uniform_work_group_size: 1
    .uses_dynamic_stack: false
    .vgpr_count:     0
    .vgpr_spill_count: 0
    .wavefront_size: 32
    .workgroup_processor_mode: 1
  - .args:
      - .offset:         0
        .size:           56
        .value_kind:     by_value
    .group_segment_fixed_size: 0
    .kernarg_segment_align: 8
    .kernarg_segment_size: 56
    .language:       OpenCL C
    .language_version:
      - 2
      - 0
    .max_flat_workgroup_size: 256
    .name:           _ZN7rocprim17ROCPRIM_400000_NS6detail17trampoline_kernelINS0_14default_configENS1_27upper_bound_config_selectorIjiEEZNS1_14transform_implILb0ES3_S5_N6thrust23THRUST_200600_302600_NS6detail15normal_iteratorINS8_10device_ptrIjEEEENSA_INSB_IiEEEEZNS1_13binary_searchIS3_S5_SD_SD_SF_NS1_21upper_bound_search_opENS9_16wrapped_functionINS0_4lessIvEEbEEEE10hipError_tPvRmT1_T2_T3_mmT4_T5_P12ihipStream_tbEUlRKjE_EESM_SQ_SR_mSS_SV_bEUlT_E_NS1_11comp_targetILNS1_3genE2ELNS1_11target_archE906ELNS1_3gpuE6ELNS1_3repE0EEENS1_30default_config_static_selectorELNS0_4arch9wavefront6targetE0EEEvSP_
    .private_segment_fixed_size: 0
    .sgpr_count:     0
    .sgpr_spill_count: 0
    .symbol:         _ZN7rocprim17ROCPRIM_400000_NS6detail17trampoline_kernelINS0_14default_configENS1_27upper_bound_config_selectorIjiEEZNS1_14transform_implILb0ES3_S5_N6thrust23THRUST_200600_302600_NS6detail15normal_iteratorINS8_10device_ptrIjEEEENSA_INSB_IiEEEEZNS1_13binary_searchIS3_S5_SD_SD_SF_NS1_21upper_bound_search_opENS9_16wrapped_functionINS0_4lessIvEEbEEEE10hipError_tPvRmT1_T2_T3_mmT4_T5_P12ihipStream_tbEUlRKjE_EESM_SQ_SR_mSS_SV_bEUlT_E_NS1_11comp_targetILNS1_3genE2ELNS1_11target_archE906ELNS1_3gpuE6ELNS1_3repE0EEENS1_30default_config_static_selectorELNS0_4arch9wavefront6targetE0EEEvSP_.kd
    .uniform_work_group_size: 1
    .uses_dynamic_stack: false
    .vgpr_count:     0
    .vgpr_spill_count: 0
    .wavefront_size: 32
    .workgroup_processor_mode: 1
  - .args:
      - .offset:         0
        .size:           56
        .value_kind:     by_value
    .group_segment_fixed_size: 0
    .kernarg_segment_align: 8
    .kernarg_segment_size: 56
    .language:       OpenCL C
    .language_version:
      - 2
      - 0
    .max_flat_workgroup_size: 128
    .name:           _ZN7rocprim17ROCPRIM_400000_NS6detail17trampoline_kernelINS0_14default_configENS1_27upper_bound_config_selectorIjiEEZNS1_14transform_implILb0ES3_S5_N6thrust23THRUST_200600_302600_NS6detail15normal_iteratorINS8_10device_ptrIjEEEENSA_INSB_IiEEEEZNS1_13binary_searchIS3_S5_SD_SD_SF_NS1_21upper_bound_search_opENS9_16wrapped_functionINS0_4lessIvEEbEEEE10hipError_tPvRmT1_T2_T3_mmT4_T5_P12ihipStream_tbEUlRKjE_EESM_SQ_SR_mSS_SV_bEUlT_E_NS1_11comp_targetILNS1_3genE10ELNS1_11target_archE1201ELNS1_3gpuE5ELNS1_3repE0EEENS1_30default_config_static_selectorELNS0_4arch9wavefront6targetE0EEEvSP_
    .private_segment_fixed_size: 0
    .sgpr_count:     0
    .sgpr_spill_count: 0
    .symbol:         _ZN7rocprim17ROCPRIM_400000_NS6detail17trampoline_kernelINS0_14default_configENS1_27upper_bound_config_selectorIjiEEZNS1_14transform_implILb0ES3_S5_N6thrust23THRUST_200600_302600_NS6detail15normal_iteratorINS8_10device_ptrIjEEEENSA_INSB_IiEEEEZNS1_13binary_searchIS3_S5_SD_SD_SF_NS1_21upper_bound_search_opENS9_16wrapped_functionINS0_4lessIvEEbEEEE10hipError_tPvRmT1_T2_T3_mmT4_T5_P12ihipStream_tbEUlRKjE_EESM_SQ_SR_mSS_SV_bEUlT_E_NS1_11comp_targetILNS1_3genE10ELNS1_11target_archE1201ELNS1_3gpuE5ELNS1_3repE0EEENS1_30default_config_static_selectorELNS0_4arch9wavefront6targetE0EEEvSP_.kd
    .uniform_work_group_size: 1
    .uses_dynamic_stack: false
    .vgpr_count:     0
    .vgpr_spill_count: 0
    .wavefront_size: 32
    .workgroup_processor_mode: 1
  - .args:
      - .offset:         0
        .size:           56
        .value_kind:     by_value
    .group_segment_fixed_size: 0
    .kernarg_segment_align: 8
    .kernarg_segment_size: 56
    .language:       OpenCL C
    .language_version:
      - 2
      - 0
    .max_flat_workgroup_size: 128
    .name:           _ZN7rocprim17ROCPRIM_400000_NS6detail17trampoline_kernelINS0_14default_configENS1_27upper_bound_config_selectorIjiEEZNS1_14transform_implILb0ES3_S5_N6thrust23THRUST_200600_302600_NS6detail15normal_iteratorINS8_10device_ptrIjEEEENSA_INSB_IiEEEEZNS1_13binary_searchIS3_S5_SD_SD_SF_NS1_21upper_bound_search_opENS9_16wrapped_functionINS0_4lessIvEEbEEEE10hipError_tPvRmT1_T2_T3_mmT4_T5_P12ihipStream_tbEUlRKjE_EESM_SQ_SR_mSS_SV_bEUlT_E_NS1_11comp_targetILNS1_3genE10ELNS1_11target_archE1200ELNS1_3gpuE4ELNS1_3repE0EEENS1_30default_config_static_selectorELNS0_4arch9wavefront6targetE0EEEvSP_
    .private_segment_fixed_size: 0
    .sgpr_count:     0
    .sgpr_spill_count: 0
    .symbol:         _ZN7rocprim17ROCPRIM_400000_NS6detail17trampoline_kernelINS0_14default_configENS1_27upper_bound_config_selectorIjiEEZNS1_14transform_implILb0ES3_S5_N6thrust23THRUST_200600_302600_NS6detail15normal_iteratorINS8_10device_ptrIjEEEENSA_INSB_IiEEEEZNS1_13binary_searchIS3_S5_SD_SD_SF_NS1_21upper_bound_search_opENS9_16wrapped_functionINS0_4lessIvEEbEEEE10hipError_tPvRmT1_T2_T3_mmT4_T5_P12ihipStream_tbEUlRKjE_EESM_SQ_SR_mSS_SV_bEUlT_E_NS1_11comp_targetILNS1_3genE10ELNS1_11target_archE1200ELNS1_3gpuE4ELNS1_3repE0EEENS1_30default_config_static_selectorELNS0_4arch9wavefront6targetE0EEEvSP_.kd
    .uniform_work_group_size: 1
    .uses_dynamic_stack: false
    .vgpr_count:     0
    .vgpr_spill_count: 0
    .wavefront_size: 32
    .workgroup_processor_mode: 1
  - .args:
      - .offset:         0
        .size:           56
        .value_kind:     by_value
      - .offset:         56
        .size:           4
        .value_kind:     hidden_block_count_x
      - .offset:         60
        .size:           4
        .value_kind:     hidden_block_count_y
      - .offset:         64
        .size:           4
        .value_kind:     hidden_block_count_z
      - .offset:         68
        .size:           2
        .value_kind:     hidden_group_size_x
      - .offset:         70
        .size:           2
        .value_kind:     hidden_group_size_y
      - .offset:         72
        .size:           2
        .value_kind:     hidden_group_size_z
      - .offset:         74
        .size:           2
        .value_kind:     hidden_remainder_x
      - .offset:         76
        .size:           2
        .value_kind:     hidden_remainder_y
      - .offset:         78
        .size:           2
        .value_kind:     hidden_remainder_z
      - .offset:         96
        .size:           8
        .value_kind:     hidden_global_offset_x
      - .offset:         104
        .size:           8
        .value_kind:     hidden_global_offset_y
      - .offset:         112
        .size:           8
        .value_kind:     hidden_global_offset_z
      - .offset:         120
        .size:           2
        .value_kind:     hidden_grid_dims
    .group_segment_fixed_size: 0
    .kernarg_segment_align: 8
    .kernarg_segment_size: 312
    .language:       OpenCL C
    .language_version:
      - 2
      - 0
    .max_flat_workgroup_size: 256
    .name:           _ZN7rocprim17ROCPRIM_400000_NS6detail17trampoline_kernelINS0_14default_configENS1_27upper_bound_config_selectorIjiEEZNS1_14transform_implILb0ES3_S5_N6thrust23THRUST_200600_302600_NS6detail15normal_iteratorINS8_10device_ptrIjEEEENSA_INSB_IiEEEEZNS1_13binary_searchIS3_S5_SD_SD_SF_NS1_21upper_bound_search_opENS9_16wrapped_functionINS0_4lessIvEEbEEEE10hipError_tPvRmT1_T2_T3_mmT4_T5_P12ihipStream_tbEUlRKjE_EESM_SQ_SR_mSS_SV_bEUlT_E_NS1_11comp_targetILNS1_3genE9ELNS1_11target_archE1100ELNS1_3gpuE3ELNS1_3repE0EEENS1_30default_config_static_selectorELNS0_4arch9wavefront6targetE0EEEvSP_
    .private_segment_fixed_size: 0
    .sgpr_count:     22
    .sgpr_spill_count: 0
    .symbol:         _ZN7rocprim17ROCPRIM_400000_NS6detail17trampoline_kernelINS0_14default_configENS1_27upper_bound_config_selectorIjiEEZNS1_14transform_implILb0ES3_S5_N6thrust23THRUST_200600_302600_NS6detail15normal_iteratorINS8_10device_ptrIjEEEENSA_INSB_IiEEEEZNS1_13binary_searchIS3_S5_SD_SD_SF_NS1_21upper_bound_search_opENS9_16wrapped_functionINS0_4lessIvEEbEEEE10hipError_tPvRmT1_T2_T3_mmT4_T5_P12ihipStream_tbEUlRKjE_EESM_SQ_SR_mSS_SV_bEUlT_E_NS1_11comp_targetILNS1_3genE9ELNS1_11target_archE1100ELNS1_3gpuE3ELNS1_3repE0EEENS1_30default_config_static_selectorELNS0_4arch9wavefront6targetE0EEEvSP_.kd
    .uniform_work_group_size: 1
    .uses_dynamic_stack: false
    .vgpr_count:     11
    .vgpr_spill_count: 0
    .wavefront_size: 32
    .workgroup_processor_mode: 1
  - .args:
      - .offset:         0
        .size:           56
        .value_kind:     by_value
    .group_segment_fixed_size: 0
    .kernarg_segment_align: 8
    .kernarg_segment_size: 56
    .language:       OpenCL C
    .language_version:
      - 2
      - 0
    .max_flat_workgroup_size: 256
    .name:           _ZN7rocprim17ROCPRIM_400000_NS6detail17trampoline_kernelINS0_14default_configENS1_27upper_bound_config_selectorIjiEEZNS1_14transform_implILb0ES3_S5_N6thrust23THRUST_200600_302600_NS6detail15normal_iteratorINS8_10device_ptrIjEEEENSA_INSB_IiEEEEZNS1_13binary_searchIS3_S5_SD_SD_SF_NS1_21upper_bound_search_opENS9_16wrapped_functionINS0_4lessIvEEbEEEE10hipError_tPvRmT1_T2_T3_mmT4_T5_P12ihipStream_tbEUlRKjE_EESM_SQ_SR_mSS_SV_bEUlT_E_NS1_11comp_targetILNS1_3genE8ELNS1_11target_archE1030ELNS1_3gpuE2ELNS1_3repE0EEENS1_30default_config_static_selectorELNS0_4arch9wavefront6targetE0EEEvSP_
    .private_segment_fixed_size: 0
    .sgpr_count:     0
    .sgpr_spill_count: 0
    .symbol:         _ZN7rocprim17ROCPRIM_400000_NS6detail17trampoline_kernelINS0_14default_configENS1_27upper_bound_config_selectorIjiEEZNS1_14transform_implILb0ES3_S5_N6thrust23THRUST_200600_302600_NS6detail15normal_iteratorINS8_10device_ptrIjEEEENSA_INSB_IiEEEEZNS1_13binary_searchIS3_S5_SD_SD_SF_NS1_21upper_bound_search_opENS9_16wrapped_functionINS0_4lessIvEEbEEEE10hipError_tPvRmT1_T2_T3_mmT4_T5_P12ihipStream_tbEUlRKjE_EESM_SQ_SR_mSS_SV_bEUlT_E_NS1_11comp_targetILNS1_3genE8ELNS1_11target_archE1030ELNS1_3gpuE2ELNS1_3repE0EEENS1_30default_config_static_selectorELNS0_4arch9wavefront6targetE0EEEvSP_.kd
    .uniform_work_group_size: 1
    .uses_dynamic_stack: false
    .vgpr_count:     0
    .vgpr_spill_count: 0
    .wavefront_size: 32
    .workgroup_processor_mode: 1
  - .args:
      - .offset:         0
        .size:           56
        .value_kind:     by_value
    .group_segment_fixed_size: 0
    .kernarg_segment_align: 8
    .kernarg_segment_size: 56
    .language:       OpenCL C
    .language_version:
      - 2
      - 0
    .max_flat_workgroup_size: 128
    .name:           _ZN7rocprim17ROCPRIM_400000_NS6detail17trampoline_kernelINS0_14default_configENS1_27upper_bound_config_selectorItiEEZNS1_14transform_implILb0ES3_S5_N6thrust23THRUST_200600_302600_NS6detail15normal_iteratorINS8_10device_ptrItEEEENSA_INSB_IiEEEEZNS1_13binary_searchIS3_S5_SD_SD_SF_NS1_21upper_bound_search_opENS9_16wrapped_functionINS0_4lessIvEEbEEEE10hipError_tPvRmT1_T2_T3_mmT4_T5_P12ihipStream_tbEUlRKtE_EESM_SQ_SR_mSS_SV_bEUlT_E_NS1_11comp_targetILNS1_3genE0ELNS1_11target_archE4294967295ELNS1_3gpuE0ELNS1_3repE0EEENS1_30default_config_static_selectorELNS0_4arch9wavefront6targetE0EEEvSP_
    .private_segment_fixed_size: 0
    .sgpr_count:     0
    .sgpr_spill_count: 0
    .symbol:         _ZN7rocprim17ROCPRIM_400000_NS6detail17trampoline_kernelINS0_14default_configENS1_27upper_bound_config_selectorItiEEZNS1_14transform_implILb0ES3_S5_N6thrust23THRUST_200600_302600_NS6detail15normal_iteratorINS8_10device_ptrItEEEENSA_INSB_IiEEEEZNS1_13binary_searchIS3_S5_SD_SD_SF_NS1_21upper_bound_search_opENS9_16wrapped_functionINS0_4lessIvEEbEEEE10hipError_tPvRmT1_T2_T3_mmT4_T5_P12ihipStream_tbEUlRKtE_EESM_SQ_SR_mSS_SV_bEUlT_E_NS1_11comp_targetILNS1_3genE0ELNS1_11target_archE4294967295ELNS1_3gpuE0ELNS1_3repE0EEENS1_30default_config_static_selectorELNS0_4arch9wavefront6targetE0EEEvSP_.kd
    .uniform_work_group_size: 1
    .uses_dynamic_stack: false
    .vgpr_count:     0
    .vgpr_spill_count: 0
    .wavefront_size: 32
    .workgroup_processor_mode: 1
  - .args:
      - .offset:         0
        .size:           56
        .value_kind:     by_value
    .group_segment_fixed_size: 0
    .kernarg_segment_align: 8
    .kernarg_segment_size: 56
    .language:       OpenCL C
    .language_version:
      - 2
      - 0
    .max_flat_workgroup_size: 256
    .name:           _ZN7rocprim17ROCPRIM_400000_NS6detail17trampoline_kernelINS0_14default_configENS1_27upper_bound_config_selectorItiEEZNS1_14transform_implILb0ES3_S5_N6thrust23THRUST_200600_302600_NS6detail15normal_iteratorINS8_10device_ptrItEEEENSA_INSB_IiEEEEZNS1_13binary_searchIS3_S5_SD_SD_SF_NS1_21upper_bound_search_opENS9_16wrapped_functionINS0_4lessIvEEbEEEE10hipError_tPvRmT1_T2_T3_mmT4_T5_P12ihipStream_tbEUlRKtE_EESM_SQ_SR_mSS_SV_bEUlT_E_NS1_11comp_targetILNS1_3genE5ELNS1_11target_archE942ELNS1_3gpuE9ELNS1_3repE0EEENS1_30default_config_static_selectorELNS0_4arch9wavefront6targetE0EEEvSP_
    .private_segment_fixed_size: 0
    .sgpr_count:     0
    .sgpr_spill_count: 0
    .symbol:         _ZN7rocprim17ROCPRIM_400000_NS6detail17trampoline_kernelINS0_14default_configENS1_27upper_bound_config_selectorItiEEZNS1_14transform_implILb0ES3_S5_N6thrust23THRUST_200600_302600_NS6detail15normal_iteratorINS8_10device_ptrItEEEENSA_INSB_IiEEEEZNS1_13binary_searchIS3_S5_SD_SD_SF_NS1_21upper_bound_search_opENS9_16wrapped_functionINS0_4lessIvEEbEEEE10hipError_tPvRmT1_T2_T3_mmT4_T5_P12ihipStream_tbEUlRKtE_EESM_SQ_SR_mSS_SV_bEUlT_E_NS1_11comp_targetILNS1_3genE5ELNS1_11target_archE942ELNS1_3gpuE9ELNS1_3repE0EEENS1_30default_config_static_selectorELNS0_4arch9wavefront6targetE0EEEvSP_.kd
    .uniform_work_group_size: 1
    .uses_dynamic_stack: false
    .vgpr_count:     0
    .vgpr_spill_count: 0
    .wavefront_size: 32
    .workgroup_processor_mode: 1
  - .args:
      - .offset:         0
        .size:           56
        .value_kind:     by_value
    .group_segment_fixed_size: 0
    .kernarg_segment_align: 8
    .kernarg_segment_size: 56
    .language:       OpenCL C
    .language_version:
      - 2
      - 0
    .max_flat_workgroup_size: 256
    .name:           _ZN7rocprim17ROCPRIM_400000_NS6detail17trampoline_kernelINS0_14default_configENS1_27upper_bound_config_selectorItiEEZNS1_14transform_implILb0ES3_S5_N6thrust23THRUST_200600_302600_NS6detail15normal_iteratorINS8_10device_ptrItEEEENSA_INSB_IiEEEEZNS1_13binary_searchIS3_S5_SD_SD_SF_NS1_21upper_bound_search_opENS9_16wrapped_functionINS0_4lessIvEEbEEEE10hipError_tPvRmT1_T2_T3_mmT4_T5_P12ihipStream_tbEUlRKtE_EESM_SQ_SR_mSS_SV_bEUlT_E_NS1_11comp_targetILNS1_3genE4ELNS1_11target_archE910ELNS1_3gpuE8ELNS1_3repE0EEENS1_30default_config_static_selectorELNS0_4arch9wavefront6targetE0EEEvSP_
    .private_segment_fixed_size: 0
    .sgpr_count:     0
    .sgpr_spill_count: 0
    .symbol:         _ZN7rocprim17ROCPRIM_400000_NS6detail17trampoline_kernelINS0_14default_configENS1_27upper_bound_config_selectorItiEEZNS1_14transform_implILb0ES3_S5_N6thrust23THRUST_200600_302600_NS6detail15normal_iteratorINS8_10device_ptrItEEEENSA_INSB_IiEEEEZNS1_13binary_searchIS3_S5_SD_SD_SF_NS1_21upper_bound_search_opENS9_16wrapped_functionINS0_4lessIvEEbEEEE10hipError_tPvRmT1_T2_T3_mmT4_T5_P12ihipStream_tbEUlRKtE_EESM_SQ_SR_mSS_SV_bEUlT_E_NS1_11comp_targetILNS1_3genE4ELNS1_11target_archE910ELNS1_3gpuE8ELNS1_3repE0EEENS1_30default_config_static_selectorELNS0_4arch9wavefront6targetE0EEEvSP_.kd
    .uniform_work_group_size: 1
    .uses_dynamic_stack: false
    .vgpr_count:     0
    .vgpr_spill_count: 0
    .wavefront_size: 32
    .workgroup_processor_mode: 1
  - .args:
      - .offset:         0
        .size:           56
        .value_kind:     by_value
    .group_segment_fixed_size: 0
    .kernarg_segment_align: 8
    .kernarg_segment_size: 56
    .language:       OpenCL C
    .language_version:
      - 2
      - 0
    .max_flat_workgroup_size: 128
    .name:           _ZN7rocprim17ROCPRIM_400000_NS6detail17trampoline_kernelINS0_14default_configENS1_27upper_bound_config_selectorItiEEZNS1_14transform_implILb0ES3_S5_N6thrust23THRUST_200600_302600_NS6detail15normal_iteratorINS8_10device_ptrItEEEENSA_INSB_IiEEEEZNS1_13binary_searchIS3_S5_SD_SD_SF_NS1_21upper_bound_search_opENS9_16wrapped_functionINS0_4lessIvEEbEEEE10hipError_tPvRmT1_T2_T3_mmT4_T5_P12ihipStream_tbEUlRKtE_EESM_SQ_SR_mSS_SV_bEUlT_E_NS1_11comp_targetILNS1_3genE3ELNS1_11target_archE908ELNS1_3gpuE7ELNS1_3repE0EEENS1_30default_config_static_selectorELNS0_4arch9wavefront6targetE0EEEvSP_
    .private_segment_fixed_size: 0
    .sgpr_count:     0
    .sgpr_spill_count: 0
    .symbol:         _ZN7rocprim17ROCPRIM_400000_NS6detail17trampoline_kernelINS0_14default_configENS1_27upper_bound_config_selectorItiEEZNS1_14transform_implILb0ES3_S5_N6thrust23THRUST_200600_302600_NS6detail15normal_iteratorINS8_10device_ptrItEEEENSA_INSB_IiEEEEZNS1_13binary_searchIS3_S5_SD_SD_SF_NS1_21upper_bound_search_opENS9_16wrapped_functionINS0_4lessIvEEbEEEE10hipError_tPvRmT1_T2_T3_mmT4_T5_P12ihipStream_tbEUlRKtE_EESM_SQ_SR_mSS_SV_bEUlT_E_NS1_11comp_targetILNS1_3genE3ELNS1_11target_archE908ELNS1_3gpuE7ELNS1_3repE0EEENS1_30default_config_static_selectorELNS0_4arch9wavefront6targetE0EEEvSP_.kd
    .uniform_work_group_size: 1
    .uses_dynamic_stack: false
    .vgpr_count:     0
    .vgpr_spill_count: 0
    .wavefront_size: 32
    .workgroup_processor_mode: 1
  - .args:
      - .offset:         0
        .size:           56
        .value_kind:     by_value
    .group_segment_fixed_size: 0
    .kernarg_segment_align: 8
    .kernarg_segment_size: 56
    .language:       OpenCL C
    .language_version:
      - 2
      - 0
    .max_flat_workgroup_size: 256
    .name:           _ZN7rocprim17ROCPRIM_400000_NS6detail17trampoline_kernelINS0_14default_configENS1_27upper_bound_config_selectorItiEEZNS1_14transform_implILb0ES3_S5_N6thrust23THRUST_200600_302600_NS6detail15normal_iteratorINS8_10device_ptrItEEEENSA_INSB_IiEEEEZNS1_13binary_searchIS3_S5_SD_SD_SF_NS1_21upper_bound_search_opENS9_16wrapped_functionINS0_4lessIvEEbEEEE10hipError_tPvRmT1_T2_T3_mmT4_T5_P12ihipStream_tbEUlRKtE_EESM_SQ_SR_mSS_SV_bEUlT_E_NS1_11comp_targetILNS1_3genE2ELNS1_11target_archE906ELNS1_3gpuE6ELNS1_3repE0EEENS1_30default_config_static_selectorELNS0_4arch9wavefront6targetE0EEEvSP_
    .private_segment_fixed_size: 0
    .sgpr_count:     0
    .sgpr_spill_count: 0
    .symbol:         _ZN7rocprim17ROCPRIM_400000_NS6detail17trampoline_kernelINS0_14default_configENS1_27upper_bound_config_selectorItiEEZNS1_14transform_implILb0ES3_S5_N6thrust23THRUST_200600_302600_NS6detail15normal_iteratorINS8_10device_ptrItEEEENSA_INSB_IiEEEEZNS1_13binary_searchIS3_S5_SD_SD_SF_NS1_21upper_bound_search_opENS9_16wrapped_functionINS0_4lessIvEEbEEEE10hipError_tPvRmT1_T2_T3_mmT4_T5_P12ihipStream_tbEUlRKtE_EESM_SQ_SR_mSS_SV_bEUlT_E_NS1_11comp_targetILNS1_3genE2ELNS1_11target_archE906ELNS1_3gpuE6ELNS1_3repE0EEENS1_30default_config_static_selectorELNS0_4arch9wavefront6targetE0EEEvSP_.kd
    .uniform_work_group_size: 1
    .uses_dynamic_stack: false
    .vgpr_count:     0
    .vgpr_spill_count: 0
    .wavefront_size: 32
    .workgroup_processor_mode: 1
  - .args:
      - .offset:         0
        .size:           56
        .value_kind:     by_value
    .group_segment_fixed_size: 0
    .kernarg_segment_align: 8
    .kernarg_segment_size: 56
    .language:       OpenCL C
    .language_version:
      - 2
      - 0
    .max_flat_workgroup_size: 256
    .name:           _ZN7rocprim17ROCPRIM_400000_NS6detail17trampoline_kernelINS0_14default_configENS1_27upper_bound_config_selectorItiEEZNS1_14transform_implILb0ES3_S5_N6thrust23THRUST_200600_302600_NS6detail15normal_iteratorINS8_10device_ptrItEEEENSA_INSB_IiEEEEZNS1_13binary_searchIS3_S5_SD_SD_SF_NS1_21upper_bound_search_opENS9_16wrapped_functionINS0_4lessIvEEbEEEE10hipError_tPvRmT1_T2_T3_mmT4_T5_P12ihipStream_tbEUlRKtE_EESM_SQ_SR_mSS_SV_bEUlT_E_NS1_11comp_targetILNS1_3genE10ELNS1_11target_archE1201ELNS1_3gpuE5ELNS1_3repE0EEENS1_30default_config_static_selectorELNS0_4arch9wavefront6targetE0EEEvSP_
    .private_segment_fixed_size: 0
    .sgpr_count:     0
    .sgpr_spill_count: 0
    .symbol:         _ZN7rocprim17ROCPRIM_400000_NS6detail17trampoline_kernelINS0_14default_configENS1_27upper_bound_config_selectorItiEEZNS1_14transform_implILb0ES3_S5_N6thrust23THRUST_200600_302600_NS6detail15normal_iteratorINS8_10device_ptrItEEEENSA_INSB_IiEEEEZNS1_13binary_searchIS3_S5_SD_SD_SF_NS1_21upper_bound_search_opENS9_16wrapped_functionINS0_4lessIvEEbEEEE10hipError_tPvRmT1_T2_T3_mmT4_T5_P12ihipStream_tbEUlRKtE_EESM_SQ_SR_mSS_SV_bEUlT_E_NS1_11comp_targetILNS1_3genE10ELNS1_11target_archE1201ELNS1_3gpuE5ELNS1_3repE0EEENS1_30default_config_static_selectorELNS0_4arch9wavefront6targetE0EEEvSP_.kd
    .uniform_work_group_size: 1
    .uses_dynamic_stack: false
    .vgpr_count:     0
    .vgpr_spill_count: 0
    .wavefront_size: 32
    .workgroup_processor_mode: 1
  - .args:
      - .offset:         0
        .size:           56
        .value_kind:     by_value
    .group_segment_fixed_size: 0
    .kernarg_segment_align: 8
    .kernarg_segment_size: 56
    .language:       OpenCL C
    .language_version:
      - 2
      - 0
    .max_flat_workgroup_size: 256
    .name:           _ZN7rocprim17ROCPRIM_400000_NS6detail17trampoline_kernelINS0_14default_configENS1_27upper_bound_config_selectorItiEEZNS1_14transform_implILb0ES3_S5_N6thrust23THRUST_200600_302600_NS6detail15normal_iteratorINS8_10device_ptrItEEEENSA_INSB_IiEEEEZNS1_13binary_searchIS3_S5_SD_SD_SF_NS1_21upper_bound_search_opENS9_16wrapped_functionINS0_4lessIvEEbEEEE10hipError_tPvRmT1_T2_T3_mmT4_T5_P12ihipStream_tbEUlRKtE_EESM_SQ_SR_mSS_SV_bEUlT_E_NS1_11comp_targetILNS1_3genE10ELNS1_11target_archE1200ELNS1_3gpuE4ELNS1_3repE0EEENS1_30default_config_static_selectorELNS0_4arch9wavefront6targetE0EEEvSP_
    .private_segment_fixed_size: 0
    .sgpr_count:     0
    .sgpr_spill_count: 0
    .symbol:         _ZN7rocprim17ROCPRIM_400000_NS6detail17trampoline_kernelINS0_14default_configENS1_27upper_bound_config_selectorItiEEZNS1_14transform_implILb0ES3_S5_N6thrust23THRUST_200600_302600_NS6detail15normal_iteratorINS8_10device_ptrItEEEENSA_INSB_IiEEEEZNS1_13binary_searchIS3_S5_SD_SD_SF_NS1_21upper_bound_search_opENS9_16wrapped_functionINS0_4lessIvEEbEEEE10hipError_tPvRmT1_T2_T3_mmT4_T5_P12ihipStream_tbEUlRKtE_EESM_SQ_SR_mSS_SV_bEUlT_E_NS1_11comp_targetILNS1_3genE10ELNS1_11target_archE1200ELNS1_3gpuE4ELNS1_3repE0EEENS1_30default_config_static_selectorELNS0_4arch9wavefront6targetE0EEEvSP_.kd
    .uniform_work_group_size: 1
    .uses_dynamic_stack: false
    .vgpr_count:     0
    .vgpr_spill_count: 0
    .wavefront_size: 32
    .workgroup_processor_mode: 1
  - .args:
      - .offset:         0
        .size:           56
        .value_kind:     by_value
      - .offset:         56
        .size:           4
        .value_kind:     hidden_block_count_x
      - .offset:         60
        .size:           4
        .value_kind:     hidden_block_count_y
      - .offset:         64
        .size:           4
        .value_kind:     hidden_block_count_z
      - .offset:         68
        .size:           2
        .value_kind:     hidden_group_size_x
      - .offset:         70
        .size:           2
        .value_kind:     hidden_group_size_y
      - .offset:         72
        .size:           2
        .value_kind:     hidden_group_size_z
      - .offset:         74
        .size:           2
        .value_kind:     hidden_remainder_x
      - .offset:         76
        .size:           2
        .value_kind:     hidden_remainder_y
      - .offset:         78
        .size:           2
        .value_kind:     hidden_remainder_z
      - .offset:         96
        .size:           8
        .value_kind:     hidden_global_offset_x
      - .offset:         104
        .size:           8
        .value_kind:     hidden_global_offset_y
      - .offset:         112
        .size:           8
        .value_kind:     hidden_global_offset_z
      - .offset:         120
        .size:           2
        .value_kind:     hidden_grid_dims
    .group_segment_fixed_size: 0
    .kernarg_segment_align: 8
    .kernarg_segment_size: 312
    .language:       OpenCL C
    .language_version:
      - 2
      - 0
    .max_flat_workgroup_size: 256
    .name:           _ZN7rocprim17ROCPRIM_400000_NS6detail17trampoline_kernelINS0_14default_configENS1_27upper_bound_config_selectorItiEEZNS1_14transform_implILb0ES3_S5_N6thrust23THRUST_200600_302600_NS6detail15normal_iteratorINS8_10device_ptrItEEEENSA_INSB_IiEEEEZNS1_13binary_searchIS3_S5_SD_SD_SF_NS1_21upper_bound_search_opENS9_16wrapped_functionINS0_4lessIvEEbEEEE10hipError_tPvRmT1_T2_T3_mmT4_T5_P12ihipStream_tbEUlRKtE_EESM_SQ_SR_mSS_SV_bEUlT_E_NS1_11comp_targetILNS1_3genE9ELNS1_11target_archE1100ELNS1_3gpuE3ELNS1_3repE0EEENS1_30default_config_static_selectorELNS0_4arch9wavefront6targetE0EEEvSP_
    .private_segment_fixed_size: 0
    .sgpr_count:     22
    .sgpr_spill_count: 0
    .symbol:         _ZN7rocprim17ROCPRIM_400000_NS6detail17trampoline_kernelINS0_14default_configENS1_27upper_bound_config_selectorItiEEZNS1_14transform_implILb0ES3_S5_N6thrust23THRUST_200600_302600_NS6detail15normal_iteratorINS8_10device_ptrItEEEENSA_INSB_IiEEEEZNS1_13binary_searchIS3_S5_SD_SD_SF_NS1_21upper_bound_search_opENS9_16wrapped_functionINS0_4lessIvEEbEEEE10hipError_tPvRmT1_T2_T3_mmT4_T5_P12ihipStream_tbEUlRKtE_EESM_SQ_SR_mSS_SV_bEUlT_E_NS1_11comp_targetILNS1_3genE9ELNS1_11target_archE1100ELNS1_3gpuE3ELNS1_3repE0EEENS1_30default_config_static_selectorELNS0_4arch9wavefront6targetE0EEEvSP_.kd
    .uniform_work_group_size: 1
    .uses_dynamic_stack: false
    .vgpr_count:     19
    .vgpr_spill_count: 0
    .wavefront_size: 32
    .workgroup_processor_mode: 1
  - .args:
      - .offset:         0
        .size:           56
        .value_kind:     by_value
    .group_segment_fixed_size: 0
    .kernarg_segment_align: 8
    .kernarg_segment_size: 56
    .language:       OpenCL C
    .language_version:
      - 2
      - 0
    .max_flat_workgroup_size: 128
    .name:           _ZN7rocprim17ROCPRIM_400000_NS6detail17trampoline_kernelINS0_14default_configENS1_27upper_bound_config_selectorItiEEZNS1_14transform_implILb0ES3_S5_N6thrust23THRUST_200600_302600_NS6detail15normal_iteratorINS8_10device_ptrItEEEENSA_INSB_IiEEEEZNS1_13binary_searchIS3_S5_SD_SD_SF_NS1_21upper_bound_search_opENS9_16wrapped_functionINS0_4lessIvEEbEEEE10hipError_tPvRmT1_T2_T3_mmT4_T5_P12ihipStream_tbEUlRKtE_EESM_SQ_SR_mSS_SV_bEUlT_E_NS1_11comp_targetILNS1_3genE8ELNS1_11target_archE1030ELNS1_3gpuE2ELNS1_3repE0EEENS1_30default_config_static_selectorELNS0_4arch9wavefront6targetE0EEEvSP_
    .private_segment_fixed_size: 0
    .sgpr_count:     0
    .sgpr_spill_count: 0
    .symbol:         _ZN7rocprim17ROCPRIM_400000_NS6detail17trampoline_kernelINS0_14default_configENS1_27upper_bound_config_selectorItiEEZNS1_14transform_implILb0ES3_S5_N6thrust23THRUST_200600_302600_NS6detail15normal_iteratorINS8_10device_ptrItEEEENSA_INSB_IiEEEEZNS1_13binary_searchIS3_S5_SD_SD_SF_NS1_21upper_bound_search_opENS9_16wrapped_functionINS0_4lessIvEEbEEEE10hipError_tPvRmT1_T2_T3_mmT4_T5_P12ihipStream_tbEUlRKtE_EESM_SQ_SR_mSS_SV_bEUlT_E_NS1_11comp_targetILNS1_3genE8ELNS1_11target_archE1030ELNS1_3gpuE2ELNS1_3repE0EEENS1_30default_config_static_selectorELNS0_4arch9wavefront6targetE0EEEvSP_.kd
    .uniform_work_group_size: 1
    .uses_dynamic_stack: false
    .vgpr_count:     0
    .vgpr_spill_count: 0
    .wavefront_size: 32
    .workgroup_processor_mode: 1
  - .args:
      - .offset:         0
        .size:           56
        .value_kind:     by_value
    .group_segment_fixed_size: 0
    .kernarg_segment_align: 8
    .kernarg_segment_size: 56
    .language:       OpenCL C
    .language_version:
      - 2
      - 0
    .max_flat_workgroup_size: 64
    .name:           _ZN7rocprim17ROCPRIM_400000_NS6detail17trampoline_kernelINS0_14default_configENS1_27upper_bound_config_selectorIxiEEZNS1_14transform_implILb0ES3_S5_N6thrust23THRUST_200600_302600_NS6detail15normal_iteratorINS8_10device_ptrIxEEEENSA_INSB_IiEEEEZNS1_13binary_searchIS3_S5_SD_SD_SF_NS1_21upper_bound_search_opENS9_16wrapped_functionINS0_4lessIvEEbEEEE10hipError_tPvRmT1_T2_T3_mmT4_T5_P12ihipStream_tbEUlRKxE_EESM_SQ_SR_mSS_SV_bEUlT_E_NS1_11comp_targetILNS1_3genE0ELNS1_11target_archE4294967295ELNS1_3gpuE0ELNS1_3repE0EEENS1_30default_config_static_selectorELNS0_4arch9wavefront6targetE0EEEvSP_
    .private_segment_fixed_size: 0
    .sgpr_count:     0
    .sgpr_spill_count: 0
    .symbol:         _ZN7rocprim17ROCPRIM_400000_NS6detail17trampoline_kernelINS0_14default_configENS1_27upper_bound_config_selectorIxiEEZNS1_14transform_implILb0ES3_S5_N6thrust23THRUST_200600_302600_NS6detail15normal_iteratorINS8_10device_ptrIxEEEENSA_INSB_IiEEEEZNS1_13binary_searchIS3_S5_SD_SD_SF_NS1_21upper_bound_search_opENS9_16wrapped_functionINS0_4lessIvEEbEEEE10hipError_tPvRmT1_T2_T3_mmT4_T5_P12ihipStream_tbEUlRKxE_EESM_SQ_SR_mSS_SV_bEUlT_E_NS1_11comp_targetILNS1_3genE0ELNS1_11target_archE4294967295ELNS1_3gpuE0ELNS1_3repE0EEENS1_30default_config_static_selectorELNS0_4arch9wavefront6targetE0EEEvSP_.kd
    .uniform_work_group_size: 1
    .uses_dynamic_stack: false
    .vgpr_count:     0
    .vgpr_spill_count: 0
    .wavefront_size: 32
    .workgroup_processor_mode: 1
  - .args:
      - .offset:         0
        .size:           56
        .value_kind:     by_value
    .group_segment_fixed_size: 0
    .kernarg_segment_align: 8
    .kernarg_segment_size: 56
    .language:       OpenCL C
    .language_version:
      - 2
      - 0
    .max_flat_workgroup_size: 64
    .name:           _ZN7rocprim17ROCPRIM_400000_NS6detail17trampoline_kernelINS0_14default_configENS1_27upper_bound_config_selectorIxiEEZNS1_14transform_implILb0ES3_S5_N6thrust23THRUST_200600_302600_NS6detail15normal_iteratorINS8_10device_ptrIxEEEENSA_INSB_IiEEEEZNS1_13binary_searchIS3_S5_SD_SD_SF_NS1_21upper_bound_search_opENS9_16wrapped_functionINS0_4lessIvEEbEEEE10hipError_tPvRmT1_T2_T3_mmT4_T5_P12ihipStream_tbEUlRKxE_EESM_SQ_SR_mSS_SV_bEUlT_E_NS1_11comp_targetILNS1_3genE5ELNS1_11target_archE942ELNS1_3gpuE9ELNS1_3repE0EEENS1_30default_config_static_selectorELNS0_4arch9wavefront6targetE0EEEvSP_
    .private_segment_fixed_size: 0
    .sgpr_count:     0
    .sgpr_spill_count: 0
    .symbol:         _ZN7rocprim17ROCPRIM_400000_NS6detail17trampoline_kernelINS0_14default_configENS1_27upper_bound_config_selectorIxiEEZNS1_14transform_implILb0ES3_S5_N6thrust23THRUST_200600_302600_NS6detail15normal_iteratorINS8_10device_ptrIxEEEENSA_INSB_IiEEEEZNS1_13binary_searchIS3_S5_SD_SD_SF_NS1_21upper_bound_search_opENS9_16wrapped_functionINS0_4lessIvEEbEEEE10hipError_tPvRmT1_T2_T3_mmT4_T5_P12ihipStream_tbEUlRKxE_EESM_SQ_SR_mSS_SV_bEUlT_E_NS1_11comp_targetILNS1_3genE5ELNS1_11target_archE942ELNS1_3gpuE9ELNS1_3repE0EEENS1_30default_config_static_selectorELNS0_4arch9wavefront6targetE0EEEvSP_.kd
    .uniform_work_group_size: 1
    .uses_dynamic_stack: false
    .vgpr_count:     0
    .vgpr_spill_count: 0
    .wavefront_size: 32
    .workgroup_processor_mode: 1
  - .args:
      - .offset:         0
        .size:           56
        .value_kind:     by_value
    .group_segment_fixed_size: 0
    .kernarg_segment_align: 8
    .kernarg_segment_size: 56
    .language:       OpenCL C
    .language_version:
      - 2
      - 0
    .max_flat_workgroup_size: 64
    .name:           _ZN7rocprim17ROCPRIM_400000_NS6detail17trampoline_kernelINS0_14default_configENS1_27upper_bound_config_selectorIxiEEZNS1_14transform_implILb0ES3_S5_N6thrust23THRUST_200600_302600_NS6detail15normal_iteratorINS8_10device_ptrIxEEEENSA_INSB_IiEEEEZNS1_13binary_searchIS3_S5_SD_SD_SF_NS1_21upper_bound_search_opENS9_16wrapped_functionINS0_4lessIvEEbEEEE10hipError_tPvRmT1_T2_T3_mmT4_T5_P12ihipStream_tbEUlRKxE_EESM_SQ_SR_mSS_SV_bEUlT_E_NS1_11comp_targetILNS1_3genE4ELNS1_11target_archE910ELNS1_3gpuE8ELNS1_3repE0EEENS1_30default_config_static_selectorELNS0_4arch9wavefront6targetE0EEEvSP_
    .private_segment_fixed_size: 0
    .sgpr_count:     0
    .sgpr_spill_count: 0
    .symbol:         _ZN7rocprim17ROCPRIM_400000_NS6detail17trampoline_kernelINS0_14default_configENS1_27upper_bound_config_selectorIxiEEZNS1_14transform_implILb0ES3_S5_N6thrust23THRUST_200600_302600_NS6detail15normal_iteratorINS8_10device_ptrIxEEEENSA_INSB_IiEEEEZNS1_13binary_searchIS3_S5_SD_SD_SF_NS1_21upper_bound_search_opENS9_16wrapped_functionINS0_4lessIvEEbEEEE10hipError_tPvRmT1_T2_T3_mmT4_T5_P12ihipStream_tbEUlRKxE_EESM_SQ_SR_mSS_SV_bEUlT_E_NS1_11comp_targetILNS1_3genE4ELNS1_11target_archE910ELNS1_3gpuE8ELNS1_3repE0EEENS1_30default_config_static_selectorELNS0_4arch9wavefront6targetE0EEEvSP_.kd
    .uniform_work_group_size: 1
    .uses_dynamic_stack: false
    .vgpr_count:     0
    .vgpr_spill_count: 0
    .wavefront_size: 32
    .workgroup_processor_mode: 1
  - .args:
      - .offset:         0
        .size:           56
        .value_kind:     by_value
    .group_segment_fixed_size: 0
    .kernarg_segment_align: 8
    .kernarg_segment_size: 56
    .language:       OpenCL C
    .language_version:
      - 2
      - 0
    .max_flat_workgroup_size: 64
    .name:           _ZN7rocprim17ROCPRIM_400000_NS6detail17trampoline_kernelINS0_14default_configENS1_27upper_bound_config_selectorIxiEEZNS1_14transform_implILb0ES3_S5_N6thrust23THRUST_200600_302600_NS6detail15normal_iteratorINS8_10device_ptrIxEEEENSA_INSB_IiEEEEZNS1_13binary_searchIS3_S5_SD_SD_SF_NS1_21upper_bound_search_opENS9_16wrapped_functionINS0_4lessIvEEbEEEE10hipError_tPvRmT1_T2_T3_mmT4_T5_P12ihipStream_tbEUlRKxE_EESM_SQ_SR_mSS_SV_bEUlT_E_NS1_11comp_targetILNS1_3genE3ELNS1_11target_archE908ELNS1_3gpuE7ELNS1_3repE0EEENS1_30default_config_static_selectorELNS0_4arch9wavefront6targetE0EEEvSP_
    .private_segment_fixed_size: 0
    .sgpr_count:     0
    .sgpr_spill_count: 0
    .symbol:         _ZN7rocprim17ROCPRIM_400000_NS6detail17trampoline_kernelINS0_14default_configENS1_27upper_bound_config_selectorIxiEEZNS1_14transform_implILb0ES3_S5_N6thrust23THRUST_200600_302600_NS6detail15normal_iteratorINS8_10device_ptrIxEEEENSA_INSB_IiEEEEZNS1_13binary_searchIS3_S5_SD_SD_SF_NS1_21upper_bound_search_opENS9_16wrapped_functionINS0_4lessIvEEbEEEE10hipError_tPvRmT1_T2_T3_mmT4_T5_P12ihipStream_tbEUlRKxE_EESM_SQ_SR_mSS_SV_bEUlT_E_NS1_11comp_targetILNS1_3genE3ELNS1_11target_archE908ELNS1_3gpuE7ELNS1_3repE0EEENS1_30default_config_static_selectorELNS0_4arch9wavefront6targetE0EEEvSP_.kd
    .uniform_work_group_size: 1
    .uses_dynamic_stack: false
    .vgpr_count:     0
    .vgpr_spill_count: 0
    .wavefront_size: 32
    .workgroup_processor_mode: 1
  - .args:
      - .offset:         0
        .size:           56
        .value_kind:     by_value
    .group_segment_fixed_size: 0
    .kernarg_segment_align: 8
    .kernarg_segment_size: 56
    .language:       OpenCL C
    .language_version:
      - 2
      - 0
    .max_flat_workgroup_size: 256
    .name:           _ZN7rocprim17ROCPRIM_400000_NS6detail17trampoline_kernelINS0_14default_configENS1_27upper_bound_config_selectorIxiEEZNS1_14transform_implILb0ES3_S5_N6thrust23THRUST_200600_302600_NS6detail15normal_iteratorINS8_10device_ptrIxEEEENSA_INSB_IiEEEEZNS1_13binary_searchIS3_S5_SD_SD_SF_NS1_21upper_bound_search_opENS9_16wrapped_functionINS0_4lessIvEEbEEEE10hipError_tPvRmT1_T2_T3_mmT4_T5_P12ihipStream_tbEUlRKxE_EESM_SQ_SR_mSS_SV_bEUlT_E_NS1_11comp_targetILNS1_3genE2ELNS1_11target_archE906ELNS1_3gpuE6ELNS1_3repE0EEENS1_30default_config_static_selectorELNS0_4arch9wavefront6targetE0EEEvSP_
    .private_segment_fixed_size: 0
    .sgpr_count:     0
    .sgpr_spill_count: 0
    .symbol:         _ZN7rocprim17ROCPRIM_400000_NS6detail17trampoline_kernelINS0_14default_configENS1_27upper_bound_config_selectorIxiEEZNS1_14transform_implILb0ES3_S5_N6thrust23THRUST_200600_302600_NS6detail15normal_iteratorINS8_10device_ptrIxEEEENSA_INSB_IiEEEEZNS1_13binary_searchIS3_S5_SD_SD_SF_NS1_21upper_bound_search_opENS9_16wrapped_functionINS0_4lessIvEEbEEEE10hipError_tPvRmT1_T2_T3_mmT4_T5_P12ihipStream_tbEUlRKxE_EESM_SQ_SR_mSS_SV_bEUlT_E_NS1_11comp_targetILNS1_3genE2ELNS1_11target_archE906ELNS1_3gpuE6ELNS1_3repE0EEENS1_30default_config_static_selectorELNS0_4arch9wavefront6targetE0EEEvSP_.kd
    .uniform_work_group_size: 1
    .uses_dynamic_stack: false
    .vgpr_count:     0
    .vgpr_spill_count: 0
    .wavefront_size: 32
    .workgroup_processor_mode: 1
  - .args:
      - .offset:         0
        .size:           56
        .value_kind:     by_value
    .group_segment_fixed_size: 0
    .kernarg_segment_align: 8
    .kernarg_segment_size: 56
    .language:       OpenCL C
    .language_version:
      - 2
      - 0
    .max_flat_workgroup_size: 128
    .name:           _ZN7rocprim17ROCPRIM_400000_NS6detail17trampoline_kernelINS0_14default_configENS1_27upper_bound_config_selectorIxiEEZNS1_14transform_implILb0ES3_S5_N6thrust23THRUST_200600_302600_NS6detail15normal_iteratorINS8_10device_ptrIxEEEENSA_INSB_IiEEEEZNS1_13binary_searchIS3_S5_SD_SD_SF_NS1_21upper_bound_search_opENS9_16wrapped_functionINS0_4lessIvEEbEEEE10hipError_tPvRmT1_T2_T3_mmT4_T5_P12ihipStream_tbEUlRKxE_EESM_SQ_SR_mSS_SV_bEUlT_E_NS1_11comp_targetILNS1_3genE10ELNS1_11target_archE1201ELNS1_3gpuE5ELNS1_3repE0EEENS1_30default_config_static_selectorELNS0_4arch9wavefront6targetE0EEEvSP_
    .private_segment_fixed_size: 0
    .sgpr_count:     0
    .sgpr_spill_count: 0
    .symbol:         _ZN7rocprim17ROCPRIM_400000_NS6detail17trampoline_kernelINS0_14default_configENS1_27upper_bound_config_selectorIxiEEZNS1_14transform_implILb0ES3_S5_N6thrust23THRUST_200600_302600_NS6detail15normal_iteratorINS8_10device_ptrIxEEEENSA_INSB_IiEEEEZNS1_13binary_searchIS3_S5_SD_SD_SF_NS1_21upper_bound_search_opENS9_16wrapped_functionINS0_4lessIvEEbEEEE10hipError_tPvRmT1_T2_T3_mmT4_T5_P12ihipStream_tbEUlRKxE_EESM_SQ_SR_mSS_SV_bEUlT_E_NS1_11comp_targetILNS1_3genE10ELNS1_11target_archE1201ELNS1_3gpuE5ELNS1_3repE0EEENS1_30default_config_static_selectorELNS0_4arch9wavefront6targetE0EEEvSP_.kd
    .uniform_work_group_size: 1
    .uses_dynamic_stack: false
    .vgpr_count:     0
    .vgpr_spill_count: 0
    .wavefront_size: 32
    .workgroup_processor_mode: 1
  - .args:
      - .offset:         0
        .size:           56
        .value_kind:     by_value
    .group_segment_fixed_size: 0
    .kernarg_segment_align: 8
    .kernarg_segment_size: 56
    .language:       OpenCL C
    .language_version:
      - 2
      - 0
    .max_flat_workgroup_size: 128
    .name:           _ZN7rocprim17ROCPRIM_400000_NS6detail17trampoline_kernelINS0_14default_configENS1_27upper_bound_config_selectorIxiEEZNS1_14transform_implILb0ES3_S5_N6thrust23THRUST_200600_302600_NS6detail15normal_iteratorINS8_10device_ptrIxEEEENSA_INSB_IiEEEEZNS1_13binary_searchIS3_S5_SD_SD_SF_NS1_21upper_bound_search_opENS9_16wrapped_functionINS0_4lessIvEEbEEEE10hipError_tPvRmT1_T2_T3_mmT4_T5_P12ihipStream_tbEUlRKxE_EESM_SQ_SR_mSS_SV_bEUlT_E_NS1_11comp_targetILNS1_3genE10ELNS1_11target_archE1200ELNS1_3gpuE4ELNS1_3repE0EEENS1_30default_config_static_selectorELNS0_4arch9wavefront6targetE0EEEvSP_
    .private_segment_fixed_size: 0
    .sgpr_count:     0
    .sgpr_spill_count: 0
    .symbol:         _ZN7rocprim17ROCPRIM_400000_NS6detail17trampoline_kernelINS0_14default_configENS1_27upper_bound_config_selectorIxiEEZNS1_14transform_implILb0ES3_S5_N6thrust23THRUST_200600_302600_NS6detail15normal_iteratorINS8_10device_ptrIxEEEENSA_INSB_IiEEEEZNS1_13binary_searchIS3_S5_SD_SD_SF_NS1_21upper_bound_search_opENS9_16wrapped_functionINS0_4lessIvEEbEEEE10hipError_tPvRmT1_T2_T3_mmT4_T5_P12ihipStream_tbEUlRKxE_EESM_SQ_SR_mSS_SV_bEUlT_E_NS1_11comp_targetILNS1_3genE10ELNS1_11target_archE1200ELNS1_3gpuE4ELNS1_3repE0EEENS1_30default_config_static_selectorELNS0_4arch9wavefront6targetE0EEEvSP_.kd
    .uniform_work_group_size: 1
    .uses_dynamic_stack: false
    .vgpr_count:     0
    .vgpr_spill_count: 0
    .wavefront_size: 32
    .workgroup_processor_mode: 1
  - .args:
      - .offset:         0
        .size:           56
        .value_kind:     by_value
      - .offset:         56
        .size:           4
        .value_kind:     hidden_block_count_x
      - .offset:         60
        .size:           4
        .value_kind:     hidden_block_count_y
      - .offset:         64
        .size:           4
        .value_kind:     hidden_block_count_z
      - .offset:         68
        .size:           2
        .value_kind:     hidden_group_size_x
      - .offset:         70
        .size:           2
        .value_kind:     hidden_group_size_y
      - .offset:         72
        .size:           2
        .value_kind:     hidden_group_size_z
      - .offset:         74
        .size:           2
        .value_kind:     hidden_remainder_x
      - .offset:         76
        .size:           2
        .value_kind:     hidden_remainder_y
      - .offset:         78
        .size:           2
        .value_kind:     hidden_remainder_z
      - .offset:         96
        .size:           8
        .value_kind:     hidden_global_offset_x
      - .offset:         104
        .size:           8
        .value_kind:     hidden_global_offset_y
      - .offset:         112
        .size:           8
        .value_kind:     hidden_global_offset_z
      - .offset:         120
        .size:           2
        .value_kind:     hidden_grid_dims
    .group_segment_fixed_size: 0
    .kernarg_segment_align: 8
    .kernarg_segment_size: 312
    .language:       OpenCL C
    .language_version:
      - 2
      - 0
    .max_flat_workgroup_size: 64
    .name:           _ZN7rocprim17ROCPRIM_400000_NS6detail17trampoline_kernelINS0_14default_configENS1_27upper_bound_config_selectorIxiEEZNS1_14transform_implILb0ES3_S5_N6thrust23THRUST_200600_302600_NS6detail15normal_iteratorINS8_10device_ptrIxEEEENSA_INSB_IiEEEEZNS1_13binary_searchIS3_S5_SD_SD_SF_NS1_21upper_bound_search_opENS9_16wrapped_functionINS0_4lessIvEEbEEEE10hipError_tPvRmT1_T2_T3_mmT4_T5_P12ihipStream_tbEUlRKxE_EESM_SQ_SR_mSS_SV_bEUlT_E_NS1_11comp_targetILNS1_3genE9ELNS1_11target_archE1100ELNS1_3gpuE3ELNS1_3repE0EEENS1_30default_config_static_selectorELNS0_4arch9wavefront6targetE0EEEvSP_
    .private_segment_fixed_size: 0
    .sgpr_count:     30
    .sgpr_spill_count: 0
    .symbol:         _ZN7rocprim17ROCPRIM_400000_NS6detail17trampoline_kernelINS0_14default_configENS1_27upper_bound_config_selectorIxiEEZNS1_14transform_implILb0ES3_S5_N6thrust23THRUST_200600_302600_NS6detail15normal_iteratorINS8_10device_ptrIxEEEENSA_INSB_IiEEEEZNS1_13binary_searchIS3_S5_SD_SD_SF_NS1_21upper_bound_search_opENS9_16wrapped_functionINS0_4lessIvEEbEEEE10hipError_tPvRmT1_T2_T3_mmT4_T5_P12ihipStream_tbEUlRKxE_EESM_SQ_SR_mSS_SV_bEUlT_E_NS1_11comp_targetILNS1_3genE9ELNS1_11target_archE1100ELNS1_3gpuE3ELNS1_3repE0EEENS1_30default_config_static_selectorELNS0_4arch9wavefront6targetE0EEEvSP_.kd
    .uniform_work_group_size: 1
    .uses_dynamic_stack: false
    .vgpr_count:     42
    .vgpr_spill_count: 0
    .wavefront_size: 32
    .workgroup_processor_mode: 1
  - .args:
      - .offset:         0
        .size:           56
        .value_kind:     by_value
    .group_segment_fixed_size: 0
    .kernarg_segment_align: 8
    .kernarg_segment_size: 56
    .language:       OpenCL C
    .language_version:
      - 2
      - 0
    .max_flat_workgroup_size: 256
    .name:           _ZN7rocprim17ROCPRIM_400000_NS6detail17trampoline_kernelINS0_14default_configENS1_27upper_bound_config_selectorIxiEEZNS1_14transform_implILb0ES3_S5_N6thrust23THRUST_200600_302600_NS6detail15normal_iteratorINS8_10device_ptrIxEEEENSA_INSB_IiEEEEZNS1_13binary_searchIS3_S5_SD_SD_SF_NS1_21upper_bound_search_opENS9_16wrapped_functionINS0_4lessIvEEbEEEE10hipError_tPvRmT1_T2_T3_mmT4_T5_P12ihipStream_tbEUlRKxE_EESM_SQ_SR_mSS_SV_bEUlT_E_NS1_11comp_targetILNS1_3genE8ELNS1_11target_archE1030ELNS1_3gpuE2ELNS1_3repE0EEENS1_30default_config_static_selectorELNS0_4arch9wavefront6targetE0EEEvSP_
    .private_segment_fixed_size: 0
    .sgpr_count:     0
    .sgpr_spill_count: 0
    .symbol:         _ZN7rocprim17ROCPRIM_400000_NS6detail17trampoline_kernelINS0_14default_configENS1_27upper_bound_config_selectorIxiEEZNS1_14transform_implILb0ES3_S5_N6thrust23THRUST_200600_302600_NS6detail15normal_iteratorINS8_10device_ptrIxEEEENSA_INSB_IiEEEEZNS1_13binary_searchIS3_S5_SD_SD_SF_NS1_21upper_bound_search_opENS9_16wrapped_functionINS0_4lessIvEEbEEEE10hipError_tPvRmT1_T2_T3_mmT4_T5_P12ihipStream_tbEUlRKxE_EESM_SQ_SR_mSS_SV_bEUlT_E_NS1_11comp_targetILNS1_3genE8ELNS1_11target_archE1030ELNS1_3gpuE2ELNS1_3repE0EEENS1_30default_config_static_selectorELNS0_4arch9wavefront6targetE0EEEvSP_.kd
    .uniform_work_group_size: 1
    .uses_dynamic_stack: false
    .vgpr_count:     0
    .vgpr_spill_count: 0
    .wavefront_size: 32
    .workgroup_processor_mode: 1
  - .args:
      - .offset:         0
        .size:           56
        .value_kind:     by_value
    .group_segment_fixed_size: 0
    .kernarg_segment_align: 8
    .kernarg_segment_size: 56
    .language:       OpenCL C
    .language_version:
      - 2
      - 0
    .max_flat_workgroup_size: 256
    .name:           _ZN7rocprim17ROCPRIM_400000_NS6detail17trampoline_kernelINS0_14default_configENS1_27upper_bound_config_selectorIiiEEZNS1_14transform_implILb0ES3_S5_N6thrust23THRUST_200600_302600_NS6detail15normal_iteratorINS8_10device_ptrIiEEEESD_ZNS1_13binary_searchIS3_S5_SD_SD_SD_NS1_21upper_bound_search_opENS9_16wrapped_functionINS0_4lessIvEEbEEEE10hipError_tPvRmT1_T2_T3_mmT4_T5_P12ihipStream_tbEUlRKiE_EESK_SO_SP_mSQ_ST_bEUlT_E_NS1_11comp_targetILNS1_3genE0ELNS1_11target_archE4294967295ELNS1_3gpuE0ELNS1_3repE0EEENS1_30default_config_static_selectorELNS0_4arch9wavefront6targetE0EEEvSN_
    .private_segment_fixed_size: 0
    .sgpr_count:     0
    .sgpr_spill_count: 0
    .symbol:         _ZN7rocprim17ROCPRIM_400000_NS6detail17trampoline_kernelINS0_14default_configENS1_27upper_bound_config_selectorIiiEEZNS1_14transform_implILb0ES3_S5_N6thrust23THRUST_200600_302600_NS6detail15normal_iteratorINS8_10device_ptrIiEEEESD_ZNS1_13binary_searchIS3_S5_SD_SD_SD_NS1_21upper_bound_search_opENS9_16wrapped_functionINS0_4lessIvEEbEEEE10hipError_tPvRmT1_T2_T3_mmT4_T5_P12ihipStream_tbEUlRKiE_EESK_SO_SP_mSQ_ST_bEUlT_E_NS1_11comp_targetILNS1_3genE0ELNS1_11target_archE4294967295ELNS1_3gpuE0ELNS1_3repE0EEENS1_30default_config_static_selectorELNS0_4arch9wavefront6targetE0EEEvSN_.kd
    .uniform_work_group_size: 1
    .uses_dynamic_stack: false
    .vgpr_count:     0
    .vgpr_spill_count: 0
    .wavefront_size: 32
    .workgroup_processor_mode: 1
  - .args:
      - .offset:         0
        .size:           56
        .value_kind:     by_value
    .group_segment_fixed_size: 0
    .kernarg_segment_align: 8
    .kernarg_segment_size: 56
    .language:       OpenCL C
    .language_version:
      - 2
      - 0
    .max_flat_workgroup_size: 256
    .name:           _ZN7rocprim17ROCPRIM_400000_NS6detail17trampoline_kernelINS0_14default_configENS1_27upper_bound_config_selectorIiiEEZNS1_14transform_implILb0ES3_S5_N6thrust23THRUST_200600_302600_NS6detail15normal_iteratorINS8_10device_ptrIiEEEESD_ZNS1_13binary_searchIS3_S5_SD_SD_SD_NS1_21upper_bound_search_opENS9_16wrapped_functionINS0_4lessIvEEbEEEE10hipError_tPvRmT1_T2_T3_mmT4_T5_P12ihipStream_tbEUlRKiE_EESK_SO_SP_mSQ_ST_bEUlT_E_NS1_11comp_targetILNS1_3genE5ELNS1_11target_archE942ELNS1_3gpuE9ELNS1_3repE0EEENS1_30default_config_static_selectorELNS0_4arch9wavefront6targetE0EEEvSN_
    .private_segment_fixed_size: 0
    .sgpr_count:     0
    .sgpr_spill_count: 0
    .symbol:         _ZN7rocprim17ROCPRIM_400000_NS6detail17trampoline_kernelINS0_14default_configENS1_27upper_bound_config_selectorIiiEEZNS1_14transform_implILb0ES3_S5_N6thrust23THRUST_200600_302600_NS6detail15normal_iteratorINS8_10device_ptrIiEEEESD_ZNS1_13binary_searchIS3_S5_SD_SD_SD_NS1_21upper_bound_search_opENS9_16wrapped_functionINS0_4lessIvEEbEEEE10hipError_tPvRmT1_T2_T3_mmT4_T5_P12ihipStream_tbEUlRKiE_EESK_SO_SP_mSQ_ST_bEUlT_E_NS1_11comp_targetILNS1_3genE5ELNS1_11target_archE942ELNS1_3gpuE9ELNS1_3repE0EEENS1_30default_config_static_selectorELNS0_4arch9wavefront6targetE0EEEvSN_.kd
    .uniform_work_group_size: 1
    .uses_dynamic_stack: false
    .vgpr_count:     0
    .vgpr_spill_count: 0
    .wavefront_size: 32
    .workgroup_processor_mode: 1
  - .args:
      - .offset:         0
        .size:           56
        .value_kind:     by_value
    .group_segment_fixed_size: 0
    .kernarg_segment_align: 8
    .kernarg_segment_size: 56
    .language:       OpenCL C
    .language_version:
      - 2
      - 0
    .max_flat_workgroup_size: 256
    .name:           _ZN7rocprim17ROCPRIM_400000_NS6detail17trampoline_kernelINS0_14default_configENS1_27upper_bound_config_selectorIiiEEZNS1_14transform_implILb0ES3_S5_N6thrust23THRUST_200600_302600_NS6detail15normal_iteratorINS8_10device_ptrIiEEEESD_ZNS1_13binary_searchIS3_S5_SD_SD_SD_NS1_21upper_bound_search_opENS9_16wrapped_functionINS0_4lessIvEEbEEEE10hipError_tPvRmT1_T2_T3_mmT4_T5_P12ihipStream_tbEUlRKiE_EESK_SO_SP_mSQ_ST_bEUlT_E_NS1_11comp_targetILNS1_3genE4ELNS1_11target_archE910ELNS1_3gpuE8ELNS1_3repE0EEENS1_30default_config_static_selectorELNS0_4arch9wavefront6targetE0EEEvSN_
    .private_segment_fixed_size: 0
    .sgpr_count:     0
    .sgpr_spill_count: 0
    .symbol:         _ZN7rocprim17ROCPRIM_400000_NS6detail17trampoline_kernelINS0_14default_configENS1_27upper_bound_config_selectorIiiEEZNS1_14transform_implILb0ES3_S5_N6thrust23THRUST_200600_302600_NS6detail15normal_iteratorINS8_10device_ptrIiEEEESD_ZNS1_13binary_searchIS3_S5_SD_SD_SD_NS1_21upper_bound_search_opENS9_16wrapped_functionINS0_4lessIvEEbEEEE10hipError_tPvRmT1_T2_T3_mmT4_T5_P12ihipStream_tbEUlRKiE_EESK_SO_SP_mSQ_ST_bEUlT_E_NS1_11comp_targetILNS1_3genE4ELNS1_11target_archE910ELNS1_3gpuE8ELNS1_3repE0EEENS1_30default_config_static_selectorELNS0_4arch9wavefront6targetE0EEEvSN_.kd
    .uniform_work_group_size: 1
    .uses_dynamic_stack: false
    .vgpr_count:     0
    .vgpr_spill_count: 0
    .wavefront_size: 32
    .workgroup_processor_mode: 1
  - .args:
      - .offset:         0
        .size:           56
        .value_kind:     by_value
    .group_segment_fixed_size: 0
    .kernarg_segment_align: 8
    .kernarg_segment_size: 56
    .language:       OpenCL C
    .language_version:
      - 2
      - 0
    .max_flat_workgroup_size: 256
    .name:           _ZN7rocprim17ROCPRIM_400000_NS6detail17trampoline_kernelINS0_14default_configENS1_27upper_bound_config_selectorIiiEEZNS1_14transform_implILb0ES3_S5_N6thrust23THRUST_200600_302600_NS6detail15normal_iteratorINS8_10device_ptrIiEEEESD_ZNS1_13binary_searchIS3_S5_SD_SD_SD_NS1_21upper_bound_search_opENS9_16wrapped_functionINS0_4lessIvEEbEEEE10hipError_tPvRmT1_T2_T3_mmT4_T5_P12ihipStream_tbEUlRKiE_EESK_SO_SP_mSQ_ST_bEUlT_E_NS1_11comp_targetILNS1_3genE3ELNS1_11target_archE908ELNS1_3gpuE7ELNS1_3repE0EEENS1_30default_config_static_selectorELNS0_4arch9wavefront6targetE0EEEvSN_
    .private_segment_fixed_size: 0
    .sgpr_count:     0
    .sgpr_spill_count: 0
    .symbol:         _ZN7rocprim17ROCPRIM_400000_NS6detail17trampoline_kernelINS0_14default_configENS1_27upper_bound_config_selectorIiiEEZNS1_14transform_implILb0ES3_S5_N6thrust23THRUST_200600_302600_NS6detail15normal_iteratorINS8_10device_ptrIiEEEESD_ZNS1_13binary_searchIS3_S5_SD_SD_SD_NS1_21upper_bound_search_opENS9_16wrapped_functionINS0_4lessIvEEbEEEE10hipError_tPvRmT1_T2_T3_mmT4_T5_P12ihipStream_tbEUlRKiE_EESK_SO_SP_mSQ_ST_bEUlT_E_NS1_11comp_targetILNS1_3genE3ELNS1_11target_archE908ELNS1_3gpuE7ELNS1_3repE0EEENS1_30default_config_static_selectorELNS0_4arch9wavefront6targetE0EEEvSN_.kd
    .uniform_work_group_size: 1
    .uses_dynamic_stack: false
    .vgpr_count:     0
    .vgpr_spill_count: 0
    .wavefront_size: 32
    .workgroup_processor_mode: 1
  - .args:
      - .offset:         0
        .size:           56
        .value_kind:     by_value
    .group_segment_fixed_size: 0
    .kernarg_segment_align: 8
    .kernarg_segment_size: 56
    .language:       OpenCL C
    .language_version:
      - 2
      - 0
    .max_flat_workgroup_size: 256
    .name:           _ZN7rocprim17ROCPRIM_400000_NS6detail17trampoline_kernelINS0_14default_configENS1_27upper_bound_config_selectorIiiEEZNS1_14transform_implILb0ES3_S5_N6thrust23THRUST_200600_302600_NS6detail15normal_iteratorINS8_10device_ptrIiEEEESD_ZNS1_13binary_searchIS3_S5_SD_SD_SD_NS1_21upper_bound_search_opENS9_16wrapped_functionINS0_4lessIvEEbEEEE10hipError_tPvRmT1_T2_T3_mmT4_T5_P12ihipStream_tbEUlRKiE_EESK_SO_SP_mSQ_ST_bEUlT_E_NS1_11comp_targetILNS1_3genE2ELNS1_11target_archE906ELNS1_3gpuE6ELNS1_3repE0EEENS1_30default_config_static_selectorELNS0_4arch9wavefront6targetE0EEEvSN_
    .private_segment_fixed_size: 0
    .sgpr_count:     0
    .sgpr_spill_count: 0
    .symbol:         _ZN7rocprim17ROCPRIM_400000_NS6detail17trampoline_kernelINS0_14default_configENS1_27upper_bound_config_selectorIiiEEZNS1_14transform_implILb0ES3_S5_N6thrust23THRUST_200600_302600_NS6detail15normal_iteratorINS8_10device_ptrIiEEEESD_ZNS1_13binary_searchIS3_S5_SD_SD_SD_NS1_21upper_bound_search_opENS9_16wrapped_functionINS0_4lessIvEEbEEEE10hipError_tPvRmT1_T2_T3_mmT4_T5_P12ihipStream_tbEUlRKiE_EESK_SO_SP_mSQ_ST_bEUlT_E_NS1_11comp_targetILNS1_3genE2ELNS1_11target_archE906ELNS1_3gpuE6ELNS1_3repE0EEENS1_30default_config_static_selectorELNS0_4arch9wavefront6targetE0EEEvSN_.kd
    .uniform_work_group_size: 1
    .uses_dynamic_stack: false
    .vgpr_count:     0
    .vgpr_spill_count: 0
    .wavefront_size: 32
    .workgroup_processor_mode: 1
  - .args:
      - .offset:         0
        .size:           56
        .value_kind:     by_value
    .group_segment_fixed_size: 0
    .kernarg_segment_align: 8
    .kernarg_segment_size: 56
    .language:       OpenCL C
    .language_version:
      - 2
      - 0
    .max_flat_workgroup_size: 128
    .name:           _ZN7rocprim17ROCPRIM_400000_NS6detail17trampoline_kernelINS0_14default_configENS1_27upper_bound_config_selectorIiiEEZNS1_14transform_implILb0ES3_S5_N6thrust23THRUST_200600_302600_NS6detail15normal_iteratorINS8_10device_ptrIiEEEESD_ZNS1_13binary_searchIS3_S5_SD_SD_SD_NS1_21upper_bound_search_opENS9_16wrapped_functionINS0_4lessIvEEbEEEE10hipError_tPvRmT1_T2_T3_mmT4_T5_P12ihipStream_tbEUlRKiE_EESK_SO_SP_mSQ_ST_bEUlT_E_NS1_11comp_targetILNS1_3genE10ELNS1_11target_archE1201ELNS1_3gpuE5ELNS1_3repE0EEENS1_30default_config_static_selectorELNS0_4arch9wavefront6targetE0EEEvSN_
    .private_segment_fixed_size: 0
    .sgpr_count:     0
    .sgpr_spill_count: 0
    .symbol:         _ZN7rocprim17ROCPRIM_400000_NS6detail17trampoline_kernelINS0_14default_configENS1_27upper_bound_config_selectorIiiEEZNS1_14transform_implILb0ES3_S5_N6thrust23THRUST_200600_302600_NS6detail15normal_iteratorINS8_10device_ptrIiEEEESD_ZNS1_13binary_searchIS3_S5_SD_SD_SD_NS1_21upper_bound_search_opENS9_16wrapped_functionINS0_4lessIvEEbEEEE10hipError_tPvRmT1_T2_T3_mmT4_T5_P12ihipStream_tbEUlRKiE_EESK_SO_SP_mSQ_ST_bEUlT_E_NS1_11comp_targetILNS1_3genE10ELNS1_11target_archE1201ELNS1_3gpuE5ELNS1_3repE0EEENS1_30default_config_static_selectorELNS0_4arch9wavefront6targetE0EEEvSN_.kd
    .uniform_work_group_size: 1
    .uses_dynamic_stack: false
    .vgpr_count:     0
    .vgpr_spill_count: 0
    .wavefront_size: 32
    .workgroup_processor_mode: 1
  - .args:
      - .offset:         0
        .size:           56
        .value_kind:     by_value
    .group_segment_fixed_size: 0
    .kernarg_segment_align: 8
    .kernarg_segment_size: 56
    .language:       OpenCL C
    .language_version:
      - 2
      - 0
    .max_flat_workgroup_size: 128
    .name:           _ZN7rocprim17ROCPRIM_400000_NS6detail17trampoline_kernelINS0_14default_configENS1_27upper_bound_config_selectorIiiEEZNS1_14transform_implILb0ES3_S5_N6thrust23THRUST_200600_302600_NS6detail15normal_iteratorINS8_10device_ptrIiEEEESD_ZNS1_13binary_searchIS3_S5_SD_SD_SD_NS1_21upper_bound_search_opENS9_16wrapped_functionINS0_4lessIvEEbEEEE10hipError_tPvRmT1_T2_T3_mmT4_T5_P12ihipStream_tbEUlRKiE_EESK_SO_SP_mSQ_ST_bEUlT_E_NS1_11comp_targetILNS1_3genE10ELNS1_11target_archE1200ELNS1_3gpuE4ELNS1_3repE0EEENS1_30default_config_static_selectorELNS0_4arch9wavefront6targetE0EEEvSN_
    .private_segment_fixed_size: 0
    .sgpr_count:     0
    .sgpr_spill_count: 0
    .symbol:         _ZN7rocprim17ROCPRIM_400000_NS6detail17trampoline_kernelINS0_14default_configENS1_27upper_bound_config_selectorIiiEEZNS1_14transform_implILb0ES3_S5_N6thrust23THRUST_200600_302600_NS6detail15normal_iteratorINS8_10device_ptrIiEEEESD_ZNS1_13binary_searchIS3_S5_SD_SD_SD_NS1_21upper_bound_search_opENS9_16wrapped_functionINS0_4lessIvEEbEEEE10hipError_tPvRmT1_T2_T3_mmT4_T5_P12ihipStream_tbEUlRKiE_EESK_SO_SP_mSQ_ST_bEUlT_E_NS1_11comp_targetILNS1_3genE10ELNS1_11target_archE1200ELNS1_3gpuE4ELNS1_3repE0EEENS1_30default_config_static_selectorELNS0_4arch9wavefront6targetE0EEEvSN_.kd
    .uniform_work_group_size: 1
    .uses_dynamic_stack: false
    .vgpr_count:     0
    .vgpr_spill_count: 0
    .wavefront_size: 32
    .workgroup_processor_mode: 1
  - .args:
      - .offset:         0
        .size:           56
        .value_kind:     by_value
      - .offset:         56
        .size:           4
        .value_kind:     hidden_block_count_x
      - .offset:         60
        .size:           4
        .value_kind:     hidden_block_count_y
      - .offset:         64
        .size:           4
        .value_kind:     hidden_block_count_z
      - .offset:         68
        .size:           2
        .value_kind:     hidden_group_size_x
      - .offset:         70
        .size:           2
        .value_kind:     hidden_group_size_y
      - .offset:         72
        .size:           2
        .value_kind:     hidden_group_size_z
      - .offset:         74
        .size:           2
        .value_kind:     hidden_remainder_x
      - .offset:         76
        .size:           2
        .value_kind:     hidden_remainder_y
      - .offset:         78
        .size:           2
        .value_kind:     hidden_remainder_z
      - .offset:         96
        .size:           8
        .value_kind:     hidden_global_offset_x
      - .offset:         104
        .size:           8
        .value_kind:     hidden_global_offset_y
      - .offset:         112
        .size:           8
        .value_kind:     hidden_global_offset_z
      - .offset:         120
        .size:           2
        .value_kind:     hidden_grid_dims
    .group_segment_fixed_size: 0
    .kernarg_segment_align: 8
    .kernarg_segment_size: 312
    .language:       OpenCL C
    .language_version:
      - 2
      - 0
    .max_flat_workgroup_size: 256
    .name:           _ZN7rocprim17ROCPRIM_400000_NS6detail17trampoline_kernelINS0_14default_configENS1_27upper_bound_config_selectorIiiEEZNS1_14transform_implILb0ES3_S5_N6thrust23THRUST_200600_302600_NS6detail15normal_iteratorINS8_10device_ptrIiEEEESD_ZNS1_13binary_searchIS3_S5_SD_SD_SD_NS1_21upper_bound_search_opENS9_16wrapped_functionINS0_4lessIvEEbEEEE10hipError_tPvRmT1_T2_T3_mmT4_T5_P12ihipStream_tbEUlRKiE_EESK_SO_SP_mSQ_ST_bEUlT_E_NS1_11comp_targetILNS1_3genE9ELNS1_11target_archE1100ELNS1_3gpuE3ELNS1_3repE0EEENS1_30default_config_static_selectorELNS0_4arch9wavefront6targetE0EEEvSN_
    .private_segment_fixed_size: 0
    .sgpr_count:     22
    .sgpr_spill_count: 0
    .symbol:         _ZN7rocprim17ROCPRIM_400000_NS6detail17trampoline_kernelINS0_14default_configENS1_27upper_bound_config_selectorIiiEEZNS1_14transform_implILb0ES3_S5_N6thrust23THRUST_200600_302600_NS6detail15normal_iteratorINS8_10device_ptrIiEEEESD_ZNS1_13binary_searchIS3_S5_SD_SD_SD_NS1_21upper_bound_search_opENS9_16wrapped_functionINS0_4lessIvEEbEEEE10hipError_tPvRmT1_T2_T3_mmT4_T5_P12ihipStream_tbEUlRKiE_EESK_SO_SP_mSQ_ST_bEUlT_E_NS1_11comp_targetILNS1_3genE9ELNS1_11target_archE1100ELNS1_3gpuE3ELNS1_3repE0EEENS1_30default_config_static_selectorELNS0_4arch9wavefront6targetE0EEEvSN_.kd
    .uniform_work_group_size: 1
    .uses_dynamic_stack: false
    .vgpr_count:     11
    .vgpr_spill_count: 0
    .wavefront_size: 32
    .workgroup_processor_mode: 1
  - .args:
      - .offset:         0
        .size:           56
        .value_kind:     by_value
    .group_segment_fixed_size: 0
    .kernarg_segment_align: 8
    .kernarg_segment_size: 56
    .language:       OpenCL C
    .language_version:
      - 2
      - 0
    .max_flat_workgroup_size: 256
    .name:           _ZN7rocprim17ROCPRIM_400000_NS6detail17trampoline_kernelINS0_14default_configENS1_27upper_bound_config_selectorIiiEEZNS1_14transform_implILb0ES3_S5_N6thrust23THRUST_200600_302600_NS6detail15normal_iteratorINS8_10device_ptrIiEEEESD_ZNS1_13binary_searchIS3_S5_SD_SD_SD_NS1_21upper_bound_search_opENS9_16wrapped_functionINS0_4lessIvEEbEEEE10hipError_tPvRmT1_T2_T3_mmT4_T5_P12ihipStream_tbEUlRKiE_EESK_SO_SP_mSQ_ST_bEUlT_E_NS1_11comp_targetILNS1_3genE8ELNS1_11target_archE1030ELNS1_3gpuE2ELNS1_3repE0EEENS1_30default_config_static_selectorELNS0_4arch9wavefront6targetE0EEEvSN_
    .private_segment_fixed_size: 0
    .sgpr_count:     0
    .sgpr_spill_count: 0
    .symbol:         _ZN7rocprim17ROCPRIM_400000_NS6detail17trampoline_kernelINS0_14default_configENS1_27upper_bound_config_selectorIiiEEZNS1_14transform_implILb0ES3_S5_N6thrust23THRUST_200600_302600_NS6detail15normal_iteratorINS8_10device_ptrIiEEEESD_ZNS1_13binary_searchIS3_S5_SD_SD_SD_NS1_21upper_bound_search_opENS9_16wrapped_functionINS0_4lessIvEEbEEEE10hipError_tPvRmT1_T2_T3_mmT4_T5_P12ihipStream_tbEUlRKiE_EESK_SO_SP_mSQ_ST_bEUlT_E_NS1_11comp_targetILNS1_3genE8ELNS1_11target_archE1030ELNS1_3gpuE2ELNS1_3repE0EEENS1_30default_config_static_selectorELNS0_4arch9wavefront6targetE0EEEvSN_.kd
    .uniform_work_group_size: 1
    .uses_dynamic_stack: false
    .vgpr_count:     0
    .vgpr_spill_count: 0
    .wavefront_size: 32
    .workgroup_processor_mode: 1
  - .args:
      - .offset:         0
        .size:           56
        .value_kind:     by_value
    .group_segment_fixed_size: 0
    .kernarg_segment_align: 8
    .kernarg_segment_size: 56
    .language:       OpenCL C
    .language_version:
      - 2
      - 0
    .max_flat_workgroup_size: 128
    .name:           _ZN7rocprim17ROCPRIM_400000_NS6detail17trampoline_kernelINS0_14default_configENS1_27upper_bound_config_selectorIsiEEZNS1_14transform_implILb0ES3_S5_N6thrust23THRUST_200600_302600_NS6detail15normal_iteratorINS8_10device_ptrIsEEEENSA_INSB_IiEEEEZNS1_13binary_searchIS3_S5_SD_SD_SF_NS1_21upper_bound_search_opENS9_16wrapped_functionINS0_4lessIvEEbEEEE10hipError_tPvRmT1_T2_T3_mmT4_T5_P12ihipStream_tbEUlRKsE_EESM_SQ_SR_mSS_SV_bEUlT_E_NS1_11comp_targetILNS1_3genE0ELNS1_11target_archE4294967295ELNS1_3gpuE0ELNS1_3repE0EEENS1_30default_config_static_selectorELNS0_4arch9wavefront6targetE0EEEvSP_
    .private_segment_fixed_size: 0
    .sgpr_count:     0
    .sgpr_spill_count: 0
    .symbol:         _ZN7rocprim17ROCPRIM_400000_NS6detail17trampoline_kernelINS0_14default_configENS1_27upper_bound_config_selectorIsiEEZNS1_14transform_implILb0ES3_S5_N6thrust23THRUST_200600_302600_NS6detail15normal_iteratorINS8_10device_ptrIsEEEENSA_INSB_IiEEEEZNS1_13binary_searchIS3_S5_SD_SD_SF_NS1_21upper_bound_search_opENS9_16wrapped_functionINS0_4lessIvEEbEEEE10hipError_tPvRmT1_T2_T3_mmT4_T5_P12ihipStream_tbEUlRKsE_EESM_SQ_SR_mSS_SV_bEUlT_E_NS1_11comp_targetILNS1_3genE0ELNS1_11target_archE4294967295ELNS1_3gpuE0ELNS1_3repE0EEENS1_30default_config_static_selectorELNS0_4arch9wavefront6targetE0EEEvSP_.kd
    .uniform_work_group_size: 1
    .uses_dynamic_stack: false
    .vgpr_count:     0
    .vgpr_spill_count: 0
    .wavefront_size: 32
    .workgroup_processor_mode: 1
  - .args:
      - .offset:         0
        .size:           56
        .value_kind:     by_value
    .group_segment_fixed_size: 0
    .kernarg_segment_align: 8
    .kernarg_segment_size: 56
    .language:       OpenCL C
    .language_version:
      - 2
      - 0
    .max_flat_workgroup_size: 256
    .name:           _ZN7rocprim17ROCPRIM_400000_NS6detail17trampoline_kernelINS0_14default_configENS1_27upper_bound_config_selectorIsiEEZNS1_14transform_implILb0ES3_S5_N6thrust23THRUST_200600_302600_NS6detail15normal_iteratorINS8_10device_ptrIsEEEENSA_INSB_IiEEEEZNS1_13binary_searchIS3_S5_SD_SD_SF_NS1_21upper_bound_search_opENS9_16wrapped_functionINS0_4lessIvEEbEEEE10hipError_tPvRmT1_T2_T3_mmT4_T5_P12ihipStream_tbEUlRKsE_EESM_SQ_SR_mSS_SV_bEUlT_E_NS1_11comp_targetILNS1_3genE5ELNS1_11target_archE942ELNS1_3gpuE9ELNS1_3repE0EEENS1_30default_config_static_selectorELNS0_4arch9wavefront6targetE0EEEvSP_
    .private_segment_fixed_size: 0
    .sgpr_count:     0
    .sgpr_spill_count: 0
    .symbol:         _ZN7rocprim17ROCPRIM_400000_NS6detail17trampoline_kernelINS0_14default_configENS1_27upper_bound_config_selectorIsiEEZNS1_14transform_implILb0ES3_S5_N6thrust23THRUST_200600_302600_NS6detail15normal_iteratorINS8_10device_ptrIsEEEENSA_INSB_IiEEEEZNS1_13binary_searchIS3_S5_SD_SD_SF_NS1_21upper_bound_search_opENS9_16wrapped_functionINS0_4lessIvEEbEEEE10hipError_tPvRmT1_T2_T3_mmT4_T5_P12ihipStream_tbEUlRKsE_EESM_SQ_SR_mSS_SV_bEUlT_E_NS1_11comp_targetILNS1_3genE5ELNS1_11target_archE942ELNS1_3gpuE9ELNS1_3repE0EEENS1_30default_config_static_selectorELNS0_4arch9wavefront6targetE0EEEvSP_.kd
    .uniform_work_group_size: 1
    .uses_dynamic_stack: false
    .vgpr_count:     0
    .vgpr_spill_count: 0
    .wavefront_size: 32
    .workgroup_processor_mode: 1
  - .args:
      - .offset:         0
        .size:           56
        .value_kind:     by_value
    .group_segment_fixed_size: 0
    .kernarg_segment_align: 8
    .kernarg_segment_size: 56
    .language:       OpenCL C
    .language_version:
      - 2
      - 0
    .max_flat_workgroup_size: 256
    .name:           _ZN7rocprim17ROCPRIM_400000_NS6detail17trampoline_kernelINS0_14default_configENS1_27upper_bound_config_selectorIsiEEZNS1_14transform_implILb0ES3_S5_N6thrust23THRUST_200600_302600_NS6detail15normal_iteratorINS8_10device_ptrIsEEEENSA_INSB_IiEEEEZNS1_13binary_searchIS3_S5_SD_SD_SF_NS1_21upper_bound_search_opENS9_16wrapped_functionINS0_4lessIvEEbEEEE10hipError_tPvRmT1_T2_T3_mmT4_T5_P12ihipStream_tbEUlRKsE_EESM_SQ_SR_mSS_SV_bEUlT_E_NS1_11comp_targetILNS1_3genE4ELNS1_11target_archE910ELNS1_3gpuE8ELNS1_3repE0EEENS1_30default_config_static_selectorELNS0_4arch9wavefront6targetE0EEEvSP_
    .private_segment_fixed_size: 0
    .sgpr_count:     0
    .sgpr_spill_count: 0
    .symbol:         _ZN7rocprim17ROCPRIM_400000_NS6detail17trampoline_kernelINS0_14default_configENS1_27upper_bound_config_selectorIsiEEZNS1_14transform_implILb0ES3_S5_N6thrust23THRUST_200600_302600_NS6detail15normal_iteratorINS8_10device_ptrIsEEEENSA_INSB_IiEEEEZNS1_13binary_searchIS3_S5_SD_SD_SF_NS1_21upper_bound_search_opENS9_16wrapped_functionINS0_4lessIvEEbEEEE10hipError_tPvRmT1_T2_T3_mmT4_T5_P12ihipStream_tbEUlRKsE_EESM_SQ_SR_mSS_SV_bEUlT_E_NS1_11comp_targetILNS1_3genE4ELNS1_11target_archE910ELNS1_3gpuE8ELNS1_3repE0EEENS1_30default_config_static_selectorELNS0_4arch9wavefront6targetE0EEEvSP_.kd
    .uniform_work_group_size: 1
    .uses_dynamic_stack: false
    .vgpr_count:     0
    .vgpr_spill_count: 0
    .wavefront_size: 32
    .workgroup_processor_mode: 1
  - .args:
      - .offset:         0
        .size:           56
        .value_kind:     by_value
    .group_segment_fixed_size: 0
    .kernarg_segment_align: 8
    .kernarg_segment_size: 56
    .language:       OpenCL C
    .language_version:
      - 2
      - 0
    .max_flat_workgroup_size: 128
    .name:           _ZN7rocprim17ROCPRIM_400000_NS6detail17trampoline_kernelINS0_14default_configENS1_27upper_bound_config_selectorIsiEEZNS1_14transform_implILb0ES3_S5_N6thrust23THRUST_200600_302600_NS6detail15normal_iteratorINS8_10device_ptrIsEEEENSA_INSB_IiEEEEZNS1_13binary_searchIS3_S5_SD_SD_SF_NS1_21upper_bound_search_opENS9_16wrapped_functionINS0_4lessIvEEbEEEE10hipError_tPvRmT1_T2_T3_mmT4_T5_P12ihipStream_tbEUlRKsE_EESM_SQ_SR_mSS_SV_bEUlT_E_NS1_11comp_targetILNS1_3genE3ELNS1_11target_archE908ELNS1_3gpuE7ELNS1_3repE0EEENS1_30default_config_static_selectorELNS0_4arch9wavefront6targetE0EEEvSP_
    .private_segment_fixed_size: 0
    .sgpr_count:     0
    .sgpr_spill_count: 0
    .symbol:         _ZN7rocprim17ROCPRIM_400000_NS6detail17trampoline_kernelINS0_14default_configENS1_27upper_bound_config_selectorIsiEEZNS1_14transform_implILb0ES3_S5_N6thrust23THRUST_200600_302600_NS6detail15normal_iteratorINS8_10device_ptrIsEEEENSA_INSB_IiEEEEZNS1_13binary_searchIS3_S5_SD_SD_SF_NS1_21upper_bound_search_opENS9_16wrapped_functionINS0_4lessIvEEbEEEE10hipError_tPvRmT1_T2_T3_mmT4_T5_P12ihipStream_tbEUlRKsE_EESM_SQ_SR_mSS_SV_bEUlT_E_NS1_11comp_targetILNS1_3genE3ELNS1_11target_archE908ELNS1_3gpuE7ELNS1_3repE0EEENS1_30default_config_static_selectorELNS0_4arch9wavefront6targetE0EEEvSP_.kd
    .uniform_work_group_size: 1
    .uses_dynamic_stack: false
    .vgpr_count:     0
    .vgpr_spill_count: 0
    .wavefront_size: 32
    .workgroup_processor_mode: 1
  - .args:
      - .offset:         0
        .size:           56
        .value_kind:     by_value
    .group_segment_fixed_size: 0
    .kernarg_segment_align: 8
    .kernarg_segment_size: 56
    .language:       OpenCL C
    .language_version:
      - 2
      - 0
    .max_flat_workgroup_size: 256
    .name:           _ZN7rocprim17ROCPRIM_400000_NS6detail17trampoline_kernelINS0_14default_configENS1_27upper_bound_config_selectorIsiEEZNS1_14transform_implILb0ES3_S5_N6thrust23THRUST_200600_302600_NS6detail15normal_iteratorINS8_10device_ptrIsEEEENSA_INSB_IiEEEEZNS1_13binary_searchIS3_S5_SD_SD_SF_NS1_21upper_bound_search_opENS9_16wrapped_functionINS0_4lessIvEEbEEEE10hipError_tPvRmT1_T2_T3_mmT4_T5_P12ihipStream_tbEUlRKsE_EESM_SQ_SR_mSS_SV_bEUlT_E_NS1_11comp_targetILNS1_3genE2ELNS1_11target_archE906ELNS1_3gpuE6ELNS1_3repE0EEENS1_30default_config_static_selectorELNS0_4arch9wavefront6targetE0EEEvSP_
    .private_segment_fixed_size: 0
    .sgpr_count:     0
    .sgpr_spill_count: 0
    .symbol:         _ZN7rocprim17ROCPRIM_400000_NS6detail17trampoline_kernelINS0_14default_configENS1_27upper_bound_config_selectorIsiEEZNS1_14transform_implILb0ES3_S5_N6thrust23THRUST_200600_302600_NS6detail15normal_iteratorINS8_10device_ptrIsEEEENSA_INSB_IiEEEEZNS1_13binary_searchIS3_S5_SD_SD_SF_NS1_21upper_bound_search_opENS9_16wrapped_functionINS0_4lessIvEEbEEEE10hipError_tPvRmT1_T2_T3_mmT4_T5_P12ihipStream_tbEUlRKsE_EESM_SQ_SR_mSS_SV_bEUlT_E_NS1_11comp_targetILNS1_3genE2ELNS1_11target_archE906ELNS1_3gpuE6ELNS1_3repE0EEENS1_30default_config_static_selectorELNS0_4arch9wavefront6targetE0EEEvSP_.kd
    .uniform_work_group_size: 1
    .uses_dynamic_stack: false
    .vgpr_count:     0
    .vgpr_spill_count: 0
    .wavefront_size: 32
    .workgroup_processor_mode: 1
  - .args:
      - .offset:         0
        .size:           56
        .value_kind:     by_value
    .group_segment_fixed_size: 0
    .kernarg_segment_align: 8
    .kernarg_segment_size: 56
    .language:       OpenCL C
    .language_version:
      - 2
      - 0
    .max_flat_workgroup_size: 256
    .name:           _ZN7rocprim17ROCPRIM_400000_NS6detail17trampoline_kernelINS0_14default_configENS1_27upper_bound_config_selectorIsiEEZNS1_14transform_implILb0ES3_S5_N6thrust23THRUST_200600_302600_NS6detail15normal_iteratorINS8_10device_ptrIsEEEENSA_INSB_IiEEEEZNS1_13binary_searchIS3_S5_SD_SD_SF_NS1_21upper_bound_search_opENS9_16wrapped_functionINS0_4lessIvEEbEEEE10hipError_tPvRmT1_T2_T3_mmT4_T5_P12ihipStream_tbEUlRKsE_EESM_SQ_SR_mSS_SV_bEUlT_E_NS1_11comp_targetILNS1_3genE10ELNS1_11target_archE1201ELNS1_3gpuE5ELNS1_3repE0EEENS1_30default_config_static_selectorELNS0_4arch9wavefront6targetE0EEEvSP_
    .private_segment_fixed_size: 0
    .sgpr_count:     0
    .sgpr_spill_count: 0
    .symbol:         _ZN7rocprim17ROCPRIM_400000_NS6detail17trampoline_kernelINS0_14default_configENS1_27upper_bound_config_selectorIsiEEZNS1_14transform_implILb0ES3_S5_N6thrust23THRUST_200600_302600_NS6detail15normal_iteratorINS8_10device_ptrIsEEEENSA_INSB_IiEEEEZNS1_13binary_searchIS3_S5_SD_SD_SF_NS1_21upper_bound_search_opENS9_16wrapped_functionINS0_4lessIvEEbEEEE10hipError_tPvRmT1_T2_T3_mmT4_T5_P12ihipStream_tbEUlRKsE_EESM_SQ_SR_mSS_SV_bEUlT_E_NS1_11comp_targetILNS1_3genE10ELNS1_11target_archE1201ELNS1_3gpuE5ELNS1_3repE0EEENS1_30default_config_static_selectorELNS0_4arch9wavefront6targetE0EEEvSP_.kd
    .uniform_work_group_size: 1
    .uses_dynamic_stack: false
    .vgpr_count:     0
    .vgpr_spill_count: 0
    .wavefront_size: 32
    .workgroup_processor_mode: 1
  - .args:
      - .offset:         0
        .size:           56
        .value_kind:     by_value
    .group_segment_fixed_size: 0
    .kernarg_segment_align: 8
    .kernarg_segment_size: 56
    .language:       OpenCL C
    .language_version:
      - 2
      - 0
    .max_flat_workgroup_size: 256
    .name:           _ZN7rocprim17ROCPRIM_400000_NS6detail17trampoline_kernelINS0_14default_configENS1_27upper_bound_config_selectorIsiEEZNS1_14transform_implILb0ES3_S5_N6thrust23THRUST_200600_302600_NS6detail15normal_iteratorINS8_10device_ptrIsEEEENSA_INSB_IiEEEEZNS1_13binary_searchIS3_S5_SD_SD_SF_NS1_21upper_bound_search_opENS9_16wrapped_functionINS0_4lessIvEEbEEEE10hipError_tPvRmT1_T2_T3_mmT4_T5_P12ihipStream_tbEUlRKsE_EESM_SQ_SR_mSS_SV_bEUlT_E_NS1_11comp_targetILNS1_3genE10ELNS1_11target_archE1200ELNS1_3gpuE4ELNS1_3repE0EEENS1_30default_config_static_selectorELNS0_4arch9wavefront6targetE0EEEvSP_
    .private_segment_fixed_size: 0
    .sgpr_count:     0
    .sgpr_spill_count: 0
    .symbol:         _ZN7rocprim17ROCPRIM_400000_NS6detail17trampoline_kernelINS0_14default_configENS1_27upper_bound_config_selectorIsiEEZNS1_14transform_implILb0ES3_S5_N6thrust23THRUST_200600_302600_NS6detail15normal_iteratorINS8_10device_ptrIsEEEENSA_INSB_IiEEEEZNS1_13binary_searchIS3_S5_SD_SD_SF_NS1_21upper_bound_search_opENS9_16wrapped_functionINS0_4lessIvEEbEEEE10hipError_tPvRmT1_T2_T3_mmT4_T5_P12ihipStream_tbEUlRKsE_EESM_SQ_SR_mSS_SV_bEUlT_E_NS1_11comp_targetILNS1_3genE10ELNS1_11target_archE1200ELNS1_3gpuE4ELNS1_3repE0EEENS1_30default_config_static_selectorELNS0_4arch9wavefront6targetE0EEEvSP_.kd
    .uniform_work_group_size: 1
    .uses_dynamic_stack: false
    .vgpr_count:     0
    .vgpr_spill_count: 0
    .wavefront_size: 32
    .workgroup_processor_mode: 1
  - .args:
      - .offset:         0
        .size:           56
        .value_kind:     by_value
      - .offset:         56
        .size:           4
        .value_kind:     hidden_block_count_x
      - .offset:         60
        .size:           4
        .value_kind:     hidden_block_count_y
      - .offset:         64
        .size:           4
        .value_kind:     hidden_block_count_z
      - .offset:         68
        .size:           2
        .value_kind:     hidden_group_size_x
      - .offset:         70
        .size:           2
        .value_kind:     hidden_group_size_y
      - .offset:         72
        .size:           2
        .value_kind:     hidden_group_size_z
      - .offset:         74
        .size:           2
        .value_kind:     hidden_remainder_x
      - .offset:         76
        .size:           2
        .value_kind:     hidden_remainder_y
      - .offset:         78
        .size:           2
        .value_kind:     hidden_remainder_z
      - .offset:         96
        .size:           8
        .value_kind:     hidden_global_offset_x
      - .offset:         104
        .size:           8
        .value_kind:     hidden_global_offset_y
      - .offset:         112
        .size:           8
        .value_kind:     hidden_global_offset_z
      - .offset:         120
        .size:           2
        .value_kind:     hidden_grid_dims
    .group_segment_fixed_size: 0
    .kernarg_segment_align: 8
    .kernarg_segment_size: 312
    .language:       OpenCL C
    .language_version:
      - 2
      - 0
    .max_flat_workgroup_size: 256
    .name:           _ZN7rocprim17ROCPRIM_400000_NS6detail17trampoline_kernelINS0_14default_configENS1_27upper_bound_config_selectorIsiEEZNS1_14transform_implILb0ES3_S5_N6thrust23THRUST_200600_302600_NS6detail15normal_iteratorINS8_10device_ptrIsEEEENSA_INSB_IiEEEEZNS1_13binary_searchIS3_S5_SD_SD_SF_NS1_21upper_bound_search_opENS9_16wrapped_functionINS0_4lessIvEEbEEEE10hipError_tPvRmT1_T2_T3_mmT4_T5_P12ihipStream_tbEUlRKsE_EESM_SQ_SR_mSS_SV_bEUlT_E_NS1_11comp_targetILNS1_3genE9ELNS1_11target_archE1100ELNS1_3gpuE3ELNS1_3repE0EEENS1_30default_config_static_selectorELNS0_4arch9wavefront6targetE0EEEvSP_
    .private_segment_fixed_size: 0
    .sgpr_count:     22
    .sgpr_spill_count: 0
    .symbol:         _ZN7rocprim17ROCPRIM_400000_NS6detail17trampoline_kernelINS0_14default_configENS1_27upper_bound_config_selectorIsiEEZNS1_14transform_implILb0ES3_S5_N6thrust23THRUST_200600_302600_NS6detail15normal_iteratorINS8_10device_ptrIsEEEENSA_INSB_IiEEEEZNS1_13binary_searchIS3_S5_SD_SD_SF_NS1_21upper_bound_search_opENS9_16wrapped_functionINS0_4lessIvEEbEEEE10hipError_tPvRmT1_T2_T3_mmT4_T5_P12ihipStream_tbEUlRKsE_EESM_SQ_SR_mSS_SV_bEUlT_E_NS1_11comp_targetILNS1_3genE9ELNS1_11target_archE1100ELNS1_3gpuE3ELNS1_3repE0EEENS1_30default_config_static_selectorELNS0_4arch9wavefront6targetE0EEEvSP_.kd
    .uniform_work_group_size: 1
    .uses_dynamic_stack: false
    .vgpr_count:     19
    .vgpr_spill_count: 0
    .wavefront_size: 32
    .workgroup_processor_mode: 1
  - .args:
      - .offset:         0
        .size:           56
        .value_kind:     by_value
    .group_segment_fixed_size: 0
    .kernarg_segment_align: 8
    .kernarg_segment_size: 56
    .language:       OpenCL C
    .language_version:
      - 2
      - 0
    .max_flat_workgroup_size: 128
    .name:           _ZN7rocprim17ROCPRIM_400000_NS6detail17trampoline_kernelINS0_14default_configENS1_27upper_bound_config_selectorIsiEEZNS1_14transform_implILb0ES3_S5_N6thrust23THRUST_200600_302600_NS6detail15normal_iteratorINS8_10device_ptrIsEEEENSA_INSB_IiEEEEZNS1_13binary_searchIS3_S5_SD_SD_SF_NS1_21upper_bound_search_opENS9_16wrapped_functionINS0_4lessIvEEbEEEE10hipError_tPvRmT1_T2_T3_mmT4_T5_P12ihipStream_tbEUlRKsE_EESM_SQ_SR_mSS_SV_bEUlT_E_NS1_11comp_targetILNS1_3genE8ELNS1_11target_archE1030ELNS1_3gpuE2ELNS1_3repE0EEENS1_30default_config_static_selectorELNS0_4arch9wavefront6targetE0EEEvSP_
    .private_segment_fixed_size: 0
    .sgpr_count:     0
    .sgpr_spill_count: 0
    .symbol:         _ZN7rocprim17ROCPRIM_400000_NS6detail17trampoline_kernelINS0_14default_configENS1_27upper_bound_config_selectorIsiEEZNS1_14transform_implILb0ES3_S5_N6thrust23THRUST_200600_302600_NS6detail15normal_iteratorINS8_10device_ptrIsEEEENSA_INSB_IiEEEEZNS1_13binary_searchIS3_S5_SD_SD_SF_NS1_21upper_bound_search_opENS9_16wrapped_functionINS0_4lessIvEEbEEEE10hipError_tPvRmT1_T2_T3_mmT4_T5_P12ihipStream_tbEUlRKsE_EESM_SQ_SR_mSS_SV_bEUlT_E_NS1_11comp_targetILNS1_3genE8ELNS1_11target_archE1030ELNS1_3gpuE2ELNS1_3repE0EEENS1_30default_config_static_selectorELNS0_4arch9wavefront6targetE0EEEvSP_.kd
    .uniform_work_group_size: 1
    .uses_dynamic_stack: false
    .vgpr_count:     0
    .vgpr_spill_count: 0
    .wavefront_size: 32
    .workgroup_processor_mode: 1
  - .args:
      - .offset:         0
        .size:           56
        .value_kind:     by_value
    .group_segment_fixed_size: 0
    .kernarg_segment_align: 8
    .kernarg_segment_size: 56
    .language:       OpenCL C
    .language_version:
      - 2
      - 0
    .max_flat_workgroup_size: 128
    .name:           _ZN7rocprim17ROCPRIM_400000_NS6detail17trampoline_kernelINS0_14default_configENS1_29binary_search_config_selectorIdbEEZNS1_14transform_implILb0ES3_S5_N6thrust23THRUST_200600_302600_NS6detail15normal_iteratorINS8_10device_ptrIdEEEENSA_INSB_IbEEEEZNS1_13binary_searchIS3_S5_SD_SD_SF_NS1_16binary_search_opENS9_16wrapped_functionINS0_4lessIvEEbEEEE10hipError_tPvRmT1_T2_T3_mmT4_T5_P12ihipStream_tbEUlRKdE_EESM_SQ_SR_mSS_SV_bEUlT_E_NS1_11comp_targetILNS1_3genE0ELNS1_11target_archE4294967295ELNS1_3gpuE0ELNS1_3repE0EEENS1_30default_config_static_selectorELNS0_4arch9wavefront6targetE0EEEvSP_
    .private_segment_fixed_size: 0
    .sgpr_count:     0
    .sgpr_spill_count: 0
    .symbol:         _ZN7rocprim17ROCPRIM_400000_NS6detail17trampoline_kernelINS0_14default_configENS1_29binary_search_config_selectorIdbEEZNS1_14transform_implILb0ES3_S5_N6thrust23THRUST_200600_302600_NS6detail15normal_iteratorINS8_10device_ptrIdEEEENSA_INSB_IbEEEEZNS1_13binary_searchIS3_S5_SD_SD_SF_NS1_16binary_search_opENS9_16wrapped_functionINS0_4lessIvEEbEEEE10hipError_tPvRmT1_T2_T3_mmT4_T5_P12ihipStream_tbEUlRKdE_EESM_SQ_SR_mSS_SV_bEUlT_E_NS1_11comp_targetILNS1_3genE0ELNS1_11target_archE4294967295ELNS1_3gpuE0ELNS1_3repE0EEENS1_30default_config_static_selectorELNS0_4arch9wavefront6targetE0EEEvSP_.kd
    .uniform_work_group_size: 1
    .uses_dynamic_stack: false
    .vgpr_count:     0
    .vgpr_spill_count: 0
    .wavefront_size: 32
    .workgroup_processor_mode: 1
  - .args:
      - .offset:         0
        .size:           56
        .value_kind:     by_value
    .group_segment_fixed_size: 0
    .kernarg_segment_align: 8
    .kernarg_segment_size: 56
    .language:       OpenCL C
    .language_version:
      - 2
      - 0
    .max_flat_workgroup_size: 256
    .name:           _ZN7rocprim17ROCPRIM_400000_NS6detail17trampoline_kernelINS0_14default_configENS1_29binary_search_config_selectorIdbEEZNS1_14transform_implILb0ES3_S5_N6thrust23THRUST_200600_302600_NS6detail15normal_iteratorINS8_10device_ptrIdEEEENSA_INSB_IbEEEEZNS1_13binary_searchIS3_S5_SD_SD_SF_NS1_16binary_search_opENS9_16wrapped_functionINS0_4lessIvEEbEEEE10hipError_tPvRmT1_T2_T3_mmT4_T5_P12ihipStream_tbEUlRKdE_EESM_SQ_SR_mSS_SV_bEUlT_E_NS1_11comp_targetILNS1_3genE5ELNS1_11target_archE942ELNS1_3gpuE9ELNS1_3repE0EEENS1_30default_config_static_selectorELNS0_4arch9wavefront6targetE0EEEvSP_
    .private_segment_fixed_size: 0
    .sgpr_count:     0
    .sgpr_spill_count: 0
    .symbol:         _ZN7rocprim17ROCPRIM_400000_NS6detail17trampoline_kernelINS0_14default_configENS1_29binary_search_config_selectorIdbEEZNS1_14transform_implILb0ES3_S5_N6thrust23THRUST_200600_302600_NS6detail15normal_iteratorINS8_10device_ptrIdEEEENSA_INSB_IbEEEEZNS1_13binary_searchIS3_S5_SD_SD_SF_NS1_16binary_search_opENS9_16wrapped_functionINS0_4lessIvEEbEEEE10hipError_tPvRmT1_T2_T3_mmT4_T5_P12ihipStream_tbEUlRKdE_EESM_SQ_SR_mSS_SV_bEUlT_E_NS1_11comp_targetILNS1_3genE5ELNS1_11target_archE942ELNS1_3gpuE9ELNS1_3repE0EEENS1_30default_config_static_selectorELNS0_4arch9wavefront6targetE0EEEvSP_.kd
    .uniform_work_group_size: 1
    .uses_dynamic_stack: false
    .vgpr_count:     0
    .vgpr_spill_count: 0
    .wavefront_size: 32
    .workgroup_processor_mode: 1
  - .args:
      - .offset:         0
        .size:           56
        .value_kind:     by_value
    .group_segment_fixed_size: 0
    .kernarg_segment_align: 8
    .kernarg_segment_size: 56
    .language:       OpenCL C
    .language_version:
      - 2
      - 0
    .max_flat_workgroup_size: 64
    .name:           _ZN7rocprim17ROCPRIM_400000_NS6detail17trampoline_kernelINS0_14default_configENS1_29binary_search_config_selectorIdbEEZNS1_14transform_implILb0ES3_S5_N6thrust23THRUST_200600_302600_NS6detail15normal_iteratorINS8_10device_ptrIdEEEENSA_INSB_IbEEEEZNS1_13binary_searchIS3_S5_SD_SD_SF_NS1_16binary_search_opENS9_16wrapped_functionINS0_4lessIvEEbEEEE10hipError_tPvRmT1_T2_T3_mmT4_T5_P12ihipStream_tbEUlRKdE_EESM_SQ_SR_mSS_SV_bEUlT_E_NS1_11comp_targetILNS1_3genE4ELNS1_11target_archE910ELNS1_3gpuE8ELNS1_3repE0EEENS1_30default_config_static_selectorELNS0_4arch9wavefront6targetE0EEEvSP_
    .private_segment_fixed_size: 0
    .sgpr_count:     0
    .sgpr_spill_count: 0
    .symbol:         _ZN7rocprim17ROCPRIM_400000_NS6detail17trampoline_kernelINS0_14default_configENS1_29binary_search_config_selectorIdbEEZNS1_14transform_implILb0ES3_S5_N6thrust23THRUST_200600_302600_NS6detail15normal_iteratorINS8_10device_ptrIdEEEENSA_INSB_IbEEEEZNS1_13binary_searchIS3_S5_SD_SD_SF_NS1_16binary_search_opENS9_16wrapped_functionINS0_4lessIvEEbEEEE10hipError_tPvRmT1_T2_T3_mmT4_T5_P12ihipStream_tbEUlRKdE_EESM_SQ_SR_mSS_SV_bEUlT_E_NS1_11comp_targetILNS1_3genE4ELNS1_11target_archE910ELNS1_3gpuE8ELNS1_3repE0EEENS1_30default_config_static_selectorELNS0_4arch9wavefront6targetE0EEEvSP_.kd
    .uniform_work_group_size: 1
    .uses_dynamic_stack: false
    .vgpr_count:     0
    .vgpr_spill_count: 0
    .wavefront_size: 32
    .workgroup_processor_mode: 1
  - .args:
      - .offset:         0
        .size:           56
        .value_kind:     by_value
    .group_segment_fixed_size: 0
    .kernarg_segment_align: 8
    .kernarg_segment_size: 56
    .language:       OpenCL C
    .language_version:
      - 2
      - 0
    .max_flat_workgroup_size: 128
    .name:           _ZN7rocprim17ROCPRIM_400000_NS6detail17trampoline_kernelINS0_14default_configENS1_29binary_search_config_selectorIdbEEZNS1_14transform_implILb0ES3_S5_N6thrust23THRUST_200600_302600_NS6detail15normal_iteratorINS8_10device_ptrIdEEEENSA_INSB_IbEEEEZNS1_13binary_searchIS3_S5_SD_SD_SF_NS1_16binary_search_opENS9_16wrapped_functionINS0_4lessIvEEbEEEE10hipError_tPvRmT1_T2_T3_mmT4_T5_P12ihipStream_tbEUlRKdE_EESM_SQ_SR_mSS_SV_bEUlT_E_NS1_11comp_targetILNS1_3genE3ELNS1_11target_archE908ELNS1_3gpuE7ELNS1_3repE0EEENS1_30default_config_static_selectorELNS0_4arch9wavefront6targetE0EEEvSP_
    .private_segment_fixed_size: 0
    .sgpr_count:     0
    .sgpr_spill_count: 0
    .symbol:         _ZN7rocprim17ROCPRIM_400000_NS6detail17trampoline_kernelINS0_14default_configENS1_29binary_search_config_selectorIdbEEZNS1_14transform_implILb0ES3_S5_N6thrust23THRUST_200600_302600_NS6detail15normal_iteratorINS8_10device_ptrIdEEEENSA_INSB_IbEEEEZNS1_13binary_searchIS3_S5_SD_SD_SF_NS1_16binary_search_opENS9_16wrapped_functionINS0_4lessIvEEbEEEE10hipError_tPvRmT1_T2_T3_mmT4_T5_P12ihipStream_tbEUlRKdE_EESM_SQ_SR_mSS_SV_bEUlT_E_NS1_11comp_targetILNS1_3genE3ELNS1_11target_archE908ELNS1_3gpuE7ELNS1_3repE0EEENS1_30default_config_static_selectorELNS0_4arch9wavefront6targetE0EEEvSP_.kd
    .uniform_work_group_size: 1
    .uses_dynamic_stack: false
    .vgpr_count:     0
    .vgpr_spill_count: 0
    .wavefront_size: 32
    .workgroup_processor_mode: 1
  - .args:
      - .offset:         0
        .size:           56
        .value_kind:     by_value
    .group_segment_fixed_size: 0
    .kernarg_segment_align: 8
    .kernarg_segment_size: 56
    .language:       OpenCL C
    .language_version:
      - 2
      - 0
    .max_flat_workgroup_size: 256
    .name:           _ZN7rocprim17ROCPRIM_400000_NS6detail17trampoline_kernelINS0_14default_configENS1_29binary_search_config_selectorIdbEEZNS1_14transform_implILb0ES3_S5_N6thrust23THRUST_200600_302600_NS6detail15normal_iteratorINS8_10device_ptrIdEEEENSA_INSB_IbEEEEZNS1_13binary_searchIS3_S5_SD_SD_SF_NS1_16binary_search_opENS9_16wrapped_functionINS0_4lessIvEEbEEEE10hipError_tPvRmT1_T2_T3_mmT4_T5_P12ihipStream_tbEUlRKdE_EESM_SQ_SR_mSS_SV_bEUlT_E_NS1_11comp_targetILNS1_3genE2ELNS1_11target_archE906ELNS1_3gpuE6ELNS1_3repE0EEENS1_30default_config_static_selectorELNS0_4arch9wavefront6targetE0EEEvSP_
    .private_segment_fixed_size: 0
    .sgpr_count:     0
    .sgpr_spill_count: 0
    .symbol:         _ZN7rocprim17ROCPRIM_400000_NS6detail17trampoline_kernelINS0_14default_configENS1_29binary_search_config_selectorIdbEEZNS1_14transform_implILb0ES3_S5_N6thrust23THRUST_200600_302600_NS6detail15normal_iteratorINS8_10device_ptrIdEEEENSA_INSB_IbEEEEZNS1_13binary_searchIS3_S5_SD_SD_SF_NS1_16binary_search_opENS9_16wrapped_functionINS0_4lessIvEEbEEEE10hipError_tPvRmT1_T2_T3_mmT4_T5_P12ihipStream_tbEUlRKdE_EESM_SQ_SR_mSS_SV_bEUlT_E_NS1_11comp_targetILNS1_3genE2ELNS1_11target_archE906ELNS1_3gpuE6ELNS1_3repE0EEENS1_30default_config_static_selectorELNS0_4arch9wavefront6targetE0EEEvSP_.kd
    .uniform_work_group_size: 1
    .uses_dynamic_stack: false
    .vgpr_count:     0
    .vgpr_spill_count: 0
    .wavefront_size: 32
    .workgroup_processor_mode: 1
  - .args:
      - .offset:         0
        .size:           56
        .value_kind:     by_value
    .group_segment_fixed_size: 0
    .kernarg_segment_align: 8
    .kernarg_segment_size: 56
    .language:       OpenCL C
    .language_version:
      - 2
      - 0
    .max_flat_workgroup_size: 256
    .name:           _ZN7rocprim17ROCPRIM_400000_NS6detail17trampoline_kernelINS0_14default_configENS1_29binary_search_config_selectorIdbEEZNS1_14transform_implILb0ES3_S5_N6thrust23THRUST_200600_302600_NS6detail15normal_iteratorINS8_10device_ptrIdEEEENSA_INSB_IbEEEEZNS1_13binary_searchIS3_S5_SD_SD_SF_NS1_16binary_search_opENS9_16wrapped_functionINS0_4lessIvEEbEEEE10hipError_tPvRmT1_T2_T3_mmT4_T5_P12ihipStream_tbEUlRKdE_EESM_SQ_SR_mSS_SV_bEUlT_E_NS1_11comp_targetILNS1_3genE10ELNS1_11target_archE1201ELNS1_3gpuE5ELNS1_3repE0EEENS1_30default_config_static_selectorELNS0_4arch9wavefront6targetE0EEEvSP_
    .private_segment_fixed_size: 0
    .sgpr_count:     0
    .sgpr_spill_count: 0
    .symbol:         _ZN7rocprim17ROCPRIM_400000_NS6detail17trampoline_kernelINS0_14default_configENS1_29binary_search_config_selectorIdbEEZNS1_14transform_implILb0ES3_S5_N6thrust23THRUST_200600_302600_NS6detail15normal_iteratorINS8_10device_ptrIdEEEENSA_INSB_IbEEEEZNS1_13binary_searchIS3_S5_SD_SD_SF_NS1_16binary_search_opENS9_16wrapped_functionINS0_4lessIvEEbEEEE10hipError_tPvRmT1_T2_T3_mmT4_T5_P12ihipStream_tbEUlRKdE_EESM_SQ_SR_mSS_SV_bEUlT_E_NS1_11comp_targetILNS1_3genE10ELNS1_11target_archE1201ELNS1_3gpuE5ELNS1_3repE0EEENS1_30default_config_static_selectorELNS0_4arch9wavefront6targetE0EEEvSP_.kd
    .uniform_work_group_size: 1
    .uses_dynamic_stack: false
    .vgpr_count:     0
    .vgpr_spill_count: 0
    .wavefront_size: 32
    .workgroup_processor_mode: 1
  - .args:
      - .offset:         0
        .size:           56
        .value_kind:     by_value
    .group_segment_fixed_size: 0
    .kernarg_segment_align: 8
    .kernarg_segment_size: 56
    .language:       OpenCL C
    .language_version:
      - 2
      - 0
    .max_flat_workgroup_size: 128
    .name:           _ZN7rocprim17ROCPRIM_400000_NS6detail17trampoline_kernelINS0_14default_configENS1_29binary_search_config_selectorIdbEEZNS1_14transform_implILb0ES3_S5_N6thrust23THRUST_200600_302600_NS6detail15normal_iteratorINS8_10device_ptrIdEEEENSA_INSB_IbEEEEZNS1_13binary_searchIS3_S5_SD_SD_SF_NS1_16binary_search_opENS9_16wrapped_functionINS0_4lessIvEEbEEEE10hipError_tPvRmT1_T2_T3_mmT4_T5_P12ihipStream_tbEUlRKdE_EESM_SQ_SR_mSS_SV_bEUlT_E_NS1_11comp_targetILNS1_3genE10ELNS1_11target_archE1200ELNS1_3gpuE4ELNS1_3repE0EEENS1_30default_config_static_selectorELNS0_4arch9wavefront6targetE0EEEvSP_
    .private_segment_fixed_size: 0
    .sgpr_count:     0
    .sgpr_spill_count: 0
    .symbol:         _ZN7rocprim17ROCPRIM_400000_NS6detail17trampoline_kernelINS0_14default_configENS1_29binary_search_config_selectorIdbEEZNS1_14transform_implILb0ES3_S5_N6thrust23THRUST_200600_302600_NS6detail15normal_iteratorINS8_10device_ptrIdEEEENSA_INSB_IbEEEEZNS1_13binary_searchIS3_S5_SD_SD_SF_NS1_16binary_search_opENS9_16wrapped_functionINS0_4lessIvEEbEEEE10hipError_tPvRmT1_T2_T3_mmT4_T5_P12ihipStream_tbEUlRKdE_EESM_SQ_SR_mSS_SV_bEUlT_E_NS1_11comp_targetILNS1_3genE10ELNS1_11target_archE1200ELNS1_3gpuE4ELNS1_3repE0EEENS1_30default_config_static_selectorELNS0_4arch9wavefront6targetE0EEEvSP_.kd
    .uniform_work_group_size: 1
    .uses_dynamic_stack: false
    .vgpr_count:     0
    .vgpr_spill_count: 0
    .wavefront_size: 32
    .workgroup_processor_mode: 1
  - .args:
      - .offset:         0
        .size:           56
        .value_kind:     by_value
      - .offset:         56
        .size:           4
        .value_kind:     hidden_block_count_x
      - .offset:         60
        .size:           4
        .value_kind:     hidden_block_count_y
      - .offset:         64
        .size:           4
        .value_kind:     hidden_block_count_z
      - .offset:         68
        .size:           2
        .value_kind:     hidden_group_size_x
      - .offset:         70
        .size:           2
        .value_kind:     hidden_group_size_y
      - .offset:         72
        .size:           2
        .value_kind:     hidden_group_size_z
      - .offset:         74
        .size:           2
        .value_kind:     hidden_remainder_x
      - .offset:         76
        .size:           2
        .value_kind:     hidden_remainder_y
      - .offset:         78
        .size:           2
        .value_kind:     hidden_remainder_z
      - .offset:         96
        .size:           8
        .value_kind:     hidden_global_offset_x
      - .offset:         104
        .size:           8
        .value_kind:     hidden_global_offset_y
      - .offset:         112
        .size:           8
        .value_kind:     hidden_global_offset_z
      - .offset:         120
        .size:           2
        .value_kind:     hidden_grid_dims
    .group_segment_fixed_size: 0
    .kernarg_segment_align: 8
    .kernarg_segment_size: 312
    .language:       OpenCL C
    .language_version:
      - 2
      - 0
    .max_flat_workgroup_size: 64
    .name:           _ZN7rocprim17ROCPRIM_400000_NS6detail17trampoline_kernelINS0_14default_configENS1_29binary_search_config_selectorIdbEEZNS1_14transform_implILb0ES3_S5_N6thrust23THRUST_200600_302600_NS6detail15normal_iteratorINS8_10device_ptrIdEEEENSA_INSB_IbEEEEZNS1_13binary_searchIS3_S5_SD_SD_SF_NS1_16binary_search_opENS9_16wrapped_functionINS0_4lessIvEEbEEEE10hipError_tPvRmT1_T2_T3_mmT4_T5_P12ihipStream_tbEUlRKdE_EESM_SQ_SR_mSS_SV_bEUlT_E_NS1_11comp_targetILNS1_3genE9ELNS1_11target_archE1100ELNS1_3gpuE3ELNS1_3repE0EEENS1_30default_config_static_selectorELNS0_4arch9wavefront6targetE0EEEvSP_
    .private_segment_fixed_size: 0
    .sgpr_count:     30
    .sgpr_spill_count: 0
    .symbol:         _ZN7rocprim17ROCPRIM_400000_NS6detail17trampoline_kernelINS0_14default_configENS1_29binary_search_config_selectorIdbEEZNS1_14transform_implILb0ES3_S5_N6thrust23THRUST_200600_302600_NS6detail15normal_iteratorINS8_10device_ptrIdEEEENSA_INSB_IbEEEEZNS1_13binary_searchIS3_S5_SD_SD_SF_NS1_16binary_search_opENS9_16wrapped_functionINS0_4lessIvEEbEEEE10hipError_tPvRmT1_T2_T3_mmT4_T5_P12ihipStream_tbEUlRKdE_EESM_SQ_SR_mSS_SV_bEUlT_E_NS1_11comp_targetILNS1_3genE9ELNS1_11target_archE1100ELNS1_3gpuE3ELNS1_3repE0EEENS1_30default_config_static_selectorELNS0_4arch9wavefront6targetE0EEEvSP_.kd
    .uniform_work_group_size: 1
    .uses_dynamic_stack: false
    .vgpr_count:     41
    .vgpr_spill_count: 0
    .wavefront_size: 32
    .workgroup_processor_mode: 1
  - .args:
      - .offset:         0
        .size:           56
        .value_kind:     by_value
    .group_segment_fixed_size: 0
    .kernarg_segment_align: 8
    .kernarg_segment_size: 56
    .language:       OpenCL C
    .language_version:
      - 2
      - 0
    .max_flat_workgroup_size: 256
    .name:           _ZN7rocprim17ROCPRIM_400000_NS6detail17trampoline_kernelINS0_14default_configENS1_29binary_search_config_selectorIdbEEZNS1_14transform_implILb0ES3_S5_N6thrust23THRUST_200600_302600_NS6detail15normal_iteratorINS8_10device_ptrIdEEEENSA_INSB_IbEEEEZNS1_13binary_searchIS3_S5_SD_SD_SF_NS1_16binary_search_opENS9_16wrapped_functionINS0_4lessIvEEbEEEE10hipError_tPvRmT1_T2_T3_mmT4_T5_P12ihipStream_tbEUlRKdE_EESM_SQ_SR_mSS_SV_bEUlT_E_NS1_11comp_targetILNS1_3genE8ELNS1_11target_archE1030ELNS1_3gpuE2ELNS1_3repE0EEENS1_30default_config_static_selectorELNS0_4arch9wavefront6targetE0EEEvSP_
    .private_segment_fixed_size: 0
    .sgpr_count:     0
    .sgpr_spill_count: 0
    .symbol:         _ZN7rocprim17ROCPRIM_400000_NS6detail17trampoline_kernelINS0_14default_configENS1_29binary_search_config_selectorIdbEEZNS1_14transform_implILb0ES3_S5_N6thrust23THRUST_200600_302600_NS6detail15normal_iteratorINS8_10device_ptrIdEEEENSA_INSB_IbEEEEZNS1_13binary_searchIS3_S5_SD_SD_SF_NS1_16binary_search_opENS9_16wrapped_functionINS0_4lessIvEEbEEEE10hipError_tPvRmT1_T2_T3_mmT4_T5_P12ihipStream_tbEUlRKdE_EESM_SQ_SR_mSS_SV_bEUlT_E_NS1_11comp_targetILNS1_3genE8ELNS1_11target_archE1030ELNS1_3gpuE2ELNS1_3repE0EEENS1_30default_config_static_selectorELNS0_4arch9wavefront6targetE0EEEvSP_.kd
    .uniform_work_group_size: 1
    .uses_dynamic_stack: false
    .vgpr_count:     0
    .vgpr_spill_count: 0
    .wavefront_size: 32
    .workgroup_processor_mode: 1
  - .args:
      - .offset:         0
        .size:           56
        .value_kind:     by_value
    .group_segment_fixed_size: 0
    .kernarg_segment_align: 8
    .kernarg_segment_size: 56
    .language:       OpenCL C
    .language_version:
      - 2
      - 0
    .max_flat_workgroup_size: 256
    .name:           _ZN7rocprim17ROCPRIM_400000_NS6detail17trampoline_kernelINS0_14default_configENS1_29binary_search_config_selectorIdiEEZNS1_14transform_implILb0ES3_S5_N6thrust23THRUST_200600_302600_NS6detail15normal_iteratorINS8_10device_ptrIdEEEENSA_INSB_IiEEEEZNS1_13binary_searchIS3_S5_SD_SD_SF_NS1_16binary_search_opENS9_16wrapped_functionINS0_4lessIvEEbEEEE10hipError_tPvRmT1_T2_T3_mmT4_T5_P12ihipStream_tbEUlRKdE_EESM_SQ_SR_mSS_SV_bEUlT_E_NS1_11comp_targetILNS1_3genE0ELNS1_11target_archE4294967295ELNS1_3gpuE0ELNS1_3repE0EEENS1_30default_config_static_selectorELNS0_4arch9wavefront6targetE0EEEvSP_
    .private_segment_fixed_size: 0
    .sgpr_count:     0
    .sgpr_spill_count: 0
    .symbol:         _ZN7rocprim17ROCPRIM_400000_NS6detail17trampoline_kernelINS0_14default_configENS1_29binary_search_config_selectorIdiEEZNS1_14transform_implILb0ES3_S5_N6thrust23THRUST_200600_302600_NS6detail15normal_iteratorINS8_10device_ptrIdEEEENSA_INSB_IiEEEEZNS1_13binary_searchIS3_S5_SD_SD_SF_NS1_16binary_search_opENS9_16wrapped_functionINS0_4lessIvEEbEEEE10hipError_tPvRmT1_T2_T3_mmT4_T5_P12ihipStream_tbEUlRKdE_EESM_SQ_SR_mSS_SV_bEUlT_E_NS1_11comp_targetILNS1_3genE0ELNS1_11target_archE4294967295ELNS1_3gpuE0ELNS1_3repE0EEENS1_30default_config_static_selectorELNS0_4arch9wavefront6targetE0EEEvSP_.kd
    .uniform_work_group_size: 1
    .uses_dynamic_stack: false
    .vgpr_count:     0
    .vgpr_spill_count: 0
    .wavefront_size: 32
    .workgroup_processor_mode: 1
  - .args:
      - .offset:         0
        .size:           56
        .value_kind:     by_value
    .group_segment_fixed_size: 0
    .kernarg_segment_align: 8
    .kernarg_segment_size: 56
    .language:       OpenCL C
    .language_version:
      - 2
      - 0
    .max_flat_workgroup_size: 128
    .name:           _ZN7rocprim17ROCPRIM_400000_NS6detail17trampoline_kernelINS0_14default_configENS1_29binary_search_config_selectorIdiEEZNS1_14transform_implILb0ES3_S5_N6thrust23THRUST_200600_302600_NS6detail15normal_iteratorINS8_10device_ptrIdEEEENSA_INSB_IiEEEEZNS1_13binary_searchIS3_S5_SD_SD_SF_NS1_16binary_search_opENS9_16wrapped_functionINS0_4lessIvEEbEEEE10hipError_tPvRmT1_T2_T3_mmT4_T5_P12ihipStream_tbEUlRKdE_EESM_SQ_SR_mSS_SV_bEUlT_E_NS1_11comp_targetILNS1_3genE5ELNS1_11target_archE942ELNS1_3gpuE9ELNS1_3repE0EEENS1_30default_config_static_selectorELNS0_4arch9wavefront6targetE0EEEvSP_
    .private_segment_fixed_size: 0
    .sgpr_count:     0
    .sgpr_spill_count: 0
    .symbol:         _ZN7rocprim17ROCPRIM_400000_NS6detail17trampoline_kernelINS0_14default_configENS1_29binary_search_config_selectorIdiEEZNS1_14transform_implILb0ES3_S5_N6thrust23THRUST_200600_302600_NS6detail15normal_iteratorINS8_10device_ptrIdEEEENSA_INSB_IiEEEEZNS1_13binary_searchIS3_S5_SD_SD_SF_NS1_16binary_search_opENS9_16wrapped_functionINS0_4lessIvEEbEEEE10hipError_tPvRmT1_T2_T3_mmT4_T5_P12ihipStream_tbEUlRKdE_EESM_SQ_SR_mSS_SV_bEUlT_E_NS1_11comp_targetILNS1_3genE5ELNS1_11target_archE942ELNS1_3gpuE9ELNS1_3repE0EEENS1_30default_config_static_selectorELNS0_4arch9wavefront6targetE0EEEvSP_.kd
    .uniform_work_group_size: 1
    .uses_dynamic_stack: false
    .vgpr_count:     0
    .vgpr_spill_count: 0
    .wavefront_size: 32
    .workgroup_processor_mode: 1
  - .args:
      - .offset:         0
        .size:           56
        .value_kind:     by_value
    .group_segment_fixed_size: 0
    .kernarg_segment_align: 8
    .kernarg_segment_size: 56
    .language:       OpenCL C
    .language_version:
      - 2
      - 0
    .max_flat_workgroup_size: 64
    .name:           _ZN7rocprim17ROCPRIM_400000_NS6detail17trampoline_kernelINS0_14default_configENS1_29binary_search_config_selectorIdiEEZNS1_14transform_implILb0ES3_S5_N6thrust23THRUST_200600_302600_NS6detail15normal_iteratorINS8_10device_ptrIdEEEENSA_INSB_IiEEEEZNS1_13binary_searchIS3_S5_SD_SD_SF_NS1_16binary_search_opENS9_16wrapped_functionINS0_4lessIvEEbEEEE10hipError_tPvRmT1_T2_T3_mmT4_T5_P12ihipStream_tbEUlRKdE_EESM_SQ_SR_mSS_SV_bEUlT_E_NS1_11comp_targetILNS1_3genE4ELNS1_11target_archE910ELNS1_3gpuE8ELNS1_3repE0EEENS1_30default_config_static_selectorELNS0_4arch9wavefront6targetE0EEEvSP_
    .private_segment_fixed_size: 0
    .sgpr_count:     0
    .sgpr_spill_count: 0
    .symbol:         _ZN7rocprim17ROCPRIM_400000_NS6detail17trampoline_kernelINS0_14default_configENS1_29binary_search_config_selectorIdiEEZNS1_14transform_implILb0ES3_S5_N6thrust23THRUST_200600_302600_NS6detail15normal_iteratorINS8_10device_ptrIdEEEENSA_INSB_IiEEEEZNS1_13binary_searchIS3_S5_SD_SD_SF_NS1_16binary_search_opENS9_16wrapped_functionINS0_4lessIvEEbEEEE10hipError_tPvRmT1_T2_T3_mmT4_T5_P12ihipStream_tbEUlRKdE_EESM_SQ_SR_mSS_SV_bEUlT_E_NS1_11comp_targetILNS1_3genE4ELNS1_11target_archE910ELNS1_3gpuE8ELNS1_3repE0EEENS1_30default_config_static_selectorELNS0_4arch9wavefront6targetE0EEEvSP_.kd
    .uniform_work_group_size: 1
    .uses_dynamic_stack: false
    .vgpr_count:     0
    .vgpr_spill_count: 0
    .wavefront_size: 32
    .workgroup_processor_mode: 1
  - .args:
      - .offset:         0
        .size:           56
        .value_kind:     by_value
    .group_segment_fixed_size: 0
    .kernarg_segment_align: 8
    .kernarg_segment_size: 56
    .language:       OpenCL C
    .language_version:
      - 2
      - 0
    .max_flat_workgroup_size: 256
    .name:           _ZN7rocprim17ROCPRIM_400000_NS6detail17trampoline_kernelINS0_14default_configENS1_29binary_search_config_selectorIdiEEZNS1_14transform_implILb0ES3_S5_N6thrust23THRUST_200600_302600_NS6detail15normal_iteratorINS8_10device_ptrIdEEEENSA_INSB_IiEEEEZNS1_13binary_searchIS3_S5_SD_SD_SF_NS1_16binary_search_opENS9_16wrapped_functionINS0_4lessIvEEbEEEE10hipError_tPvRmT1_T2_T3_mmT4_T5_P12ihipStream_tbEUlRKdE_EESM_SQ_SR_mSS_SV_bEUlT_E_NS1_11comp_targetILNS1_3genE3ELNS1_11target_archE908ELNS1_3gpuE7ELNS1_3repE0EEENS1_30default_config_static_selectorELNS0_4arch9wavefront6targetE0EEEvSP_
    .private_segment_fixed_size: 0
    .sgpr_count:     0
    .sgpr_spill_count: 0
    .symbol:         _ZN7rocprim17ROCPRIM_400000_NS6detail17trampoline_kernelINS0_14default_configENS1_29binary_search_config_selectorIdiEEZNS1_14transform_implILb0ES3_S5_N6thrust23THRUST_200600_302600_NS6detail15normal_iteratorINS8_10device_ptrIdEEEENSA_INSB_IiEEEEZNS1_13binary_searchIS3_S5_SD_SD_SF_NS1_16binary_search_opENS9_16wrapped_functionINS0_4lessIvEEbEEEE10hipError_tPvRmT1_T2_T3_mmT4_T5_P12ihipStream_tbEUlRKdE_EESM_SQ_SR_mSS_SV_bEUlT_E_NS1_11comp_targetILNS1_3genE3ELNS1_11target_archE908ELNS1_3gpuE7ELNS1_3repE0EEENS1_30default_config_static_selectorELNS0_4arch9wavefront6targetE0EEEvSP_.kd
    .uniform_work_group_size: 1
    .uses_dynamic_stack: false
    .vgpr_count:     0
    .vgpr_spill_count: 0
    .wavefront_size: 32
    .workgroup_processor_mode: 1
  - .args:
      - .offset:         0
        .size:           56
        .value_kind:     by_value
    .group_segment_fixed_size: 0
    .kernarg_segment_align: 8
    .kernarg_segment_size: 56
    .language:       OpenCL C
    .language_version:
      - 2
      - 0
    .max_flat_workgroup_size: 256
    .name:           _ZN7rocprim17ROCPRIM_400000_NS6detail17trampoline_kernelINS0_14default_configENS1_29binary_search_config_selectorIdiEEZNS1_14transform_implILb0ES3_S5_N6thrust23THRUST_200600_302600_NS6detail15normal_iteratorINS8_10device_ptrIdEEEENSA_INSB_IiEEEEZNS1_13binary_searchIS3_S5_SD_SD_SF_NS1_16binary_search_opENS9_16wrapped_functionINS0_4lessIvEEbEEEE10hipError_tPvRmT1_T2_T3_mmT4_T5_P12ihipStream_tbEUlRKdE_EESM_SQ_SR_mSS_SV_bEUlT_E_NS1_11comp_targetILNS1_3genE2ELNS1_11target_archE906ELNS1_3gpuE6ELNS1_3repE0EEENS1_30default_config_static_selectorELNS0_4arch9wavefront6targetE0EEEvSP_
    .private_segment_fixed_size: 0
    .sgpr_count:     0
    .sgpr_spill_count: 0
    .symbol:         _ZN7rocprim17ROCPRIM_400000_NS6detail17trampoline_kernelINS0_14default_configENS1_29binary_search_config_selectorIdiEEZNS1_14transform_implILb0ES3_S5_N6thrust23THRUST_200600_302600_NS6detail15normal_iteratorINS8_10device_ptrIdEEEENSA_INSB_IiEEEEZNS1_13binary_searchIS3_S5_SD_SD_SF_NS1_16binary_search_opENS9_16wrapped_functionINS0_4lessIvEEbEEEE10hipError_tPvRmT1_T2_T3_mmT4_T5_P12ihipStream_tbEUlRKdE_EESM_SQ_SR_mSS_SV_bEUlT_E_NS1_11comp_targetILNS1_3genE2ELNS1_11target_archE906ELNS1_3gpuE6ELNS1_3repE0EEENS1_30default_config_static_selectorELNS0_4arch9wavefront6targetE0EEEvSP_.kd
    .uniform_work_group_size: 1
    .uses_dynamic_stack: false
    .vgpr_count:     0
    .vgpr_spill_count: 0
    .wavefront_size: 32
    .workgroup_processor_mode: 1
  - .args:
      - .offset:         0
        .size:           56
        .value_kind:     by_value
    .group_segment_fixed_size: 0
    .kernarg_segment_align: 8
    .kernarg_segment_size: 56
    .language:       OpenCL C
    .language_version:
      - 2
      - 0
    .max_flat_workgroup_size: 128
    .name:           _ZN7rocprim17ROCPRIM_400000_NS6detail17trampoline_kernelINS0_14default_configENS1_29binary_search_config_selectorIdiEEZNS1_14transform_implILb0ES3_S5_N6thrust23THRUST_200600_302600_NS6detail15normal_iteratorINS8_10device_ptrIdEEEENSA_INSB_IiEEEEZNS1_13binary_searchIS3_S5_SD_SD_SF_NS1_16binary_search_opENS9_16wrapped_functionINS0_4lessIvEEbEEEE10hipError_tPvRmT1_T2_T3_mmT4_T5_P12ihipStream_tbEUlRKdE_EESM_SQ_SR_mSS_SV_bEUlT_E_NS1_11comp_targetILNS1_3genE10ELNS1_11target_archE1201ELNS1_3gpuE5ELNS1_3repE0EEENS1_30default_config_static_selectorELNS0_4arch9wavefront6targetE0EEEvSP_
    .private_segment_fixed_size: 0
    .sgpr_count:     0
    .sgpr_spill_count: 0
    .symbol:         _ZN7rocprim17ROCPRIM_400000_NS6detail17trampoline_kernelINS0_14default_configENS1_29binary_search_config_selectorIdiEEZNS1_14transform_implILb0ES3_S5_N6thrust23THRUST_200600_302600_NS6detail15normal_iteratorINS8_10device_ptrIdEEEENSA_INSB_IiEEEEZNS1_13binary_searchIS3_S5_SD_SD_SF_NS1_16binary_search_opENS9_16wrapped_functionINS0_4lessIvEEbEEEE10hipError_tPvRmT1_T2_T3_mmT4_T5_P12ihipStream_tbEUlRKdE_EESM_SQ_SR_mSS_SV_bEUlT_E_NS1_11comp_targetILNS1_3genE10ELNS1_11target_archE1201ELNS1_3gpuE5ELNS1_3repE0EEENS1_30default_config_static_selectorELNS0_4arch9wavefront6targetE0EEEvSP_.kd
    .uniform_work_group_size: 1
    .uses_dynamic_stack: false
    .vgpr_count:     0
    .vgpr_spill_count: 0
    .wavefront_size: 32
    .workgroup_processor_mode: 1
  - .args:
      - .offset:         0
        .size:           56
        .value_kind:     by_value
    .group_segment_fixed_size: 0
    .kernarg_segment_align: 8
    .kernarg_segment_size: 56
    .language:       OpenCL C
    .language_version:
      - 2
      - 0
    .max_flat_workgroup_size: 128
    .name:           _ZN7rocprim17ROCPRIM_400000_NS6detail17trampoline_kernelINS0_14default_configENS1_29binary_search_config_selectorIdiEEZNS1_14transform_implILb0ES3_S5_N6thrust23THRUST_200600_302600_NS6detail15normal_iteratorINS8_10device_ptrIdEEEENSA_INSB_IiEEEEZNS1_13binary_searchIS3_S5_SD_SD_SF_NS1_16binary_search_opENS9_16wrapped_functionINS0_4lessIvEEbEEEE10hipError_tPvRmT1_T2_T3_mmT4_T5_P12ihipStream_tbEUlRKdE_EESM_SQ_SR_mSS_SV_bEUlT_E_NS1_11comp_targetILNS1_3genE10ELNS1_11target_archE1200ELNS1_3gpuE4ELNS1_3repE0EEENS1_30default_config_static_selectorELNS0_4arch9wavefront6targetE0EEEvSP_
    .private_segment_fixed_size: 0
    .sgpr_count:     0
    .sgpr_spill_count: 0
    .symbol:         _ZN7rocprim17ROCPRIM_400000_NS6detail17trampoline_kernelINS0_14default_configENS1_29binary_search_config_selectorIdiEEZNS1_14transform_implILb0ES3_S5_N6thrust23THRUST_200600_302600_NS6detail15normal_iteratorINS8_10device_ptrIdEEEENSA_INSB_IiEEEEZNS1_13binary_searchIS3_S5_SD_SD_SF_NS1_16binary_search_opENS9_16wrapped_functionINS0_4lessIvEEbEEEE10hipError_tPvRmT1_T2_T3_mmT4_T5_P12ihipStream_tbEUlRKdE_EESM_SQ_SR_mSS_SV_bEUlT_E_NS1_11comp_targetILNS1_3genE10ELNS1_11target_archE1200ELNS1_3gpuE4ELNS1_3repE0EEENS1_30default_config_static_selectorELNS0_4arch9wavefront6targetE0EEEvSP_.kd
    .uniform_work_group_size: 1
    .uses_dynamic_stack: false
    .vgpr_count:     0
    .vgpr_spill_count: 0
    .wavefront_size: 32
    .workgroup_processor_mode: 1
  - .args:
      - .offset:         0
        .size:           56
        .value_kind:     by_value
      - .offset:         56
        .size:           4
        .value_kind:     hidden_block_count_x
      - .offset:         60
        .size:           4
        .value_kind:     hidden_block_count_y
      - .offset:         64
        .size:           4
        .value_kind:     hidden_block_count_z
      - .offset:         68
        .size:           2
        .value_kind:     hidden_group_size_x
      - .offset:         70
        .size:           2
        .value_kind:     hidden_group_size_y
      - .offset:         72
        .size:           2
        .value_kind:     hidden_group_size_z
      - .offset:         74
        .size:           2
        .value_kind:     hidden_remainder_x
      - .offset:         76
        .size:           2
        .value_kind:     hidden_remainder_y
      - .offset:         78
        .size:           2
        .value_kind:     hidden_remainder_z
      - .offset:         96
        .size:           8
        .value_kind:     hidden_global_offset_x
      - .offset:         104
        .size:           8
        .value_kind:     hidden_global_offset_y
      - .offset:         112
        .size:           8
        .value_kind:     hidden_global_offset_z
      - .offset:         120
        .size:           2
        .value_kind:     hidden_grid_dims
    .group_segment_fixed_size: 0
    .kernarg_segment_align: 8
    .kernarg_segment_size: 312
    .language:       OpenCL C
    .language_version:
      - 2
      - 0
    .max_flat_workgroup_size: 256
    .name:           _ZN7rocprim17ROCPRIM_400000_NS6detail17trampoline_kernelINS0_14default_configENS1_29binary_search_config_selectorIdiEEZNS1_14transform_implILb0ES3_S5_N6thrust23THRUST_200600_302600_NS6detail15normal_iteratorINS8_10device_ptrIdEEEENSA_INSB_IiEEEEZNS1_13binary_searchIS3_S5_SD_SD_SF_NS1_16binary_search_opENS9_16wrapped_functionINS0_4lessIvEEbEEEE10hipError_tPvRmT1_T2_T3_mmT4_T5_P12ihipStream_tbEUlRKdE_EESM_SQ_SR_mSS_SV_bEUlT_E_NS1_11comp_targetILNS1_3genE9ELNS1_11target_archE1100ELNS1_3gpuE3ELNS1_3repE0EEENS1_30default_config_static_selectorELNS0_4arch9wavefront6targetE0EEEvSP_
    .private_segment_fixed_size: 0
    .sgpr_count:     30
    .sgpr_spill_count: 0
    .symbol:         _ZN7rocprim17ROCPRIM_400000_NS6detail17trampoline_kernelINS0_14default_configENS1_29binary_search_config_selectorIdiEEZNS1_14transform_implILb0ES3_S5_N6thrust23THRUST_200600_302600_NS6detail15normal_iteratorINS8_10device_ptrIdEEEENSA_INSB_IiEEEEZNS1_13binary_searchIS3_S5_SD_SD_SF_NS1_16binary_search_opENS9_16wrapped_functionINS0_4lessIvEEbEEEE10hipError_tPvRmT1_T2_T3_mmT4_T5_P12ihipStream_tbEUlRKdE_EESM_SQ_SR_mSS_SV_bEUlT_E_NS1_11comp_targetILNS1_3genE9ELNS1_11target_archE1100ELNS1_3gpuE3ELNS1_3repE0EEENS1_30default_config_static_selectorELNS0_4arch9wavefront6targetE0EEEvSP_.kd
    .uniform_work_group_size: 1
    .uses_dynamic_stack: false
    .vgpr_count:     41
    .vgpr_spill_count: 0
    .wavefront_size: 32
    .workgroup_processor_mode: 1
  - .args:
      - .offset:         0
        .size:           56
        .value_kind:     by_value
    .group_segment_fixed_size: 0
    .kernarg_segment_align: 8
    .kernarg_segment_size: 56
    .language:       OpenCL C
    .language_version:
      - 2
      - 0
    .max_flat_workgroup_size: 256
    .name:           _ZN7rocprim17ROCPRIM_400000_NS6detail17trampoline_kernelINS0_14default_configENS1_29binary_search_config_selectorIdiEEZNS1_14transform_implILb0ES3_S5_N6thrust23THRUST_200600_302600_NS6detail15normal_iteratorINS8_10device_ptrIdEEEENSA_INSB_IiEEEEZNS1_13binary_searchIS3_S5_SD_SD_SF_NS1_16binary_search_opENS9_16wrapped_functionINS0_4lessIvEEbEEEE10hipError_tPvRmT1_T2_T3_mmT4_T5_P12ihipStream_tbEUlRKdE_EESM_SQ_SR_mSS_SV_bEUlT_E_NS1_11comp_targetILNS1_3genE8ELNS1_11target_archE1030ELNS1_3gpuE2ELNS1_3repE0EEENS1_30default_config_static_selectorELNS0_4arch9wavefront6targetE0EEEvSP_
    .private_segment_fixed_size: 0
    .sgpr_count:     0
    .sgpr_spill_count: 0
    .symbol:         _ZN7rocprim17ROCPRIM_400000_NS6detail17trampoline_kernelINS0_14default_configENS1_29binary_search_config_selectorIdiEEZNS1_14transform_implILb0ES3_S5_N6thrust23THRUST_200600_302600_NS6detail15normal_iteratorINS8_10device_ptrIdEEEENSA_INSB_IiEEEEZNS1_13binary_searchIS3_S5_SD_SD_SF_NS1_16binary_search_opENS9_16wrapped_functionINS0_4lessIvEEbEEEE10hipError_tPvRmT1_T2_T3_mmT4_T5_P12ihipStream_tbEUlRKdE_EESM_SQ_SR_mSS_SV_bEUlT_E_NS1_11comp_targetILNS1_3genE8ELNS1_11target_archE1030ELNS1_3gpuE2ELNS1_3repE0EEENS1_30default_config_static_selectorELNS0_4arch9wavefront6targetE0EEEvSP_.kd
    .uniform_work_group_size: 1
    .uses_dynamic_stack: false
    .vgpr_count:     0
    .vgpr_spill_count: 0
    .wavefront_size: 32
    .workgroup_processor_mode: 1
  - .args:
      - .offset:         0
        .size:           56
        .value_kind:     by_value
    .group_segment_fixed_size: 0
    .kernarg_segment_align: 8
    .kernarg_segment_size: 56
    .language:       OpenCL C
    .language_version:
      - 2
      - 0
    .max_flat_workgroup_size: 256
    .name:           _ZN7rocprim17ROCPRIM_400000_NS6detail17trampoline_kernelINS0_14default_configENS1_29binary_search_config_selectorIfbEEZNS1_14transform_implILb0ES3_S5_N6thrust23THRUST_200600_302600_NS6detail15normal_iteratorINS8_10device_ptrIfEEEENSA_INSB_IbEEEEZNS1_13binary_searchIS3_S5_SD_SD_SF_NS1_16binary_search_opENS9_16wrapped_functionINS0_4lessIvEEbEEEE10hipError_tPvRmT1_T2_T3_mmT4_T5_P12ihipStream_tbEUlRKfE_EESM_SQ_SR_mSS_SV_bEUlT_E_NS1_11comp_targetILNS1_3genE0ELNS1_11target_archE4294967295ELNS1_3gpuE0ELNS1_3repE0EEENS1_30default_config_static_selectorELNS0_4arch9wavefront6targetE0EEEvSP_
    .private_segment_fixed_size: 0
    .sgpr_count:     0
    .sgpr_spill_count: 0
    .symbol:         _ZN7rocprim17ROCPRIM_400000_NS6detail17trampoline_kernelINS0_14default_configENS1_29binary_search_config_selectorIfbEEZNS1_14transform_implILb0ES3_S5_N6thrust23THRUST_200600_302600_NS6detail15normal_iteratorINS8_10device_ptrIfEEEENSA_INSB_IbEEEEZNS1_13binary_searchIS3_S5_SD_SD_SF_NS1_16binary_search_opENS9_16wrapped_functionINS0_4lessIvEEbEEEE10hipError_tPvRmT1_T2_T3_mmT4_T5_P12ihipStream_tbEUlRKfE_EESM_SQ_SR_mSS_SV_bEUlT_E_NS1_11comp_targetILNS1_3genE0ELNS1_11target_archE4294967295ELNS1_3gpuE0ELNS1_3repE0EEENS1_30default_config_static_selectorELNS0_4arch9wavefront6targetE0EEEvSP_.kd
    .uniform_work_group_size: 1
    .uses_dynamic_stack: false
    .vgpr_count:     0
    .vgpr_spill_count: 0
    .wavefront_size: 32
    .workgroup_processor_mode: 1
  - .args:
      - .offset:         0
        .size:           56
        .value_kind:     by_value
    .group_segment_fixed_size: 0
    .kernarg_segment_align: 8
    .kernarg_segment_size: 56
    .language:       OpenCL C
    .language_version:
      - 2
      - 0
    .max_flat_workgroup_size: 128
    .name:           _ZN7rocprim17ROCPRIM_400000_NS6detail17trampoline_kernelINS0_14default_configENS1_29binary_search_config_selectorIfbEEZNS1_14transform_implILb0ES3_S5_N6thrust23THRUST_200600_302600_NS6detail15normal_iteratorINS8_10device_ptrIfEEEENSA_INSB_IbEEEEZNS1_13binary_searchIS3_S5_SD_SD_SF_NS1_16binary_search_opENS9_16wrapped_functionINS0_4lessIvEEbEEEE10hipError_tPvRmT1_T2_T3_mmT4_T5_P12ihipStream_tbEUlRKfE_EESM_SQ_SR_mSS_SV_bEUlT_E_NS1_11comp_targetILNS1_3genE5ELNS1_11target_archE942ELNS1_3gpuE9ELNS1_3repE0EEENS1_30default_config_static_selectorELNS0_4arch9wavefront6targetE0EEEvSP_
    .private_segment_fixed_size: 0
    .sgpr_count:     0
    .sgpr_spill_count: 0
    .symbol:         _ZN7rocprim17ROCPRIM_400000_NS6detail17trampoline_kernelINS0_14default_configENS1_29binary_search_config_selectorIfbEEZNS1_14transform_implILb0ES3_S5_N6thrust23THRUST_200600_302600_NS6detail15normal_iteratorINS8_10device_ptrIfEEEENSA_INSB_IbEEEEZNS1_13binary_searchIS3_S5_SD_SD_SF_NS1_16binary_search_opENS9_16wrapped_functionINS0_4lessIvEEbEEEE10hipError_tPvRmT1_T2_T3_mmT4_T5_P12ihipStream_tbEUlRKfE_EESM_SQ_SR_mSS_SV_bEUlT_E_NS1_11comp_targetILNS1_3genE5ELNS1_11target_archE942ELNS1_3gpuE9ELNS1_3repE0EEENS1_30default_config_static_selectorELNS0_4arch9wavefront6targetE0EEEvSP_.kd
    .uniform_work_group_size: 1
    .uses_dynamic_stack: false
    .vgpr_count:     0
    .vgpr_spill_count: 0
    .wavefront_size: 32
    .workgroup_processor_mode: 1
  - .args:
      - .offset:         0
        .size:           56
        .value_kind:     by_value
    .group_segment_fixed_size: 0
    .kernarg_segment_align: 8
    .kernarg_segment_size: 56
    .language:       OpenCL C
    .language_version:
      - 2
      - 0
    .max_flat_workgroup_size: 256
    .name:           _ZN7rocprim17ROCPRIM_400000_NS6detail17trampoline_kernelINS0_14default_configENS1_29binary_search_config_selectorIfbEEZNS1_14transform_implILb0ES3_S5_N6thrust23THRUST_200600_302600_NS6detail15normal_iteratorINS8_10device_ptrIfEEEENSA_INSB_IbEEEEZNS1_13binary_searchIS3_S5_SD_SD_SF_NS1_16binary_search_opENS9_16wrapped_functionINS0_4lessIvEEbEEEE10hipError_tPvRmT1_T2_T3_mmT4_T5_P12ihipStream_tbEUlRKfE_EESM_SQ_SR_mSS_SV_bEUlT_E_NS1_11comp_targetILNS1_3genE4ELNS1_11target_archE910ELNS1_3gpuE8ELNS1_3repE0EEENS1_30default_config_static_selectorELNS0_4arch9wavefront6targetE0EEEvSP_
    .private_segment_fixed_size: 0
    .sgpr_count:     0
    .sgpr_spill_count: 0
    .symbol:         _ZN7rocprim17ROCPRIM_400000_NS6detail17trampoline_kernelINS0_14default_configENS1_29binary_search_config_selectorIfbEEZNS1_14transform_implILb0ES3_S5_N6thrust23THRUST_200600_302600_NS6detail15normal_iteratorINS8_10device_ptrIfEEEENSA_INSB_IbEEEEZNS1_13binary_searchIS3_S5_SD_SD_SF_NS1_16binary_search_opENS9_16wrapped_functionINS0_4lessIvEEbEEEE10hipError_tPvRmT1_T2_T3_mmT4_T5_P12ihipStream_tbEUlRKfE_EESM_SQ_SR_mSS_SV_bEUlT_E_NS1_11comp_targetILNS1_3genE4ELNS1_11target_archE910ELNS1_3gpuE8ELNS1_3repE0EEENS1_30default_config_static_selectorELNS0_4arch9wavefront6targetE0EEEvSP_.kd
    .uniform_work_group_size: 1
    .uses_dynamic_stack: false
    .vgpr_count:     0
    .vgpr_spill_count: 0
    .wavefront_size: 32
    .workgroup_processor_mode: 1
  - .args:
      - .offset:         0
        .size:           56
        .value_kind:     by_value
    .group_segment_fixed_size: 0
    .kernarg_segment_align: 8
    .kernarg_segment_size: 56
    .language:       OpenCL C
    .language_version:
      - 2
      - 0
    .max_flat_workgroup_size: 256
    .name:           _ZN7rocprim17ROCPRIM_400000_NS6detail17trampoline_kernelINS0_14default_configENS1_29binary_search_config_selectorIfbEEZNS1_14transform_implILb0ES3_S5_N6thrust23THRUST_200600_302600_NS6detail15normal_iteratorINS8_10device_ptrIfEEEENSA_INSB_IbEEEEZNS1_13binary_searchIS3_S5_SD_SD_SF_NS1_16binary_search_opENS9_16wrapped_functionINS0_4lessIvEEbEEEE10hipError_tPvRmT1_T2_T3_mmT4_T5_P12ihipStream_tbEUlRKfE_EESM_SQ_SR_mSS_SV_bEUlT_E_NS1_11comp_targetILNS1_3genE3ELNS1_11target_archE908ELNS1_3gpuE7ELNS1_3repE0EEENS1_30default_config_static_selectorELNS0_4arch9wavefront6targetE0EEEvSP_
    .private_segment_fixed_size: 0
    .sgpr_count:     0
    .sgpr_spill_count: 0
    .symbol:         _ZN7rocprim17ROCPRIM_400000_NS6detail17trampoline_kernelINS0_14default_configENS1_29binary_search_config_selectorIfbEEZNS1_14transform_implILb0ES3_S5_N6thrust23THRUST_200600_302600_NS6detail15normal_iteratorINS8_10device_ptrIfEEEENSA_INSB_IbEEEEZNS1_13binary_searchIS3_S5_SD_SD_SF_NS1_16binary_search_opENS9_16wrapped_functionINS0_4lessIvEEbEEEE10hipError_tPvRmT1_T2_T3_mmT4_T5_P12ihipStream_tbEUlRKfE_EESM_SQ_SR_mSS_SV_bEUlT_E_NS1_11comp_targetILNS1_3genE3ELNS1_11target_archE908ELNS1_3gpuE7ELNS1_3repE0EEENS1_30default_config_static_selectorELNS0_4arch9wavefront6targetE0EEEvSP_.kd
    .uniform_work_group_size: 1
    .uses_dynamic_stack: false
    .vgpr_count:     0
    .vgpr_spill_count: 0
    .wavefront_size: 32
    .workgroup_processor_mode: 1
  - .args:
      - .offset:         0
        .size:           56
        .value_kind:     by_value
    .group_segment_fixed_size: 0
    .kernarg_segment_align: 8
    .kernarg_segment_size: 56
    .language:       OpenCL C
    .language_version:
      - 2
      - 0
    .max_flat_workgroup_size: 256
    .name:           _ZN7rocprim17ROCPRIM_400000_NS6detail17trampoline_kernelINS0_14default_configENS1_29binary_search_config_selectorIfbEEZNS1_14transform_implILb0ES3_S5_N6thrust23THRUST_200600_302600_NS6detail15normal_iteratorINS8_10device_ptrIfEEEENSA_INSB_IbEEEEZNS1_13binary_searchIS3_S5_SD_SD_SF_NS1_16binary_search_opENS9_16wrapped_functionINS0_4lessIvEEbEEEE10hipError_tPvRmT1_T2_T3_mmT4_T5_P12ihipStream_tbEUlRKfE_EESM_SQ_SR_mSS_SV_bEUlT_E_NS1_11comp_targetILNS1_3genE2ELNS1_11target_archE906ELNS1_3gpuE6ELNS1_3repE0EEENS1_30default_config_static_selectorELNS0_4arch9wavefront6targetE0EEEvSP_
    .private_segment_fixed_size: 0
    .sgpr_count:     0
    .sgpr_spill_count: 0
    .symbol:         _ZN7rocprim17ROCPRIM_400000_NS6detail17trampoline_kernelINS0_14default_configENS1_29binary_search_config_selectorIfbEEZNS1_14transform_implILb0ES3_S5_N6thrust23THRUST_200600_302600_NS6detail15normal_iteratorINS8_10device_ptrIfEEEENSA_INSB_IbEEEEZNS1_13binary_searchIS3_S5_SD_SD_SF_NS1_16binary_search_opENS9_16wrapped_functionINS0_4lessIvEEbEEEE10hipError_tPvRmT1_T2_T3_mmT4_T5_P12ihipStream_tbEUlRKfE_EESM_SQ_SR_mSS_SV_bEUlT_E_NS1_11comp_targetILNS1_3genE2ELNS1_11target_archE906ELNS1_3gpuE6ELNS1_3repE0EEENS1_30default_config_static_selectorELNS0_4arch9wavefront6targetE0EEEvSP_.kd
    .uniform_work_group_size: 1
    .uses_dynamic_stack: false
    .vgpr_count:     0
    .vgpr_spill_count: 0
    .wavefront_size: 32
    .workgroup_processor_mode: 1
  - .args:
      - .offset:         0
        .size:           56
        .value_kind:     by_value
    .group_segment_fixed_size: 0
    .kernarg_segment_align: 8
    .kernarg_segment_size: 56
    .language:       OpenCL C
    .language_version:
      - 2
      - 0
    .max_flat_workgroup_size: 128
    .name:           _ZN7rocprim17ROCPRIM_400000_NS6detail17trampoline_kernelINS0_14default_configENS1_29binary_search_config_selectorIfbEEZNS1_14transform_implILb0ES3_S5_N6thrust23THRUST_200600_302600_NS6detail15normal_iteratorINS8_10device_ptrIfEEEENSA_INSB_IbEEEEZNS1_13binary_searchIS3_S5_SD_SD_SF_NS1_16binary_search_opENS9_16wrapped_functionINS0_4lessIvEEbEEEE10hipError_tPvRmT1_T2_T3_mmT4_T5_P12ihipStream_tbEUlRKfE_EESM_SQ_SR_mSS_SV_bEUlT_E_NS1_11comp_targetILNS1_3genE10ELNS1_11target_archE1201ELNS1_3gpuE5ELNS1_3repE0EEENS1_30default_config_static_selectorELNS0_4arch9wavefront6targetE0EEEvSP_
    .private_segment_fixed_size: 0
    .sgpr_count:     0
    .sgpr_spill_count: 0
    .symbol:         _ZN7rocprim17ROCPRIM_400000_NS6detail17trampoline_kernelINS0_14default_configENS1_29binary_search_config_selectorIfbEEZNS1_14transform_implILb0ES3_S5_N6thrust23THRUST_200600_302600_NS6detail15normal_iteratorINS8_10device_ptrIfEEEENSA_INSB_IbEEEEZNS1_13binary_searchIS3_S5_SD_SD_SF_NS1_16binary_search_opENS9_16wrapped_functionINS0_4lessIvEEbEEEE10hipError_tPvRmT1_T2_T3_mmT4_T5_P12ihipStream_tbEUlRKfE_EESM_SQ_SR_mSS_SV_bEUlT_E_NS1_11comp_targetILNS1_3genE10ELNS1_11target_archE1201ELNS1_3gpuE5ELNS1_3repE0EEENS1_30default_config_static_selectorELNS0_4arch9wavefront6targetE0EEEvSP_.kd
    .uniform_work_group_size: 1
    .uses_dynamic_stack: false
    .vgpr_count:     0
    .vgpr_spill_count: 0
    .wavefront_size: 32
    .workgroup_processor_mode: 1
  - .args:
      - .offset:         0
        .size:           56
        .value_kind:     by_value
    .group_segment_fixed_size: 0
    .kernarg_segment_align: 8
    .kernarg_segment_size: 56
    .language:       OpenCL C
    .language_version:
      - 2
      - 0
    .max_flat_workgroup_size: 128
    .name:           _ZN7rocprim17ROCPRIM_400000_NS6detail17trampoline_kernelINS0_14default_configENS1_29binary_search_config_selectorIfbEEZNS1_14transform_implILb0ES3_S5_N6thrust23THRUST_200600_302600_NS6detail15normal_iteratorINS8_10device_ptrIfEEEENSA_INSB_IbEEEEZNS1_13binary_searchIS3_S5_SD_SD_SF_NS1_16binary_search_opENS9_16wrapped_functionINS0_4lessIvEEbEEEE10hipError_tPvRmT1_T2_T3_mmT4_T5_P12ihipStream_tbEUlRKfE_EESM_SQ_SR_mSS_SV_bEUlT_E_NS1_11comp_targetILNS1_3genE10ELNS1_11target_archE1200ELNS1_3gpuE4ELNS1_3repE0EEENS1_30default_config_static_selectorELNS0_4arch9wavefront6targetE0EEEvSP_
    .private_segment_fixed_size: 0
    .sgpr_count:     0
    .sgpr_spill_count: 0
    .symbol:         _ZN7rocprim17ROCPRIM_400000_NS6detail17trampoline_kernelINS0_14default_configENS1_29binary_search_config_selectorIfbEEZNS1_14transform_implILb0ES3_S5_N6thrust23THRUST_200600_302600_NS6detail15normal_iteratorINS8_10device_ptrIfEEEENSA_INSB_IbEEEEZNS1_13binary_searchIS3_S5_SD_SD_SF_NS1_16binary_search_opENS9_16wrapped_functionINS0_4lessIvEEbEEEE10hipError_tPvRmT1_T2_T3_mmT4_T5_P12ihipStream_tbEUlRKfE_EESM_SQ_SR_mSS_SV_bEUlT_E_NS1_11comp_targetILNS1_3genE10ELNS1_11target_archE1200ELNS1_3gpuE4ELNS1_3repE0EEENS1_30default_config_static_selectorELNS0_4arch9wavefront6targetE0EEEvSP_.kd
    .uniform_work_group_size: 1
    .uses_dynamic_stack: false
    .vgpr_count:     0
    .vgpr_spill_count: 0
    .wavefront_size: 32
    .workgroup_processor_mode: 1
  - .args:
      - .offset:         0
        .size:           56
        .value_kind:     by_value
      - .offset:         56
        .size:           4
        .value_kind:     hidden_block_count_x
      - .offset:         60
        .size:           4
        .value_kind:     hidden_block_count_y
      - .offset:         64
        .size:           4
        .value_kind:     hidden_block_count_z
      - .offset:         68
        .size:           2
        .value_kind:     hidden_group_size_x
      - .offset:         70
        .size:           2
        .value_kind:     hidden_group_size_y
      - .offset:         72
        .size:           2
        .value_kind:     hidden_group_size_z
      - .offset:         74
        .size:           2
        .value_kind:     hidden_remainder_x
      - .offset:         76
        .size:           2
        .value_kind:     hidden_remainder_y
      - .offset:         78
        .size:           2
        .value_kind:     hidden_remainder_z
      - .offset:         96
        .size:           8
        .value_kind:     hidden_global_offset_x
      - .offset:         104
        .size:           8
        .value_kind:     hidden_global_offset_y
      - .offset:         112
        .size:           8
        .value_kind:     hidden_global_offset_z
      - .offset:         120
        .size:           2
        .value_kind:     hidden_grid_dims
    .group_segment_fixed_size: 0
    .kernarg_segment_align: 8
    .kernarg_segment_size: 312
    .language:       OpenCL C
    .language_version:
      - 2
      - 0
    .max_flat_workgroup_size: 256
    .name:           _ZN7rocprim17ROCPRIM_400000_NS6detail17trampoline_kernelINS0_14default_configENS1_29binary_search_config_selectorIfbEEZNS1_14transform_implILb0ES3_S5_N6thrust23THRUST_200600_302600_NS6detail15normal_iteratorINS8_10device_ptrIfEEEENSA_INSB_IbEEEEZNS1_13binary_searchIS3_S5_SD_SD_SF_NS1_16binary_search_opENS9_16wrapped_functionINS0_4lessIvEEbEEEE10hipError_tPvRmT1_T2_T3_mmT4_T5_P12ihipStream_tbEUlRKfE_EESM_SQ_SR_mSS_SV_bEUlT_E_NS1_11comp_targetILNS1_3genE9ELNS1_11target_archE1100ELNS1_3gpuE3ELNS1_3repE0EEENS1_30default_config_static_selectorELNS0_4arch9wavefront6targetE0EEEvSP_
    .private_segment_fixed_size: 0
    .sgpr_count:     22
    .sgpr_spill_count: 0
    .symbol:         _ZN7rocprim17ROCPRIM_400000_NS6detail17trampoline_kernelINS0_14default_configENS1_29binary_search_config_selectorIfbEEZNS1_14transform_implILb0ES3_S5_N6thrust23THRUST_200600_302600_NS6detail15normal_iteratorINS8_10device_ptrIfEEEENSA_INSB_IbEEEEZNS1_13binary_searchIS3_S5_SD_SD_SF_NS1_16binary_search_opENS9_16wrapped_functionINS0_4lessIvEEbEEEE10hipError_tPvRmT1_T2_T3_mmT4_T5_P12ihipStream_tbEUlRKfE_EESM_SQ_SR_mSS_SV_bEUlT_E_NS1_11comp_targetILNS1_3genE9ELNS1_11target_archE1100ELNS1_3gpuE3ELNS1_3repE0EEENS1_30default_config_static_selectorELNS0_4arch9wavefront6targetE0EEEvSP_.kd
    .uniform_work_group_size: 1
    .uses_dynamic_stack: false
    .vgpr_count:     11
    .vgpr_spill_count: 0
    .wavefront_size: 32
    .workgroup_processor_mode: 1
  - .args:
      - .offset:         0
        .size:           56
        .value_kind:     by_value
    .group_segment_fixed_size: 0
    .kernarg_segment_align: 8
    .kernarg_segment_size: 56
    .language:       OpenCL C
    .language_version:
      - 2
      - 0
    .max_flat_workgroup_size: 256
    .name:           _ZN7rocprim17ROCPRIM_400000_NS6detail17trampoline_kernelINS0_14default_configENS1_29binary_search_config_selectorIfbEEZNS1_14transform_implILb0ES3_S5_N6thrust23THRUST_200600_302600_NS6detail15normal_iteratorINS8_10device_ptrIfEEEENSA_INSB_IbEEEEZNS1_13binary_searchIS3_S5_SD_SD_SF_NS1_16binary_search_opENS9_16wrapped_functionINS0_4lessIvEEbEEEE10hipError_tPvRmT1_T2_T3_mmT4_T5_P12ihipStream_tbEUlRKfE_EESM_SQ_SR_mSS_SV_bEUlT_E_NS1_11comp_targetILNS1_3genE8ELNS1_11target_archE1030ELNS1_3gpuE2ELNS1_3repE0EEENS1_30default_config_static_selectorELNS0_4arch9wavefront6targetE0EEEvSP_
    .private_segment_fixed_size: 0
    .sgpr_count:     0
    .sgpr_spill_count: 0
    .symbol:         _ZN7rocprim17ROCPRIM_400000_NS6detail17trampoline_kernelINS0_14default_configENS1_29binary_search_config_selectorIfbEEZNS1_14transform_implILb0ES3_S5_N6thrust23THRUST_200600_302600_NS6detail15normal_iteratorINS8_10device_ptrIfEEEENSA_INSB_IbEEEEZNS1_13binary_searchIS3_S5_SD_SD_SF_NS1_16binary_search_opENS9_16wrapped_functionINS0_4lessIvEEbEEEE10hipError_tPvRmT1_T2_T3_mmT4_T5_P12ihipStream_tbEUlRKfE_EESM_SQ_SR_mSS_SV_bEUlT_E_NS1_11comp_targetILNS1_3genE8ELNS1_11target_archE1030ELNS1_3gpuE2ELNS1_3repE0EEENS1_30default_config_static_selectorELNS0_4arch9wavefront6targetE0EEEvSP_.kd
    .uniform_work_group_size: 1
    .uses_dynamic_stack: false
    .vgpr_count:     0
    .vgpr_spill_count: 0
    .wavefront_size: 32
    .workgroup_processor_mode: 1
  - .args:
      - .offset:         0
        .size:           56
        .value_kind:     by_value
    .group_segment_fixed_size: 0
    .kernarg_segment_align: 8
    .kernarg_segment_size: 56
    .language:       OpenCL C
    .language_version:
      - 2
      - 0
    .max_flat_workgroup_size: 256
    .name:           _ZN7rocprim17ROCPRIM_400000_NS6detail17trampoline_kernelINS0_14default_configENS1_29binary_search_config_selectorIfiEEZNS1_14transform_implILb0ES3_S5_N6thrust23THRUST_200600_302600_NS6detail15normal_iteratorINS8_10device_ptrIfEEEENSA_INSB_IiEEEEZNS1_13binary_searchIS3_S5_SD_SD_SF_NS1_16binary_search_opENS9_16wrapped_functionINS0_4lessIvEEbEEEE10hipError_tPvRmT1_T2_T3_mmT4_T5_P12ihipStream_tbEUlRKfE_EESM_SQ_SR_mSS_SV_bEUlT_E_NS1_11comp_targetILNS1_3genE0ELNS1_11target_archE4294967295ELNS1_3gpuE0ELNS1_3repE0EEENS1_30default_config_static_selectorELNS0_4arch9wavefront6targetE0EEEvSP_
    .private_segment_fixed_size: 0
    .sgpr_count:     0
    .sgpr_spill_count: 0
    .symbol:         _ZN7rocprim17ROCPRIM_400000_NS6detail17trampoline_kernelINS0_14default_configENS1_29binary_search_config_selectorIfiEEZNS1_14transform_implILb0ES3_S5_N6thrust23THRUST_200600_302600_NS6detail15normal_iteratorINS8_10device_ptrIfEEEENSA_INSB_IiEEEEZNS1_13binary_searchIS3_S5_SD_SD_SF_NS1_16binary_search_opENS9_16wrapped_functionINS0_4lessIvEEbEEEE10hipError_tPvRmT1_T2_T3_mmT4_T5_P12ihipStream_tbEUlRKfE_EESM_SQ_SR_mSS_SV_bEUlT_E_NS1_11comp_targetILNS1_3genE0ELNS1_11target_archE4294967295ELNS1_3gpuE0ELNS1_3repE0EEENS1_30default_config_static_selectorELNS0_4arch9wavefront6targetE0EEEvSP_.kd
    .uniform_work_group_size: 1
    .uses_dynamic_stack: false
    .vgpr_count:     0
    .vgpr_spill_count: 0
    .wavefront_size: 32
    .workgroup_processor_mode: 1
  - .args:
      - .offset:         0
        .size:           56
        .value_kind:     by_value
    .group_segment_fixed_size: 0
    .kernarg_segment_align: 8
    .kernarg_segment_size: 56
    .language:       OpenCL C
    .language_version:
      - 2
      - 0
    .max_flat_workgroup_size: 256
    .name:           _ZN7rocprim17ROCPRIM_400000_NS6detail17trampoline_kernelINS0_14default_configENS1_29binary_search_config_selectorIfiEEZNS1_14transform_implILb0ES3_S5_N6thrust23THRUST_200600_302600_NS6detail15normal_iteratorINS8_10device_ptrIfEEEENSA_INSB_IiEEEEZNS1_13binary_searchIS3_S5_SD_SD_SF_NS1_16binary_search_opENS9_16wrapped_functionINS0_4lessIvEEbEEEE10hipError_tPvRmT1_T2_T3_mmT4_T5_P12ihipStream_tbEUlRKfE_EESM_SQ_SR_mSS_SV_bEUlT_E_NS1_11comp_targetILNS1_3genE5ELNS1_11target_archE942ELNS1_3gpuE9ELNS1_3repE0EEENS1_30default_config_static_selectorELNS0_4arch9wavefront6targetE0EEEvSP_
    .private_segment_fixed_size: 0
    .sgpr_count:     0
    .sgpr_spill_count: 0
    .symbol:         _ZN7rocprim17ROCPRIM_400000_NS6detail17trampoline_kernelINS0_14default_configENS1_29binary_search_config_selectorIfiEEZNS1_14transform_implILb0ES3_S5_N6thrust23THRUST_200600_302600_NS6detail15normal_iteratorINS8_10device_ptrIfEEEENSA_INSB_IiEEEEZNS1_13binary_searchIS3_S5_SD_SD_SF_NS1_16binary_search_opENS9_16wrapped_functionINS0_4lessIvEEbEEEE10hipError_tPvRmT1_T2_T3_mmT4_T5_P12ihipStream_tbEUlRKfE_EESM_SQ_SR_mSS_SV_bEUlT_E_NS1_11comp_targetILNS1_3genE5ELNS1_11target_archE942ELNS1_3gpuE9ELNS1_3repE0EEENS1_30default_config_static_selectorELNS0_4arch9wavefront6targetE0EEEvSP_.kd
    .uniform_work_group_size: 1
    .uses_dynamic_stack: false
    .vgpr_count:     0
    .vgpr_spill_count: 0
    .wavefront_size: 32
    .workgroup_processor_mode: 1
  - .args:
      - .offset:         0
        .size:           56
        .value_kind:     by_value
    .group_segment_fixed_size: 0
    .kernarg_segment_align: 8
    .kernarg_segment_size: 56
    .language:       OpenCL C
    .language_version:
      - 2
      - 0
    .max_flat_workgroup_size: 256
    .name:           _ZN7rocprim17ROCPRIM_400000_NS6detail17trampoline_kernelINS0_14default_configENS1_29binary_search_config_selectorIfiEEZNS1_14transform_implILb0ES3_S5_N6thrust23THRUST_200600_302600_NS6detail15normal_iteratorINS8_10device_ptrIfEEEENSA_INSB_IiEEEEZNS1_13binary_searchIS3_S5_SD_SD_SF_NS1_16binary_search_opENS9_16wrapped_functionINS0_4lessIvEEbEEEE10hipError_tPvRmT1_T2_T3_mmT4_T5_P12ihipStream_tbEUlRKfE_EESM_SQ_SR_mSS_SV_bEUlT_E_NS1_11comp_targetILNS1_3genE4ELNS1_11target_archE910ELNS1_3gpuE8ELNS1_3repE0EEENS1_30default_config_static_selectorELNS0_4arch9wavefront6targetE0EEEvSP_
    .private_segment_fixed_size: 0
    .sgpr_count:     0
    .sgpr_spill_count: 0
    .symbol:         _ZN7rocprim17ROCPRIM_400000_NS6detail17trampoline_kernelINS0_14default_configENS1_29binary_search_config_selectorIfiEEZNS1_14transform_implILb0ES3_S5_N6thrust23THRUST_200600_302600_NS6detail15normal_iteratorINS8_10device_ptrIfEEEENSA_INSB_IiEEEEZNS1_13binary_searchIS3_S5_SD_SD_SF_NS1_16binary_search_opENS9_16wrapped_functionINS0_4lessIvEEbEEEE10hipError_tPvRmT1_T2_T3_mmT4_T5_P12ihipStream_tbEUlRKfE_EESM_SQ_SR_mSS_SV_bEUlT_E_NS1_11comp_targetILNS1_3genE4ELNS1_11target_archE910ELNS1_3gpuE8ELNS1_3repE0EEENS1_30default_config_static_selectorELNS0_4arch9wavefront6targetE0EEEvSP_.kd
    .uniform_work_group_size: 1
    .uses_dynamic_stack: false
    .vgpr_count:     0
    .vgpr_spill_count: 0
    .wavefront_size: 32
    .workgroup_processor_mode: 1
  - .args:
      - .offset:         0
        .size:           56
        .value_kind:     by_value
    .group_segment_fixed_size: 0
    .kernarg_segment_align: 8
    .kernarg_segment_size: 56
    .language:       OpenCL C
    .language_version:
      - 2
      - 0
    .max_flat_workgroup_size: 256
    .name:           _ZN7rocprim17ROCPRIM_400000_NS6detail17trampoline_kernelINS0_14default_configENS1_29binary_search_config_selectorIfiEEZNS1_14transform_implILb0ES3_S5_N6thrust23THRUST_200600_302600_NS6detail15normal_iteratorINS8_10device_ptrIfEEEENSA_INSB_IiEEEEZNS1_13binary_searchIS3_S5_SD_SD_SF_NS1_16binary_search_opENS9_16wrapped_functionINS0_4lessIvEEbEEEE10hipError_tPvRmT1_T2_T3_mmT4_T5_P12ihipStream_tbEUlRKfE_EESM_SQ_SR_mSS_SV_bEUlT_E_NS1_11comp_targetILNS1_3genE3ELNS1_11target_archE908ELNS1_3gpuE7ELNS1_3repE0EEENS1_30default_config_static_selectorELNS0_4arch9wavefront6targetE0EEEvSP_
    .private_segment_fixed_size: 0
    .sgpr_count:     0
    .sgpr_spill_count: 0
    .symbol:         _ZN7rocprim17ROCPRIM_400000_NS6detail17trampoline_kernelINS0_14default_configENS1_29binary_search_config_selectorIfiEEZNS1_14transform_implILb0ES3_S5_N6thrust23THRUST_200600_302600_NS6detail15normal_iteratorINS8_10device_ptrIfEEEENSA_INSB_IiEEEEZNS1_13binary_searchIS3_S5_SD_SD_SF_NS1_16binary_search_opENS9_16wrapped_functionINS0_4lessIvEEbEEEE10hipError_tPvRmT1_T2_T3_mmT4_T5_P12ihipStream_tbEUlRKfE_EESM_SQ_SR_mSS_SV_bEUlT_E_NS1_11comp_targetILNS1_3genE3ELNS1_11target_archE908ELNS1_3gpuE7ELNS1_3repE0EEENS1_30default_config_static_selectorELNS0_4arch9wavefront6targetE0EEEvSP_.kd
    .uniform_work_group_size: 1
    .uses_dynamic_stack: false
    .vgpr_count:     0
    .vgpr_spill_count: 0
    .wavefront_size: 32
    .workgroup_processor_mode: 1
  - .args:
      - .offset:         0
        .size:           56
        .value_kind:     by_value
    .group_segment_fixed_size: 0
    .kernarg_segment_align: 8
    .kernarg_segment_size: 56
    .language:       OpenCL C
    .language_version:
      - 2
      - 0
    .max_flat_workgroup_size: 256
    .name:           _ZN7rocprim17ROCPRIM_400000_NS6detail17trampoline_kernelINS0_14default_configENS1_29binary_search_config_selectorIfiEEZNS1_14transform_implILb0ES3_S5_N6thrust23THRUST_200600_302600_NS6detail15normal_iteratorINS8_10device_ptrIfEEEENSA_INSB_IiEEEEZNS1_13binary_searchIS3_S5_SD_SD_SF_NS1_16binary_search_opENS9_16wrapped_functionINS0_4lessIvEEbEEEE10hipError_tPvRmT1_T2_T3_mmT4_T5_P12ihipStream_tbEUlRKfE_EESM_SQ_SR_mSS_SV_bEUlT_E_NS1_11comp_targetILNS1_3genE2ELNS1_11target_archE906ELNS1_3gpuE6ELNS1_3repE0EEENS1_30default_config_static_selectorELNS0_4arch9wavefront6targetE0EEEvSP_
    .private_segment_fixed_size: 0
    .sgpr_count:     0
    .sgpr_spill_count: 0
    .symbol:         _ZN7rocprim17ROCPRIM_400000_NS6detail17trampoline_kernelINS0_14default_configENS1_29binary_search_config_selectorIfiEEZNS1_14transform_implILb0ES3_S5_N6thrust23THRUST_200600_302600_NS6detail15normal_iteratorINS8_10device_ptrIfEEEENSA_INSB_IiEEEEZNS1_13binary_searchIS3_S5_SD_SD_SF_NS1_16binary_search_opENS9_16wrapped_functionINS0_4lessIvEEbEEEE10hipError_tPvRmT1_T2_T3_mmT4_T5_P12ihipStream_tbEUlRKfE_EESM_SQ_SR_mSS_SV_bEUlT_E_NS1_11comp_targetILNS1_3genE2ELNS1_11target_archE906ELNS1_3gpuE6ELNS1_3repE0EEENS1_30default_config_static_selectorELNS0_4arch9wavefront6targetE0EEEvSP_.kd
    .uniform_work_group_size: 1
    .uses_dynamic_stack: false
    .vgpr_count:     0
    .vgpr_spill_count: 0
    .wavefront_size: 32
    .workgroup_processor_mode: 1
  - .args:
      - .offset:         0
        .size:           56
        .value_kind:     by_value
    .group_segment_fixed_size: 0
    .kernarg_segment_align: 8
    .kernarg_segment_size: 56
    .language:       OpenCL C
    .language_version:
      - 2
      - 0
    .max_flat_workgroup_size: 128
    .name:           _ZN7rocprim17ROCPRIM_400000_NS6detail17trampoline_kernelINS0_14default_configENS1_29binary_search_config_selectorIfiEEZNS1_14transform_implILb0ES3_S5_N6thrust23THRUST_200600_302600_NS6detail15normal_iteratorINS8_10device_ptrIfEEEENSA_INSB_IiEEEEZNS1_13binary_searchIS3_S5_SD_SD_SF_NS1_16binary_search_opENS9_16wrapped_functionINS0_4lessIvEEbEEEE10hipError_tPvRmT1_T2_T3_mmT4_T5_P12ihipStream_tbEUlRKfE_EESM_SQ_SR_mSS_SV_bEUlT_E_NS1_11comp_targetILNS1_3genE10ELNS1_11target_archE1201ELNS1_3gpuE5ELNS1_3repE0EEENS1_30default_config_static_selectorELNS0_4arch9wavefront6targetE0EEEvSP_
    .private_segment_fixed_size: 0
    .sgpr_count:     0
    .sgpr_spill_count: 0
    .symbol:         _ZN7rocprim17ROCPRIM_400000_NS6detail17trampoline_kernelINS0_14default_configENS1_29binary_search_config_selectorIfiEEZNS1_14transform_implILb0ES3_S5_N6thrust23THRUST_200600_302600_NS6detail15normal_iteratorINS8_10device_ptrIfEEEENSA_INSB_IiEEEEZNS1_13binary_searchIS3_S5_SD_SD_SF_NS1_16binary_search_opENS9_16wrapped_functionINS0_4lessIvEEbEEEE10hipError_tPvRmT1_T2_T3_mmT4_T5_P12ihipStream_tbEUlRKfE_EESM_SQ_SR_mSS_SV_bEUlT_E_NS1_11comp_targetILNS1_3genE10ELNS1_11target_archE1201ELNS1_3gpuE5ELNS1_3repE0EEENS1_30default_config_static_selectorELNS0_4arch9wavefront6targetE0EEEvSP_.kd
    .uniform_work_group_size: 1
    .uses_dynamic_stack: false
    .vgpr_count:     0
    .vgpr_spill_count: 0
    .wavefront_size: 32
    .workgroup_processor_mode: 1
  - .args:
      - .offset:         0
        .size:           56
        .value_kind:     by_value
    .group_segment_fixed_size: 0
    .kernarg_segment_align: 8
    .kernarg_segment_size: 56
    .language:       OpenCL C
    .language_version:
      - 2
      - 0
    .max_flat_workgroup_size: 128
    .name:           _ZN7rocprim17ROCPRIM_400000_NS6detail17trampoline_kernelINS0_14default_configENS1_29binary_search_config_selectorIfiEEZNS1_14transform_implILb0ES3_S5_N6thrust23THRUST_200600_302600_NS6detail15normal_iteratorINS8_10device_ptrIfEEEENSA_INSB_IiEEEEZNS1_13binary_searchIS3_S5_SD_SD_SF_NS1_16binary_search_opENS9_16wrapped_functionINS0_4lessIvEEbEEEE10hipError_tPvRmT1_T2_T3_mmT4_T5_P12ihipStream_tbEUlRKfE_EESM_SQ_SR_mSS_SV_bEUlT_E_NS1_11comp_targetILNS1_3genE10ELNS1_11target_archE1200ELNS1_3gpuE4ELNS1_3repE0EEENS1_30default_config_static_selectorELNS0_4arch9wavefront6targetE0EEEvSP_
    .private_segment_fixed_size: 0
    .sgpr_count:     0
    .sgpr_spill_count: 0
    .symbol:         _ZN7rocprim17ROCPRIM_400000_NS6detail17trampoline_kernelINS0_14default_configENS1_29binary_search_config_selectorIfiEEZNS1_14transform_implILb0ES3_S5_N6thrust23THRUST_200600_302600_NS6detail15normal_iteratorINS8_10device_ptrIfEEEENSA_INSB_IiEEEEZNS1_13binary_searchIS3_S5_SD_SD_SF_NS1_16binary_search_opENS9_16wrapped_functionINS0_4lessIvEEbEEEE10hipError_tPvRmT1_T2_T3_mmT4_T5_P12ihipStream_tbEUlRKfE_EESM_SQ_SR_mSS_SV_bEUlT_E_NS1_11comp_targetILNS1_3genE10ELNS1_11target_archE1200ELNS1_3gpuE4ELNS1_3repE0EEENS1_30default_config_static_selectorELNS0_4arch9wavefront6targetE0EEEvSP_.kd
    .uniform_work_group_size: 1
    .uses_dynamic_stack: false
    .vgpr_count:     0
    .vgpr_spill_count: 0
    .wavefront_size: 32
    .workgroup_processor_mode: 1
  - .args:
      - .offset:         0
        .size:           56
        .value_kind:     by_value
      - .offset:         56
        .size:           4
        .value_kind:     hidden_block_count_x
      - .offset:         60
        .size:           4
        .value_kind:     hidden_block_count_y
      - .offset:         64
        .size:           4
        .value_kind:     hidden_block_count_z
      - .offset:         68
        .size:           2
        .value_kind:     hidden_group_size_x
      - .offset:         70
        .size:           2
        .value_kind:     hidden_group_size_y
      - .offset:         72
        .size:           2
        .value_kind:     hidden_group_size_z
      - .offset:         74
        .size:           2
        .value_kind:     hidden_remainder_x
      - .offset:         76
        .size:           2
        .value_kind:     hidden_remainder_y
      - .offset:         78
        .size:           2
        .value_kind:     hidden_remainder_z
      - .offset:         96
        .size:           8
        .value_kind:     hidden_global_offset_x
      - .offset:         104
        .size:           8
        .value_kind:     hidden_global_offset_y
      - .offset:         112
        .size:           8
        .value_kind:     hidden_global_offset_z
      - .offset:         120
        .size:           2
        .value_kind:     hidden_grid_dims
    .group_segment_fixed_size: 0
    .kernarg_segment_align: 8
    .kernarg_segment_size: 312
    .language:       OpenCL C
    .language_version:
      - 2
      - 0
    .max_flat_workgroup_size: 256
    .name:           _ZN7rocprim17ROCPRIM_400000_NS6detail17trampoline_kernelINS0_14default_configENS1_29binary_search_config_selectorIfiEEZNS1_14transform_implILb0ES3_S5_N6thrust23THRUST_200600_302600_NS6detail15normal_iteratorINS8_10device_ptrIfEEEENSA_INSB_IiEEEEZNS1_13binary_searchIS3_S5_SD_SD_SF_NS1_16binary_search_opENS9_16wrapped_functionINS0_4lessIvEEbEEEE10hipError_tPvRmT1_T2_T3_mmT4_T5_P12ihipStream_tbEUlRKfE_EESM_SQ_SR_mSS_SV_bEUlT_E_NS1_11comp_targetILNS1_3genE9ELNS1_11target_archE1100ELNS1_3gpuE3ELNS1_3repE0EEENS1_30default_config_static_selectorELNS0_4arch9wavefront6targetE0EEEvSP_
    .private_segment_fixed_size: 0
    .sgpr_count:     22
    .sgpr_spill_count: 0
    .symbol:         _ZN7rocprim17ROCPRIM_400000_NS6detail17trampoline_kernelINS0_14default_configENS1_29binary_search_config_selectorIfiEEZNS1_14transform_implILb0ES3_S5_N6thrust23THRUST_200600_302600_NS6detail15normal_iteratorINS8_10device_ptrIfEEEENSA_INSB_IiEEEEZNS1_13binary_searchIS3_S5_SD_SD_SF_NS1_16binary_search_opENS9_16wrapped_functionINS0_4lessIvEEbEEEE10hipError_tPvRmT1_T2_T3_mmT4_T5_P12ihipStream_tbEUlRKfE_EESM_SQ_SR_mSS_SV_bEUlT_E_NS1_11comp_targetILNS1_3genE9ELNS1_11target_archE1100ELNS1_3gpuE3ELNS1_3repE0EEENS1_30default_config_static_selectorELNS0_4arch9wavefront6targetE0EEEvSP_.kd
    .uniform_work_group_size: 1
    .uses_dynamic_stack: false
    .vgpr_count:     12
    .vgpr_spill_count: 0
    .wavefront_size: 32
    .workgroup_processor_mode: 1
  - .args:
      - .offset:         0
        .size:           56
        .value_kind:     by_value
    .group_segment_fixed_size: 0
    .kernarg_segment_align: 8
    .kernarg_segment_size: 56
    .language:       OpenCL C
    .language_version:
      - 2
      - 0
    .max_flat_workgroup_size: 256
    .name:           _ZN7rocprim17ROCPRIM_400000_NS6detail17trampoline_kernelINS0_14default_configENS1_29binary_search_config_selectorIfiEEZNS1_14transform_implILb0ES3_S5_N6thrust23THRUST_200600_302600_NS6detail15normal_iteratorINS8_10device_ptrIfEEEENSA_INSB_IiEEEEZNS1_13binary_searchIS3_S5_SD_SD_SF_NS1_16binary_search_opENS9_16wrapped_functionINS0_4lessIvEEbEEEE10hipError_tPvRmT1_T2_T3_mmT4_T5_P12ihipStream_tbEUlRKfE_EESM_SQ_SR_mSS_SV_bEUlT_E_NS1_11comp_targetILNS1_3genE8ELNS1_11target_archE1030ELNS1_3gpuE2ELNS1_3repE0EEENS1_30default_config_static_selectorELNS0_4arch9wavefront6targetE0EEEvSP_
    .private_segment_fixed_size: 0
    .sgpr_count:     0
    .sgpr_spill_count: 0
    .symbol:         _ZN7rocprim17ROCPRIM_400000_NS6detail17trampoline_kernelINS0_14default_configENS1_29binary_search_config_selectorIfiEEZNS1_14transform_implILb0ES3_S5_N6thrust23THRUST_200600_302600_NS6detail15normal_iteratorINS8_10device_ptrIfEEEENSA_INSB_IiEEEEZNS1_13binary_searchIS3_S5_SD_SD_SF_NS1_16binary_search_opENS9_16wrapped_functionINS0_4lessIvEEbEEEE10hipError_tPvRmT1_T2_T3_mmT4_T5_P12ihipStream_tbEUlRKfE_EESM_SQ_SR_mSS_SV_bEUlT_E_NS1_11comp_targetILNS1_3genE8ELNS1_11target_archE1030ELNS1_3gpuE2ELNS1_3repE0EEENS1_30default_config_static_selectorELNS0_4arch9wavefront6targetE0EEEvSP_.kd
    .uniform_work_group_size: 1
    .uses_dynamic_stack: false
    .vgpr_count:     0
    .vgpr_spill_count: 0
    .wavefront_size: 32
    .workgroup_processor_mode: 1
  - .args:
      - .offset:         0
        .size:           56
        .value_kind:     by_value
    .group_segment_fixed_size: 0
    .kernarg_segment_align: 8
    .kernarg_segment_size: 56
    .language:       OpenCL C
    .language_version:
      - 2
      - 0
    .max_flat_workgroup_size: 256
    .name:           _ZN7rocprim17ROCPRIM_400000_NS6detail17trampoline_kernelINS0_14default_configENS1_29binary_search_config_selectorIybEEZNS1_14transform_implILb0ES3_S5_N6thrust23THRUST_200600_302600_NS6detail15normal_iteratorINS8_10device_ptrIyEEEENSA_INSB_IbEEEEZNS1_13binary_searchIS3_S5_SD_SD_SF_NS1_16binary_search_opENS9_16wrapped_functionINS0_4lessIvEEbEEEE10hipError_tPvRmT1_T2_T3_mmT4_T5_P12ihipStream_tbEUlRKyE_EESM_SQ_SR_mSS_SV_bEUlT_E_NS1_11comp_targetILNS1_3genE0ELNS1_11target_archE4294967295ELNS1_3gpuE0ELNS1_3repE0EEENS1_30default_config_static_selectorELNS0_4arch9wavefront6targetE0EEEvSP_
    .private_segment_fixed_size: 0
    .sgpr_count:     0
    .sgpr_spill_count: 0
    .symbol:         _ZN7rocprim17ROCPRIM_400000_NS6detail17trampoline_kernelINS0_14default_configENS1_29binary_search_config_selectorIybEEZNS1_14transform_implILb0ES3_S5_N6thrust23THRUST_200600_302600_NS6detail15normal_iteratorINS8_10device_ptrIyEEEENSA_INSB_IbEEEEZNS1_13binary_searchIS3_S5_SD_SD_SF_NS1_16binary_search_opENS9_16wrapped_functionINS0_4lessIvEEbEEEE10hipError_tPvRmT1_T2_T3_mmT4_T5_P12ihipStream_tbEUlRKyE_EESM_SQ_SR_mSS_SV_bEUlT_E_NS1_11comp_targetILNS1_3genE0ELNS1_11target_archE4294967295ELNS1_3gpuE0ELNS1_3repE0EEENS1_30default_config_static_selectorELNS0_4arch9wavefront6targetE0EEEvSP_.kd
    .uniform_work_group_size: 1
    .uses_dynamic_stack: false
    .vgpr_count:     0
    .vgpr_spill_count: 0
    .wavefront_size: 32
    .workgroup_processor_mode: 1
  - .args:
      - .offset:         0
        .size:           56
        .value_kind:     by_value
    .group_segment_fixed_size: 0
    .kernarg_segment_align: 8
    .kernarg_segment_size: 56
    .language:       OpenCL C
    .language_version:
      - 2
      - 0
    .max_flat_workgroup_size: 64
    .name:           _ZN7rocprim17ROCPRIM_400000_NS6detail17trampoline_kernelINS0_14default_configENS1_29binary_search_config_selectorIybEEZNS1_14transform_implILb0ES3_S5_N6thrust23THRUST_200600_302600_NS6detail15normal_iteratorINS8_10device_ptrIyEEEENSA_INSB_IbEEEEZNS1_13binary_searchIS3_S5_SD_SD_SF_NS1_16binary_search_opENS9_16wrapped_functionINS0_4lessIvEEbEEEE10hipError_tPvRmT1_T2_T3_mmT4_T5_P12ihipStream_tbEUlRKyE_EESM_SQ_SR_mSS_SV_bEUlT_E_NS1_11comp_targetILNS1_3genE5ELNS1_11target_archE942ELNS1_3gpuE9ELNS1_3repE0EEENS1_30default_config_static_selectorELNS0_4arch9wavefront6targetE0EEEvSP_
    .private_segment_fixed_size: 0
    .sgpr_count:     0
    .sgpr_spill_count: 0
    .symbol:         _ZN7rocprim17ROCPRIM_400000_NS6detail17trampoline_kernelINS0_14default_configENS1_29binary_search_config_selectorIybEEZNS1_14transform_implILb0ES3_S5_N6thrust23THRUST_200600_302600_NS6detail15normal_iteratorINS8_10device_ptrIyEEEENSA_INSB_IbEEEEZNS1_13binary_searchIS3_S5_SD_SD_SF_NS1_16binary_search_opENS9_16wrapped_functionINS0_4lessIvEEbEEEE10hipError_tPvRmT1_T2_T3_mmT4_T5_P12ihipStream_tbEUlRKyE_EESM_SQ_SR_mSS_SV_bEUlT_E_NS1_11comp_targetILNS1_3genE5ELNS1_11target_archE942ELNS1_3gpuE9ELNS1_3repE0EEENS1_30default_config_static_selectorELNS0_4arch9wavefront6targetE0EEEvSP_.kd
    .uniform_work_group_size: 1
    .uses_dynamic_stack: false
    .vgpr_count:     0
    .vgpr_spill_count: 0
    .wavefront_size: 32
    .workgroup_processor_mode: 1
  - .args:
      - .offset:         0
        .size:           56
        .value_kind:     by_value
    .group_segment_fixed_size: 0
    .kernarg_segment_align: 8
    .kernarg_segment_size: 56
    .language:       OpenCL C
    .language_version:
      - 2
      - 0
    .max_flat_workgroup_size: 64
    .name:           _ZN7rocprim17ROCPRIM_400000_NS6detail17trampoline_kernelINS0_14default_configENS1_29binary_search_config_selectorIybEEZNS1_14transform_implILb0ES3_S5_N6thrust23THRUST_200600_302600_NS6detail15normal_iteratorINS8_10device_ptrIyEEEENSA_INSB_IbEEEEZNS1_13binary_searchIS3_S5_SD_SD_SF_NS1_16binary_search_opENS9_16wrapped_functionINS0_4lessIvEEbEEEE10hipError_tPvRmT1_T2_T3_mmT4_T5_P12ihipStream_tbEUlRKyE_EESM_SQ_SR_mSS_SV_bEUlT_E_NS1_11comp_targetILNS1_3genE4ELNS1_11target_archE910ELNS1_3gpuE8ELNS1_3repE0EEENS1_30default_config_static_selectorELNS0_4arch9wavefront6targetE0EEEvSP_
    .private_segment_fixed_size: 0
    .sgpr_count:     0
    .sgpr_spill_count: 0
    .symbol:         _ZN7rocprim17ROCPRIM_400000_NS6detail17trampoline_kernelINS0_14default_configENS1_29binary_search_config_selectorIybEEZNS1_14transform_implILb0ES3_S5_N6thrust23THRUST_200600_302600_NS6detail15normal_iteratorINS8_10device_ptrIyEEEENSA_INSB_IbEEEEZNS1_13binary_searchIS3_S5_SD_SD_SF_NS1_16binary_search_opENS9_16wrapped_functionINS0_4lessIvEEbEEEE10hipError_tPvRmT1_T2_T3_mmT4_T5_P12ihipStream_tbEUlRKyE_EESM_SQ_SR_mSS_SV_bEUlT_E_NS1_11comp_targetILNS1_3genE4ELNS1_11target_archE910ELNS1_3gpuE8ELNS1_3repE0EEENS1_30default_config_static_selectorELNS0_4arch9wavefront6targetE0EEEvSP_.kd
    .uniform_work_group_size: 1
    .uses_dynamic_stack: false
    .vgpr_count:     0
    .vgpr_spill_count: 0
    .wavefront_size: 32
    .workgroup_processor_mode: 1
  - .args:
      - .offset:         0
        .size:           56
        .value_kind:     by_value
    .group_segment_fixed_size: 0
    .kernarg_segment_align: 8
    .kernarg_segment_size: 56
    .language:       OpenCL C
    .language_version:
      - 2
      - 0
    .max_flat_workgroup_size: 256
    .name:           _ZN7rocprim17ROCPRIM_400000_NS6detail17trampoline_kernelINS0_14default_configENS1_29binary_search_config_selectorIybEEZNS1_14transform_implILb0ES3_S5_N6thrust23THRUST_200600_302600_NS6detail15normal_iteratorINS8_10device_ptrIyEEEENSA_INSB_IbEEEEZNS1_13binary_searchIS3_S5_SD_SD_SF_NS1_16binary_search_opENS9_16wrapped_functionINS0_4lessIvEEbEEEE10hipError_tPvRmT1_T2_T3_mmT4_T5_P12ihipStream_tbEUlRKyE_EESM_SQ_SR_mSS_SV_bEUlT_E_NS1_11comp_targetILNS1_3genE3ELNS1_11target_archE908ELNS1_3gpuE7ELNS1_3repE0EEENS1_30default_config_static_selectorELNS0_4arch9wavefront6targetE0EEEvSP_
    .private_segment_fixed_size: 0
    .sgpr_count:     0
    .sgpr_spill_count: 0
    .symbol:         _ZN7rocprim17ROCPRIM_400000_NS6detail17trampoline_kernelINS0_14default_configENS1_29binary_search_config_selectorIybEEZNS1_14transform_implILb0ES3_S5_N6thrust23THRUST_200600_302600_NS6detail15normal_iteratorINS8_10device_ptrIyEEEENSA_INSB_IbEEEEZNS1_13binary_searchIS3_S5_SD_SD_SF_NS1_16binary_search_opENS9_16wrapped_functionINS0_4lessIvEEbEEEE10hipError_tPvRmT1_T2_T3_mmT4_T5_P12ihipStream_tbEUlRKyE_EESM_SQ_SR_mSS_SV_bEUlT_E_NS1_11comp_targetILNS1_3genE3ELNS1_11target_archE908ELNS1_3gpuE7ELNS1_3repE0EEENS1_30default_config_static_selectorELNS0_4arch9wavefront6targetE0EEEvSP_.kd
    .uniform_work_group_size: 1
    .uses_dynamic_stack: false
    .vgpr_count:     0
    .vgpr_spill_count: 0
    .wavefront_size: 32
    .workgroup_processor_mode: 1
  - .args:
      - .offset:         0
        .size:           56
        .value_kind:     by_value
    .group_segment_fixed_size: 0
    .kernarg_segment_align: 8
    .kernarg_segment_size: 56
    .language:       OpenCL C
    .language_version:
      - 2
      - 0
    .max_flat_workgroup_size: 256
    .name:           _ZN7rocprim17ROCPRIM_400000_NS6detail17trampoline_kernelINS0_14default_configENS1_29binary_search_config_selectorIybEEZNS1_14transform_implILb0ES3_S5_N6thrust23THRUST_200600_302600_NS6detail15normal_iteratorINS8_10device_ptrIyEEEENSA_INSB_IbEEEEZNS1_13binary_searchIS3_S5_SD_SD_SF_NS1_16binary_search_opENS9_16wrapped_functionINS0_4lessIvEEbEEEE10hipError_tPvRmT1_T2_T3_mmT4_T5_P12ihipStream_tbEUlRKyE_EESM_SQ_SR_mSS_SV_bEUlT_E_NS1_11comp_targetILNS1_3genE2ELNS1_11target_archE906ELNS1_3gpuE6ELNS1_3repE0EEENS1_30default_config_static_selectorELNS0_4arch9wavefront6targetE0EEEvSP_
    .private_segment_fixed_size: 0
    .sgpr_count:     0
    .sgpr_spill_count: 0
    .symbol:         _ZN7rocprim17ROCPRIM_400000_NS6detail17trampoline_kernelINS0_14default_configENS1_29binary_search_config_selectorIybEEZNS1_14transform_implILb0ES3_S5_N6thrust23THRUST_200600_302600_NS6detail15normal_iteratorINS8_10device_ptrIyEEEENSA_INSB_IbEEEEZNS1_13binary_searchIS3_S5_SD_SD_SF_NS1_16binary_search_opENS9_16wrapped_functionINS0_4lessIvEEbEEEE10hipError_tPvRmT1_T2_T3_mmT4_T5_P12ihipStream_tbEUlRKyE_EESM_SQ_SR_mSS_SV_bEUlT_E_NS1_11comp_targetILNS1_3genE2ELNS1_11target_archE906ELNS1_3gpuE6ELNS1_3repE0EEENS1_30default_config_static_selectorELNS0_4arch9wavefront6targetE0EEEvSP_.kd
    .uniform_work_group_size: 1
    .uses_dynamic_stack: false
    .vgpr_count:     0
    .vgpr_spill_count: 0
    .wavefront_size: 32
    .workgroup_processor_mode: 1
  - .args:
      - .offset:         0
        .size:           56
        .value_kind:     by_value
    .group_segment_fixed_size: 0
    .kernarg_segment_align: 8
    .kernarg_segment_size: 56
    .language:       OpenCL C
    .language_version:
      - 2
      - 0
    .max_flat_workgroup_size: 256
    .name:           _ZN7rocprim17ROCPRIM_400000_NS6detail17trampoline_kernelINS0_14default_configENS1_29binary_search_config_selectorIybEEZNS1_14transform_implILb0ES3_S5_N6thrust23THRUST_200600_302600_NS6detail15normal_iteratorINS8_10device_ptrIyEEEENSA_INSB_IbEEEEZNS1_13binary_searchIS3_S5_SD_SD_SF_NS1_16binary_search_opENS9_16wrapped_functionINS0_4lessIvEEbEEEE10hipError_tPvRmT1_T2_T3_mmT4_T5_P12ihipStream_tbEUlRKyE_EESM_SQ_SR_mSS_SV_bEUlT_E_NS1_11comp_targetILNS1_3genE10ELNS1_11target_archE1201ELNS1_3gpuE5ELNS1_3repE0EEENS1_30default_config_static_selectorELNS0_4arch9wavefront6targetE0EEEvSP_
    .private_segment_fixed_size: 0
    .sgpr_count:     0
    .sgpr_spill_count: 0
    .symbol:         _ZN7rocprim17ROCPRIM_400000_NS6detail17trampoline_kernelINS0_14default_configENS1_29binary_search_config_selectorIybEEZNS1_14transform_implILb0ES3_S5_N6thrust23THRUST_200600_302600_NS6detail15normal_iteratorINS8_10device_ptrIyEEEENSA_INSB_IbEEEEZNS1_13binary_searchIS3_S5_SD_SD_SF_NS1_16binary_search_opENS9_16wrapped_functionINS0_4lessIvEEbEEEE10hipError_tPvRmT1_T2_T3_mmT4_T5_P12ihipStream_tbEUlRKyE_EESM_SQ_SR_mSS_SV_bEUlT_E_NS1_11comp_targetILNS1_3genE10ELNS1_11target_archE1201ELNS1_3gpuE5ELNS1_3repE0EEENS1_30default_config_static_selectorELNS0_4arch9wavefront6targetE0EEEvSP_.kd
    .uniform_work_group_size: 1
    .uses_dynamic_stack: false
    .vgpr_count:     0
    .vgpr_spill_count: 0
    .wavefront_size: 32
    .workgroup_processor_mode: 1
  - .args:
      - .offset:         0
        .size:           56
        .value_kind:     by_value
    .group_segment_fixed_size: 0
    .kernarg_segment_align: 8
    .kernarg_segment_size: 56
    .language:       OpenCL C
    .language_version:
      - 2
      - 0
    .max_flat_workgroup_size: 128
    .name:           _ZN7rocprim17ROCPRIM_400000_NS6detail17trampoline_kernelINS0_14default_configENS1_29binary_search_config_selectorIybEEZNS1_14transform_implILb0ES3_S5_N6thrust23THRUST_200600_302600_NS6detail15normal_iteratorINS8_10device_ptrIyEEEENSA_INSB_IbEEEEZNS1_13binary_searchIS3_S5_SD_SD_SF_NS1_16binary_search_opENS9_16wrapped_functionINS0_4lessIvEEbEEEE10hipError_tPvRmT1_T2_T3_mmT4_T5_P12ihipStream_tbEUlRKyE_EESM_SQ_SR_mSS_SV_bEUlT_E_NS1_11comp_targetILNS1_3genE10ELNS1_11target_archE1200ELNS1_3gpuE4ELNS1_3repE0EEENS1_30default_config_static_selectorELNS0_4arch9wavefront6targetE0EEEvSP_
    .private_segment_fixed_size: 0
    .sgpr_count:     0
    .sgpr_spill_count: 0
    .symbol:         _ZN7rocprim17ROCPRIM_400000_NS6detail17trampoline_kernelINS0_14default_configENS1_29binary_search_config_selectorIybEEZNS1_14transform_implILb0ES3_S5_N6thrust23THRUST_200600_302600_NS6detail15normal_iteratorINS8_10device_ptrIyEEEENSA_INSB_IbEEEEZNS1_13binary_searchIS3_S5_SD_SD_SF_NS1_16binary_search_opENS9_16wrapped_functionINS0_4lessIvEEbEEEE10hipError_tPvRmT1_T2_T3_mmT4_T5_P12ihipStream_tbEUlRKyE_EESM_SQ_SR_mSS_SV_bEUlT_E_NS1_11comp_targetILNS1_3genE10ELNS1_11target_archE1200ELNS1_3gpuE4ELNS1_3repE0EEENS1_30default_config_static_selectorELNS0_4arch9wavefront6targetE0EEEvSP_.kd
    .uniform_work_group_size: 1
    .uses_dynamic_stack: false
    .vgpr_count:     0
    .vgpr_spill_count: 0
    .wavefront_size: 32
    .workgroup_processor_mode: 1
  - .args:
      - .offset:         0
        .size:           56
        .value_kind:     by_value
      - .offset:         56
        .size:           4
        .value_kind:     hidden_block_count_x
      - .offset:         60
        .size:           4
        .value_kind:     hidden_block_count_y
      - .offset:         64
        .size:           4
        .value_kind:     hidden_block_count_z
      - .offset:         68
        .size:           2
        .value_kind:     hidden_group_size_x
      - .offset:         70
        .size:           2
        .value_kind:     hidden_group_size_y
      - .offset:         72
        .size:           2
        .value_kind:     hidden_group_size_z
      - .offset:         74
        .size:           2
        .value_kind:     hidden_remainder_x
      - .offset:         76
        .size:           2
        .value_kind:     hidden_remainder_y
      - .offset:         78
        .size:           2
        .value_kind:     hidden_remainder_z
      - .offset:         96
        .size:           8
        .value_kind:     hidden_global_offset_x
      - .offset:         104
        .size:           8
        .value_kind:     hidden_global_offset_y
      - .offset:         112
        .size:           8
        .value_kind:     hidden_global_offset_z
      - .offset:         120
        .size:           2
        .value_kind:     hidden_grid_dims
    .group_segment_fixed_size: 0
    .kernarg_segment_align: 8
    .kernarg_segment_size: 312
    .language:       OpenCL C
    .language_version:
      - 2
      - 0
    .max_flat_workgroup_size: 64
    .name:           _ZN7rocprim17ROCPRIM_400000_NS6detail17trampoline_kernelINS0_14default_configENS1_29binary_search_config_selectorIybEEZNS1_14transform_implILb0ES3_S5_N6thrust23THRUST_200600_302600_NS6detail15normal_iteratorINS8_10device_ptrIyEEEENSA_INSB_IbEEEEZNS1_13binary_searchIS3_S5_SD_SD_SF_NS1_16binary_search_opENS9_16wrapped_functionINS0_4lessIvEEbEEEE10hipError_tPvRmT1_T2_T3_mmT4_T5_P12ihipStream_tbEUlRKyE_EESM_SQ_SR_mSS_SV_bEUlT_E_NS1_11comp_targetILNS1_3genE9ELNS1_11target_archE1100ELNS1_3gpuE3ELNS1_3repE0EEENS1_30default_config_static_selectorELNS0_4arch9wavefront6targetE0EEEvSP_
    .private_segment_fixed_size: 0
    .sgpr_count:     30
    .sgpr_spill_count: 0
    .symbol:         _ZN7rocprim17ROCPRIM_400000_NS6detail17trampoline_kernelINS0_14default_configENS1_29binary_search_config_selectorIybEEZNS1_14transform_implILb0ES3_S5_N6thrust23THRUST_200600_302600_NS6detail15normal_iteratorINS8_10device_ptrIyEEEENSA_INSB_IbEEEEZNS1_13binary_searchIS3_S5_SD_SD_SF_NS1_16binary_search_opENS9_16wrapped_functionINS0_4lessIvEEbEEEE10hipError_tPvRmT1_T2_T3_mmT4_T5_P12ihipStream_tbEUlRKyE_EESM_SQ_SR_mSS_SV_bEUlT_E_NS1_11comp_targetILNS1_3genE9ELNS1_11target_archE1100ELNS1_3gpuE3ELNS1_3repE0EEENS1_30default_config_static_selectorELNS0_4arch9wavefront6targetE0EEEvSP_.kd
    .uniform_work_group_size: 1
    .uses_dynamic_stack: false
    .vgpr_count:     42
    .vgpr_spill_count: 0
    .wavefront_size: 32
    .workgroup_processor_mode: 1
  - .args:
      - .offset:         0
        .size:           56
        .value_kind:     by_value
    .group_segment_fixed_size: 0
    .kernarg_segment_align: 8
    .kernarg_segment_size: 56
    .language:       OpenCL C
    .language_version:
      - 2
      - 0
    .max_flat_workgroup_size: 256
    .name:           _ZN7rocprim17ROCPRIM_400000_NS6detail17trampoline_kernelINS0_14default_configENS1_29binary_search_config_selectorIybEEZNS1_14transform_implILb0ES3_S5_N6thrust23THRUST_200600_302600_NS6detail15normal_iteratorINS8_10device_ptrIyEEEENSA_INSB_IbEEEEZNS1_13binary_searchIS3_S5_SD_SD_SF_NS1_16binary_search_opENS9_16wrapped_functionINS0_4lessIvEEbEEEE10hipError_tPvRmT1_T2_T3_mmT4_T5_P12ihipStream_tbEUlRKyE_EESM_SQ_SR_mSS_SV_bEUlT_E_NS1_11comp_targetILNS1_3genE8ELNS1_11target_archE1030ELNS1_3gpuE2ELNS1_3repE0EEENS1_30default_config_static_selectorELNS0_4arch9wavefront6targetE0EEEvSP_
    .private_segment_fixed_size: 0
    .sgpr_count:     0
    .sgpr_spill_count: 0
    .symbol:         _ZN7rocprim17ROCPRIM_400000_NS6detail17trampoline_kernelINS0_14default_configENS1_29binary_search_config_selectorIybEEZNS1_14transform_implILb0ES3_S5_N6thrust23THRUST_200600_302600_NS6detail15normal_iteratorINS8_10device_ptrIyEEEENSA_INSB_IbEEEEZNS1_13binary_searchIS3_S5_SD_SD_SF_NS1_16binary_search_opENS9_16wrapped_functionINS0_4lessIvEEbEEEE10hipError_tPvRmT1_T2_T3_mmT4_T5_P12ihipStream_tbEUlRKyE_EESM_SQ_SR_mSS_SV_bEUlT_E_NS1_11comp_targetILNS1_3genE8ELNS1_11target_archE1030ELNS1_3gpuE2ELNS1_3repE0EEENS1_30default_config_static_selectorELNS0_4arch9wavefront6targetE0EEEvSP_.kd
    .uniform_work_group_size: 1
    .uses_dynamic_stack: false
    .vgpr_count:     0
    .vgpr_spill_count: 0
    .wavefront_size: 32
    .workgroup_processor_mode: 1
  - .args:
      - .offset:         0
        .size:           56
        .value_kind:     by_value
    .group_segment_fixed_size: 0
    .kernarg_segment_align: 8
    .kernarg_segment_size: 56
    .language:       OpenCL C
    .language_version:
      - 2
      - 0
    .max_flat_workgroup_size: 256
    .name:           _ZN7rocprim17ROCPRIM_400000_NS6detail17trampoline_kernelINS0_14default_configENS1_29binary_search_config_selectorIyiEEZNS1_14transform_implILb0ES3_S5_N6thrust23THRUST_200600_302600_NS6detail15normal_iteratorINS8_10device_ptrIyEEEENSA_INSB_IiEEEEZNS1_13binary_searchIS3_S5_SD_SD_SF_NS1_16binary_search_opENS9_16wrapped_functionINS0_4lessIvEEbEEEE10hipError_tPvRmT1_T2_T3_mmT4_T5_P12ihipStream_tbEUlRKyE_EESM_SQ_SR_mSS_SV_bEUlT_E_NS1_11comp_targetILNS1_3genE0ELNS1_11target_archE4294967295ELNS1_3gpuE0ELNS1_3repE0EEENS1_30default_config_static_selectorELNS0_4arch9wavefront6targetE0EEEvSP_
    .private_segment_fixed_size: 0
    .sgpr_count:     0
    .sgpr_spill_count: 0
    .symbol:         _ZN7rocprim17ROCPRIM_400000_NS6detail17trampoline_kernelINS0_14default_configENS1_29binary_search_config_selectorIyiEEZNS1_14transform_implILb0ES3_S5_N6thrust23THRUST_200600_302600_NS6detail15normal_iteratorINS8_10device_ptrIyEEEENSA_INSB_IiEEEEZNS1_13binary_searchIS3_S5_SD_SD_SF_NS1_16binary_search_opENS9_16wrapped_functionINS0_4lessIvEEbEEEE10hipError_tPvRmT1_T2_T3_mmT4_T5_P12ihipStream_tbEUlRKyE_EESM_SQ_SR_mSS_SV_bEUlT_E_NS1_11comp_targetILNS1_3genE0ELNS1_11target_archE4294967295ELNS1_3gpuE0ELNS1_3repE0EEENS1_30default_config_static_selectorELNS0_4arch9wavefront6targetE0EEEvSP_.kd
    .uniform_work_group_size: 1
    .uses_dynamic_stack: false
    .vgpr_count:     0
    .vgpr_spill_count: 0
    .wavefront_size: 32
    .workgroup_processor_mode: 1
  - .args:
      - .offset:         0
        .size:           56
        .value_kind:     by_value
    .group_segment_fixed_size: 0
    .kernarg_segment_align: 8
    .kernarg_segment_size: 56
    .language:       OpenCL C
    .language_version:
      - 2
      - 0
    .max_flat_workgroup_size: 64
    .name:           _ZN7rocprim17ROCPRIM_400000_NS6detail17trampoline_kernelINS0_14default_configENS1_29binary_search_config_selectorIyiEEZNS1_14transform_implILb0ES3_S5_N6thrust23THRUST_200600_302600_NS6detail15normal_iteratorINS8_10device_ptrIyEEEENSA_INSB_IiEEEEZNS1_13binary_searchIS3_S5_SD_SD_SF_NS1_16binary_search_opENS9_16wrapped_functionINS0_4lessIvEEbEEEE10hipError_tPvRmT1_T2_T3_mmT4_T5_P12ihipStream_tbEUlRKyE_EESM_SQ_SR_mSS_SV_bEUlT_E_NS1_11comp_targetILNS1_3genE5ELNS1_11target_archE942ELNS1_3gpuE9ELNS1_3repE0EEENS1_30default_config_static_selectorELNS0_4arch9wavefront6targetE0EEEvSP_
    .private_segment_fixed_size: 0
    .sgpr_count:     0
    .sgpr_spill_count: 0
    .symbol:         _ZN7rocprim17ROCPRIM_400000_NS6detail17trampoline_kernelINS0_14default_configENS1_29binary_search_config_selectorIyiEEZNS1_14transform_implILb0ES3_S5_N6thrust23THRUST_200600_302600_NS6detail15normal_iteratorINS8_10device_ptrIyEEEENSA_INSB_IiEEEEZNS1_13binary_searchIS3_S5_SD_SD_SF_NS1_16binary_search_opENS9_16wrapped_functionINS0_4lessIvEEbEEEE10hipError_tPvRmT1_T2_T3_mmT4_T5_P12ihipStream_tbEUlRKyE_EESM_SQ_SR_mSS_SV_bEUlT_E_NS1_11comp_targetILNS1_3genE5ELNS1_11target_archE942ELNS1_3gpuE9ELNS1_3repE0EEENS1_30default_config_static_selectorELNS0_4arch9wavefront6targetE0EEEvSP_.kd
    .uniform_work_group_size: 1
    .uses_dynamic_stack: false
    .vgpr_count:     0
    .vgpr_spill_count: 0
    .wavefront_size: 32
    .workgroup_processor_mode: 1
  - .args:
      - .offset:         0
        .size:           56
        .value_kind:     by_value
    .group_segment_fixed_size: 0
    .kernarg_segment_align: 8
    .kernarg_segment_size: 56
    .language:       OpenCL C
    .language_version:
      - 2
      - 0
    .max_flat_workgroup_size: 64
    .name:           _ZN7rocprim17ROCPRIM_400000_NS6detail17trampoline_kernelINS0_14default_configENS1_29binary_search_config_selectorIyiEEZNS1_14transform_implILb0ES3_S5_N6thrust23THRUST_200600_302600_NS6detail15normal_iteratorINS8_10device_ptrIyEEEENSA_INSB_IiEEEEZNS1_13binary_searchIS3_S5_SD_SD_SF_NS1_16binary_search_opENS9_16wrapped_functionINS0_4lessIvEEbEEEE10hipError_tPvRmT1_T2_T3_mmT4_T5_P12ihipStream_tbEUlRKyE_EESM_SQ_SR_mSS_SV_bEUlT_E_NS1_11comp_targetILNS1_3genE4ELNS1_11target_archE910ELNS1_3gpuE8ELNS1_3repE0EEENS1_30default_config_static_selectorELNS0_4arch9wavefront6targetE0EEEvSP_
    .private_segment_fixed_size: 0
    .sgpr_count:     0
    .sgpr_spill_count: 0
    .symbol:         _ZN7rocprim17ROCPRIM_400000_NS6detail17trampoline_kernelINS0_14default_configENS1_29binary_search_config_selectorIyiEEZNS1_14transform_implILb0ES3_S5_N6thrust23THRUST_200600_302600_NS6detail15normal_iteratorINS8_10device_ptrIyEEEENSA_INSB_IiEEEEZNS1_13binary_searchIS3_S5_SD_SD_SF_NS1_16binary_search_opENS9_16wrapped_functionINS0_4lessIvEEbEEEE10hipError_tPvRmT1_T2_T3_mmT4_T5_P12ihipStream_tbEUlRKyE_EESM_SQ_SR_mSS_SV_bEUlT_E_NS1_11comp_targetILNS1_3genE4ELNS1_11target_archE910ELNS1_3gpuE8ELNS1_3repE0EEENS1_30default_config_static_selectorELNS0_4arch9wavefront6targetE0EEEvSP_.kd
    .uniform_work_group_size: 1
    .uses_dynamic_stack: false
    .vgpr_count:     0
    .vgpr_spill_count: 0
    .wavefront_size: 32
    .workgroup_processor_mode: 1
  - .args:
      - .offset:         0
        .size:           56
        .value_kind:     by_value
    .group_segment_fixed_size: 0
    .kernarg_segment_align: 8
    .kernarg_segment_size: 56
    .language:       OpenCL C
    .language_version:
      - 2
      - 0
    .max_flat_workgroup_size: 256
    .name:           _ZN7rocprim17ROCPRIM_400000_NS6detail17trampoline_kernelINS0_14default_configENS1_29binary_search_config_selectorIyiEEZNS1_14transform_implILb0ES3_S5_N6thrust23THRUST_200600_302600_NS6detail15normal_iteratorINS8_10device_ptrIyEEEENSA_INSB_IiEEEEZNS1_13binary_searchIS3_S5_SD_SD_SF_NS1_16binary_search_opENS9_16wrapped_functionINS0_4lessIvEEbEEEE10hipError_tPvRmT1_T2_T3_mmT4_T5_P12ihipStream_tbEUlRKyE_EESM_SQ_SR_mSS_SV_bEUlT_E_NS1_11comp_targetILNS1_3genE3ELNS1_11target_archE908ELNS1_3gpuE7ELNS1_3repE0EEENS1_30default_config_static_selectorELNS0_4arch9wavefront6targetE0EEEvSP_
    .private_segment_fixed_size: 0
    .sgpr_count:     0
    .sgpr_spill_count: 0
    .symbol:         _ZN7rocprim17ROCPRIM_400000_NS6detail17trampoline_kernelINS0_14default_configENS1_29binary_search_config_selectorIyiEEZNS1_14transform_implILb0ES3_S5_N6thrust23THRUST_200600_302600_NS6detail15normal_iteratorINS8_10device_ptrIyEEEENSA_INSB_IiEEEEZNS1_13binary_searchIS3_S5_SD_SD_SF_NS1_16binary_search_opENS9_16wrapped_functionINS0_4lessIvEEbEEEE10hipError_tPvRmT1_T2_T3_mmT4_T5_P12ihipStream_tbEUlRKyE_EESM_SQ_SR_mSS_SV_bEUlT_E_NS1_11comp_targetILNS1_3genE3ELNS1_11target_archE908ELNS1_3gpuE7ELNS1_3repE0EEENS1_30default_config_static_selectorELNS0_4arch9wavefront6targetE0EEEvSP_.kd
    .uniform_work_group_size: 1
    .uses_dynamic_stack: false
    .vgpr_count:     0
    .vgpr_spill_count: 0
    .wavefront_size: 32
    .workgroup_processor_mode: 1
  - .args:
      - .offset:         0
        .size:           56
        .value_kind:     by_value
    .group_segment_fixed_size: 0
    .kernarg_segment_align: 8
    .kernarg_segment_size: 56
    .language:       OpenCL C
    .language_version:
      - 2
      - 0
    .max_flat_workgroup_size: 256
    .name:           _ZN7rocprim17ROCPRIM_400000_NS6detail17trampoline_kernelINS0_14default_configENS1_29binary_search_config_selectorIyiEEZNS1_14transform_implILb0ES3_S5_N6thrust23THRUST_200600_302600_NS6detail15normal_iteratorINS8_10device_ptrIyEEEENSA_INSB_IiEEEEZNS1_13binary_searchIS3_S5_SD_SD_SF_NS1_16binary_search_opENS9_16wrapped_functionINS0_4lessIvEEbEEEE10hipError_tPvRmT1_T2_T3_mmT4_T5_P12ihipStream_tbEUlRKyE_EESM_SQ_SR_mSS_SV_bEUlT_E_NS1_11comp_targetILNS1_3genE2ELNS1_11target_archE906ELNS1_3gpuE6ELNS1_3repE0EEENS1_30default_config_static_selectorELNS0_4arch9wavefront6targetE0EEEvSP_
    .private_segment_fixed_size: 0
    .sgpr_count:     0
    .sgpr_spill_count: 0
    .symbol:         _ZN7rocprim17ROCPRIM_400000_NS6detail17trampoline_kernelINS0_14default_configENS1_29binary_search_config_selectorIyiEEZNS1_14transform_implILb0ES3_S5_N6thrust23THRUST_200600_302600_NS6detail15normal_iteratorINS8_10device_ptrIyEEEENSA_INSB_IiEEEEZNS1_13binary_searchIS3_S5_SD_SD_SF_NS1_16binary_search_opENS9_16wrapped_functionINS0_4lessIvEEbEEEE10hipError_tPvRmT1_T2_T3_mmT4_T5_P12ihipStream_tbEUlRKyE_EESM_SQ_SR_mSS_SV_bEUlT_E_NS1_11comp_targetILNS1_3genE2ELNS1_11target_archE906ELNS1_3gpuE6ELNS1_3repE0EEENS1_30default_config_static_selectorELNS0_4arch9wavefront6targetE0EEEvSP_.kd
    .uniform_work_group_size: 1
    .uses_dynamic_stack: false
    .vgpr_count:     0
    .vgpr_spill_count: 0
    .wavefront_size: 32
    .workgroup_processor_mode: 1
  - .args:
      - .offset:         0
        .size:           56
        .value_kind:     by_value
    .group_segment_fixed_size: 0
    .kernarg_segment_align: 8
    .kernarg_segment_size: 56
    .language:       OpenCL C
    .language_version:
      - 2
      - 0
    .max_flat_workgroup_size: 128
    .name:           _ZN7rocprim17ROCPRIM_400000_NS6detail17trampoline_kernelINS0_14default_configENS1_29binary_search_config_selectorIyiEEZNS1_14transform_implILb0ES3_S5_N6thrust23THRUST_200600_302600_NS6detail15normal_iteratorINS8_10device_ptrIyEEEENSA_INSB_IiEEEEZNS1_13binary_searchIS3_S5_SD_SD_SF_NS1_16binary_search_opENS9_16wrapped_functionINS0_4lessIvEEbEEEE10hipError_tPvRmT1_T2_T3_mmT4_T5_P12ihipStream_tbEUlRKyE_EESM_SQ_SR_mSS_SV_bEUlT_E_NS1_11comp_targetILNS1_3genE10ELNS1_11target_archE1201ELNS1_3gpuE5ELNS1_3repE0EEENS1_30default_config_static_selectorELNS0_4arch9wavefront6targetE0EEEvSP_
    .private_segment_fixed_size: 0
    .sgpr_count:     0
    .sgpr_spill_count: 0
    .symbol:         _ZN7rocprim17ROCPRIM_400000_NS6detail17trampoline_kernelINS0_14default_configENS1_29binary_search_config_selectorIyiEEZNS1_14transform_implILb0ES3_S5_N6thrust23THRUST_200600_302600_NS6detail15normal_iteratorINS8_10device_ptrIyEEEENSA_INSB_IiEEEEZNS1_13binary_searchIS3_S5_SD_SD_SF_NS1_16binary_search_opENS9_16wrapped_functionINS0_4lessIvEEbEEEE10hipError_tPvRmT1_T2_T3_mmT4_T5_P12ihipStream_tbEUlRKyE_EESM_SQ_SR_mSS_SV_bEUlT_E_NS1_11comp_targetILNS1_3genE10ELNS1_11target_archE1201ELNS1_3gpuE5ELNS1_3repE0EEENS1_30default_config_static_selectorELNS0_4arch9wavefront6targetE0EEEvSP_.kd
    .uniform_work_group_size: 1
    .uses_dynamic_stack: false
    .vgpr_count:     0
    .vgpr_spill_count: 0
    .wavefront_size: 32
    .workgroup_processor_mode: 1
  - .args:
      - .offset:         0
        .size:           56
        .value_kind:     by_value
    .group_segment_fixed_size: 0
    .kernarg_segment_align: 8
    .kernarg_segment_size: 56
    .language:       OpenCL C
    .language_version:
      - 2
      - 0
    .max_flat_workgroup_size: 128
    .name:           _ZN7rocprim17ROCPRIM_400000_NS6detail17trampoline_kernelINS0_14default_configENS1_29binary_search_config_selectorIyiEEZNS1_14transform_implILb0ES3_S5_N6thrust23THRUST_200600_302600_NS6detail15normal_iteratorINS8_10device_ptrIyEEEENSA_INSB_IiEEEEZNS1_13binary_searchIS3_S5_SD_SD_SF_NS1_16binary_search_opENS9_16wrapped_functionINS0_4lessIvEEbEEEE10hipError_tPvRmT1_T2_T3_mmT4_T5_P12ihipStream_tbEUlRKyE_EESM_SQ_SR_mSS_SV_bEUlT_E_NS1_11comp_targetILNS1_3genE10ELNS1_11target_archE1200ELNS1_3gpuE4ELNS1_3repE0EEENS1_30default_config_static_selectorELNS0_4arch9wavefront6targetE0EEEvSP_
    .private_segment_fixed_size: 0
    .sgpr_count:     0
    .sgpr_spill_count: 0
    .symbol:         _ZN7rocprim17ROCPRIM_400000_NS6detail17trampoline_kernelINS0_14default_configENS1_29binary_search_config_selectorIyiEEZNS1_14transform_implILb0ES3_S5_N6thrust23THRUST_200600_302600_NS6detail15normal_iteratorINS8_10device_ptrIyEEEENSA_INSB_IiEEEEZNS1_13binary_searchIS3_S5_SD_SD_SF_NS1_16binary_search_opENS9_16wrapped_functionINS0_4lessIvEEbEEEE10hipError_tPvRmT1_T2_T3_mmT4_T5_P12ihipStream_tbEUlRKyE_EESM_SQ_SR_mSS_SV_bEUlT_E_NS1_11comp_targetILNS1_3genE10ELNS1_11target_archE1200ELNS1_3gpuE4ELNS1_3repE0EEENS1_30default_config_static_selectorELNS0_4arch9wavefront6targetE0EEEvSP_.kd
    .uniform_work_group_size: 1
    .uses_dynamic_stack: false
    .vgpr_count:     0
    .vgpr_spill_count: 0
    .wavefront_size: 32
    .workgroup_processor_mode: 1
  - .args:
      - .offset:         0
        .size:           56
        .value_kind:     by_value
      - .offset:         56
        .size:           4
        .value_kind:     hidden_block_count_x
      - .offset:         60
        .size:           4
        .value_kind:     hidden_block_count_y
      - .offset:         64
        .size:           4
        .value_kind:     hidden_block_count_z
      - .offset:         68
        .size:           2
        .value_kind:     hidden_group_size_x
      - .offset:         70
        .size:           2
        .value_kind:     hidden_group_size_y
      - .offset:         72
        .size:           2
        .value_kind:     hidden_group_size_z
      - .offset:         74
        .size:           2
        .value_kind:     hidden_remainder_x
      - .offset:         76
        .size:           2
        .value_kind:     hidden_remainder_y
      - .offset:         78
        .size:           2
        .value_kind:     hidden_remainder_z
      - .offset:         96
        .size:           8
        .value_kind:     hidden_global_offset_x
      - .offset:         104
        .size:           8
        .value_kind:     hidden_global_offset_y
      - .offset:         112
        .size:           8
        .value_kind:     hidden_global_offset_z
      - .offset:         120
        .size:           2
        .value_kind:     hidden_grid_dims
    .group_segment_fixed_size: 0
    .kernarg_segment_align: 8
    .kernarg_segment_size: 312
    .language:       OpenCL C
    .language_version:
      - 2
      - 0
    .max_flat_workgroup_size: 256
    .name:           _ZN7rocprim17ROCPRIM_400000_NS6detail17trampoline_kernelINS0_14default_configENS1_29binary_search_config_selectorIyiEEZNS1_14transform_implILb0ES3_S5_N6thrust23THRUST_200600_302600_NS6detail15normal_iteratorINS8_10device_ptrIyEEEENSA_INSB_IiEEEEZNS1_13binary_searchIS3_S5_SD_SD_SF_NS1_16binary_search_opENS9_16wrapped_functionINS0_4lessIvEEbEEEE10hipError_tPvRmT1_T2_T3_mmT4_T5_P12ihipStream_tbEUlRKyE_EESM_SQ_SR_mSS_SV_bEUlT_E_NS1_11comp_targetILNS1_3genE9ELNS1_11target_archE1100ELNS1_3gpuE3ELNS1_3repE0EEENS1_30default_config_static_selectorELNS0_4arch9wavefront6targetE0EEEvSP_
    .private_segment_fixed_size: 0
    .sgpr_count:     30
    .sgpr_spill_count: 0
    .symbol:         _ZN7rocprim17ROCPRIM_400000_NS6detail17trampoline_kernelINS0_14default_configENS1_29binary_search_config_selectorIyiEEZNS1_14transform_implILb0ES3_S5_N6thrust23THRUST_200600_302600_NS6detail15normal_iteratorINS8_10device_ptrIyEEEENSA_INSB_IiEEEEZNS1_13binary_searchIS3_S5_SD_SD_SF_NS1_16binary_search_opENS9_16wrapped_functionINS0_4lessIvEEbEEEE10hipError_tPvRmT1_T2_T3_mmT4_T5_P12ihipStream_tbEUlRKyE_EESM_SQ_SR_mSS_SV_bEUlT_E_NS1_11comp_targetILNS1_3genE9ELNS1_11target_archE1100ELNS1_3gpuE3ELNS1_3repE0EEENS1_30default_config_static_selectorELNS0_4arch9wavefront6targetE0EEEvSP_.kd
    .uniform_work_group_size: 1
    .uses_dynamic_stack: false
    .vgpr_count:     42
    .vgpr_spill_count: 0
    .wavefront_size: 32
    .workgroup_processor_mode: 1
  - .args:
      - .offset:         0
        .size:           56
        .value_kind:     by_value
    .group_segment_fixed_size: 0
    .kernarg_segment_align: 8
    .kernarg_segment_size: 56
    .language:       OpenCL C
    .language_version:
      - 2
      - 0
    .max_flat_workgroup_size: 256
    .name:           _ZN7rocprim17ROCPRIM_400000_NS6detail17trampoline_kernelINS0_14default_configENS1_29binary_search_config_selectorIyiEEZNS1_14transform_implILb0ES3_S5_N6thrust23THRUST_200600_302600_NS6detail15normal_iteratorINS8_10device_ptrIyEEEENSA_INSB_IiEEEEZNS1_13binary_searchIS3_S5_SD_SD_SF_NS1_16binary_search_opENS9_16wrapped_functionINS0_4lessIvEEbEEEE10hipError_tPvRmT1_T2_T3_mmT4_T5_P12ihipStream_tbEUlRKyE_EESM_SQ_SR_mSS_SV_bEUlT_E_NS1_11comp_targetILNS1_3genE8ELNS1_11target_archE1030ELNS1_3gpuE2ELNS1_3repE0EEENS1_30default_config_static_selectorELNS0_4arch9wavefront6targetE0EEEvSP_
    .private_segment_fixed_size: 0
    .sgpr_count:     0
    .sgpr_spill_count: 0
    .symbol:         _ZN7rocprim17ROCPRIM_400000_NS6detail17trampoline_kernelINS0_14default_configENS1_29binary_search_config_selectorIyiEEZNS1_14transform_implILb0ES3_S5_N6thrust23THRUST_200600_302600_NS6detail15normal_iteratorINS8_10device_ptrIyEEEENSA_INSB_IiEEEEZNS1_13binary_searchIS3_S5_SD_SD_SF_NS1_16binary_search_opENS9_16wrapped_functionINS0_4lessIvEEbEEEE10hipError_tPvRmT1_T2_T3_mmT4_T5_P12ihipStream_tbEUlRKyE_EESM_SQ_SR_mSS_SV_bEUlT_E_NS1_11comp_targetILNS1_3genE8ELNS1_11target_archE1030ELNS1_3gpuE2ELNS1_3repE0EEENS1_30default_config_static_selectorELNS0_4arch9wavefront6targetE0EEEvSP_.kd
    .uniform_work_group_size: 1
    .uses_dynamic_stack: false
    .vgpr_count:     0
    .vgpr_spill_count: 0
    .wavefront_size: 32
    .workgroup_processor_mode: 1
  - .args:
      - .offset:         0
        .size:           56
        .value_kind:     by_value
    .group_segment_fixed_size: 0
    .kernarg_segment_align: 8
    .kernarg_segment_size: 56
    .language:       OpenCL C
    .language_version:
      - 2
      - 0
    .max_flat_workgroup_size: 256
    .name:           _ZN7rocprim17ROCPRIM_400000_NS6detail17trampoline_kernelINS0_14default_configENS1_29binary_search_config_selectorIjbEEZNS1_14transform_implILb0ES3_S5_N6thrust23THRUST_200600_302600_NS6detail15normal_iteratorINS8_10device_ptrIjEEEENSA_INSB_IbEEEEZNS1_13binary_searchIS3_S5_SD_SD_SF_NS1_16binary_search_opENS9_16wrapped_functionINS0_4lessIvEEbEEEE10hipError_tPvRmT1_T2_T3_mmT4_T5_P12ihipStream_tbEUlRKjE_EESM_SQ_SR_mSS_SV_bEUlT_E_NS1_11comp_targetILNS1_3genE0ELNS1_11target_archE4294967295ELNS1_3gpuE0ELNS1_3repE0EEENS1_30default_config_static_selectorELNS0_4arch9wavefront6targetE0EEEvSP_
    .private_segment_fixed_size: 0
    .sgpr_count:     0
    .sgpr_spill_count: 0
    .symbol:         _ZN7rocprim17ROCPRIM_400000_NS6detail17trampoline_kernelINS0_14default_configENS1_29binary_search_config_selectorIjbEEZNS1_14transform_implILb0ES3_S5_N6thrust23THRUST_200600_302600_NS6detail15normal_iteratorINS8_10device_ptrIjEEEENSA_INSB_IbEEEEZNS1_13binary_searchIS3_S5_SD_SD_SF_NS1_16binary_search_opENS9_16wrapped_functionINS0_4lessIvEEbEEEE10hipError_tPvRmT1_T2_T3_mmT4_T5_P12ihipStream_tbEUlRKjE_EESM_SQ_SR_mSS_SV_bEUlT_E_NS1_11comp_targetILNS1_3genE0ELNS1_11target_archE4294967295ELNS1_3gpuE0ELNS1_3repE0EEENS1_30default_config_static_selectorELNS0_4arch9wavefront6targetE0EEEvSP_.kd
    .uniform_work_group_size: 1
    .uses_dynamic_stack: false
    .vgpr_count:     0
    .vgpr_spill_count: 0
    .wavefront_size: 32
    .workgroup_processor_mode: 1
  - .args:
      - .offset:         0
        .size:           56
        .value_kind:     by_value
    .group_segment_fixed_size: 0
    .kernarg_segment_align: 8
    .kernarg_segment_size: 56
    .language:       OpenCL C
    .language_version:
      - 2
      - 0
    .max_flat_workgroup_size: 256
    .name:           _ZN7rocprim17ROCPRIM_400000_NS6detail17trampoline_kernelINS0_14default_configENS1_29binary_search_config_selectorIjbEEZNS1_14transform_implILb0ES3_S5_N6thrust23THRUST_200600_302600_NS6detail15normal_iteratorINS8_10device_ptrIjEEEENSA_INSB_IbEEEEZNS1_13binary_searchIS3_S5_SD_SD_SF_NS1_16binary_search_opENS9_16wrapped_functionINS0_4lessIvEEbEEEE10hipError_tPvRmT1_T2_T3_mmT4_T5_P12ihipStream_tbEUlRKjE_EESM_SQ_SR_mSS_SV_bEUlT_E_NS1_11comp_targetILNS1_3genE5ELNS1_11target_archE942ELNS1_3gpuE9ELNS1_3repE0EEENS1_30default_config_static_selectorELNS0_4arch9wavefront6targetE0EEEvSP_
    .private_segment_fixed_size: 0
    .sgpr_count:     0
    .sgpr_spill_count: 0
    .symbol:         _ZN7rocprim17ROCPRIM_400000_NS6detail17trampoline_kernelINS0_14default_configENS1_29binary_search_config_selectorIjbEEZNS1_14transform_implILb0ES3_S5_N6thrust23THRUST_200600_302600_NS6detail15normal_iteratorINS8_10device_ptrIjEEEENSA_INSB_IbEEEEZNS1_13binary_searchIS3_S5_SD_SD_SF_NS1_16binary_search_opENS9_16wrapped_functionINS0_4lessIvEEbEEEE10hipError_tPvRmT1_T2_T3_mmT4_T5_P12ihipStream_tbEUlRKjE_EESM_SQ_SR_mSS_SV_bEUlT_E_NS1_11comp_targetILNS1_3genE5ELNS1_11target_archE942ELNS1_3gpuE9ELNS1_3repE0EEENS1_30default_config_static_selectorELNS0_4arch9wavefront6targetE0EEEvSP_.kd
    .uniform_work_group_size: 1
    .uses_dynamic_stack: false
    .vgpr_count:     0
    .vgpr_spill_count: 0
    .wavefront_size: 32
    .workgroup_processor_mode: 1
  - .args:
      - .offset:         0
        .size:           56
        .value_kind:     by_value
    .group_segment_fixed_size: 0
    .kernarg_segment_align: 8
    .kernarg_segment_size: 56
    .language:       OpenCL C
    .language_version:
      - 2
      - 0
    .max_flat_workgroup_size: 256
    .name:           _ZN7rocprim17ROCPRIM_400000_NS6detail17trampoline_kernelINS0_14default_configENS1_29binary_search_config_selectorIjbEEZNS1_14transform_implILb0ES3_S5_N6thrust23THRUST_200600_302600_NS6detail15normal_iteratorINS8_10device_ptrIjEEEENSA_INSB_IbEEEEZNS1_13binary_searchIS3_S5_SD_SD_SF_NS1_16binary_search_opENS9_16wrapped_functionINS0_4lessIvEEbEEEE10hipError_tPvRmT1_T2_T3_mmT4_T5_P12ihipStream_tbEUlRKjE_EESM_SQ_SR_mSS_SV_bEUlT_E_NS1_11comp_targetILNS1_3genE4ELNS1_11target_archE910ELNS1_3gpuE8ELNS1_3repE0EEENS1_30default_config_static_selectorELNS0_4arch9wavefront6targetE0EEEvSP_
    .private_segment_fixed_size: 0
    .sgpr_count:     0
    .sgpr_spill_count: 0
    .symbol:         _ZN7rocprim17ROCPRIM_400000_NS6detail17trampoline_kernelINS0_14default_configENS1_29binary_search_config_selectorIjbEEZNS1_14transform_implILb0ES3_S5_N6thrust23THRUST_200600_302600_NS6detail15normal_iteratorINS8_10device_ptrIjEEEENSA_INSB_IbEEEEZNS1_13binary_searchIS3_S5_SD_SD_SF_NS1_16binary_search_opENS9_16wrapped_functionINS0_4lessIvEEbEEEE10hipError_tPvRmT1_T2_T3_mmT4_T5_P12ihipStream_tbEUlRKjE_EESM_SQ_SR_mSS_SV_bEUlT_E_NS1_11comp_targetILNS1_3genE4ELNS1_11target_archE910ELNS1_3gpuE8ELNS1_3repE0EEENS1_30default_config_static_selectorELNS0_4arch9wavefront6targetE0EEEvSP_.kd
    .uniform_work_group_size: 1
    .uses_dynamic_stack: false
    .vgpr_count:     0
    .vgpr_spill_count: 0
    .wavefront_size: 32
    .workgroup_processor_mode: 1
  - .args:
      - .offset:         0
        .size:           56
        .value_kind:     by_value
    .group_segment_fixed_size: 0
    .kernarg_segment_align: 8
    .kernarg_segment_size: 56
    .language:       OpenCL C
    .language_version:
      - 2
      - 0
    .max_flat_workgroup_size: 256
    .name:           _ZN7rocprim17ROCPRIM_400000_NS6detail17trampoline_kernelINS0_14default_configENS1_29binary_search_config_selectorIjbEEZNS1_14transform_implILb0ES3_S5_N6thrust23THRUST_200600_302600_NS6detail15normal_iteratorINS8_10device_ptrIjEEEENSA_INSB_IbEEEEZNS1_13binary_searchIS3_S5_SD_SD_SF_NS1_16binary_search_opENS9_16wrapped_functionINS0_4lessIvEEbEEEE10hipError_tPvRmT1_T2_T3_mmT4_T5_P12ihipStream_tbEUlRKjE_EESM_SQ_SR_mSS_SV_bEUlT_E_NS1_11comp_targetILNS1_3genE3ELNS1_11target_archE908ELNS1_3gpuE7ELNS1_3repE0EEENS1_30default_config_static_selectorELNS0_4arch9wavefront6targetE0EEEvSP_
    .private_segment_fixed_size: 0
    .sgpr_count:     0
    .sgpr_spill_count: 0
    .symbol:         _ZN7rocprim17ROCPRIM_400000_NS6detail17trampoline_kernelINS0_14default_configENS1_29binary_search_config_selectorIjbEEZNS1_14transform_implILb0ES3_S5_N6thrust23THRUST_200600_302600_NS6detail15normal_iteratorINS8_10device_ptrIjEEEENSA_INSB_IbEEEEZNS1_13binary_searchIS3_S5_SD_SD_SF_NS1_16binary_search_opENS9_16wrapped_functionINS0_4lessIvEEbEEEE10hipError_tPvRmT1_T2_T3_mmT4_T5_P12ihipStream_tbEUlRKjE_EESM_SQ_SR_mSS_SV_bEUlT_E_NS1_11comp_targetILNS1_3genE3ELNS1_11target_archE908ELNS1_3gpuE7ELNS1_3repE0EEENS1_30default_config_static_selectorELNS0_4arch9wavefront6targetE0EEEvSP_.kd
    .uniform_work_group_size: 1
    .uses_dynamic_stack: false
    .vgpr_count:     0
    .vgpr_spill_count: 0
    .wavefront_size: 32
    .workgroup_processor_mode: 1
  - .args:
      - .offset:         0
        .size:           56
        .value_kind:     by_value
    .group_segment_fixed_size: 0
    .kernarg_segment_align: 8
    .kernarg_segment_size: 56
    .language:       OpenCL C
    .language_version:
      - 2
      - 0
    .max_flat_workgroup_size: 256
    .name:           _ZN7rocprim17ROCPRIM_400000_NS6detail17trampoline_kernelINS0_14default_configENS1_29binary_search_config_selectorIjbEEZNS1_14transform_implILb0ES3_S5_N6thrust23THRUST_200600_302600_NS6detail15normal_iteratorINS8_10device_ptrIjEEEENSA_INSB_IbEEEEZNS1_13binary_searchIS3_S5_SD_SD_SF_NS1_16binary_search_opENS9_16wrapped_functionINS0_4lessIvEEbEEEE10hipError_tPvRmT1_T2_T3_mmT4_T5_P12ihipStream_tbEUlRKjE_EESM_SQ_SR_mSS_SV_bEUlT_E_NS1_11comp_targetILNS1_3genE2ELNS1_11target_archE906ELNS1_3gpuE6ELNS1_3repE0EEENS1_30default_config_static_selectorELNS0_4arch9wavefront6targetE0EEEvSP_
    .private_segment_fixed_size: 0
    .sgpr_count:     0
    .sgpr_spill_count: 0
    .symbol:         _ZN7rocprim17ROCPRIM_400000_NS6detail17trampoline_kernelINS0_14default_configENS1_29binary_search_config_selectorIjbEEZNS1_14transform_implILb0ES3_S5_N6thrust23THRUST_200600_302600_NS6detail15normal_iteratorINS8_10device_ptrIjEEEENSA_INSB_IbEEEEZNS1_13binary_searchIS3_S5_SD_SD_SF_NS1_16binary_search_opENS9_16wrapped_functionINS0_4lessIvEEbEEEE10hipError_tPvRmT1_T2_T3_mmT4_T5_P12ihipStream_tbEUlRKjE_EESM_SQ_SR_mSS_SV_bEUlT_E_NS1_11comp_targetILNS1_3genE2ELNS1_11target_archE906ELNS1_3gpuE6ELNS1_3repE0EEENS1_30default_config_static_selectorELNS0_4arch9wavefront6targetE0EEEvSP_.kd
    .uniform_work_group_size: 1
    .uses_dynamic_stack: false
    .vgpr_count:     0
    .vgpr_spill_count: 0
    .wavefront_size: 32
    .workgroup_processor_mode: 1
  - .args:
      - .offset:         0
        .size:           56
        .value_kind:     by_value
    .group_segment_fixed_size: 0
    .kernarg_segment_align: 8
    .kernarg_segment_size: 56
    .language:       OpenCL C
    .language_version:
      - 2
      - 0
    .max_flat_workgroup_size: 128
    .name:           _ZN7rocprim17ROCPRIM_400000_NS6detail17trampoline_kernelINS0_14default_configENS1_29binary_search_config_selectorIjbEEZNS1_14transform_implILb0ES3_S5_N6thrust23THRUST_200600_302600_NS6detail15normal_iteratorINS8_10device_ptrIjEEEENSA_INSB_IbEEEEZNS1_13binary_searchIS3_S5_SD_SD_SF_NS1_16binary_search_opENS9_16wrapped_functionINS0_4lessIvEEbEEEE10hipError_tPvRmT1_T2_T3_mmT4_T5_P12ihipStream_tbEUlRKjE_EESM_SQ_SR_mSS_SV_bEUlT_E_NS1_11comp_targetILNS1_3genE10ELNS1_11target_archE1201ELNS1_3gpuE5ELNS1_3repE0EEENS1_30default_config_static_selectorELNS0_4arch9wavefront6targetE0EEEvSP_
    .private_segment_fixed_size: 0
    .sgpr_count:     0
    .sgpr_spill_count: 0
    .symbol:         _ZN7rocprim17ROCPRIM_400000_NS6detail17trampoline_kernelINS0_14default_configENS1_29binary_search_config_selectorIjbEEZNS1_14transform_implILb0ES3_S5_N6thrust23THRUST_200600_302600_NS6detail15normal_iteratorINS8_10device_ptrIjEEEENSA_INSB_IbEEEEZNS1_13binary_searchIS3_S5_SD_SD_SF_NS1_16binary_search_opENS9_16wrapped_functionINS0_4lessIvEEbEEEE10hipError_tPvRmT1_T2_T3_mmT4_T5_P12ihipStream_tbEUlRKjE_EESM_SQ_SR_mSS_SV_bEUlT_E_NS1_11comp_targetILNS1_3genE10ELNS1_11target_archE1201ELNS1_3gpuE5ELNS1_3repE0EEENS1_30default_config_static_selectorELNS0_4arch9wavefront6targetE0EEEvSP_.kd
    .uniform_work_group_size: 1
    .uses_dynamic_stack: false
    .vgpr_count:     0
    .vgpr_spill_count: 0
    .wavefront_size: 32
    .workgroup_processor_mode: 1
  - .args:
      - .offset:         0
        .size:           56
        .value_kind:     by_value
    .group_segment_fixed_size: 0
    .kernarg_segment_align: 8
    .kernarg_segment_size: 56
    .language:       OpenCL C
    .language_version:
      - 2
      - 0
    .max_flat_workgroup_size: 128
    .name:           _ZN7rocprim17ROCPRIM_400000_NS6detail17trampoline_kernelINS0_14default_configENS1_29binary_search_config_selectorIjbEEZNS1_14transform_implILb0ES3_S5_N6thrust23THRUST_200600_302600_NS6detail15normal_iteratorINS8_10device_ptrIjEEEENSA_INSB_IbEEEEZNS1_13binary_searchIS3_S5_SD_SD_SF_NS1_16binary_search_opENS9_16wrapped_functionINS0_4lessIvEEbEEEE10hipError_tPvRmT1_T2_T3_mmT4_T5_P12ihipStream_tbEUlRKjE_EESM_SQ_SR_mSS_SV_bEUlT_E_NS1_11comp_targetILNS1_3genE10ELNS1_11target_archE1200ELNS1_3gpuE4ELNS1_3repE0EEENS1_30default_config_static_selectorELNS0_4arch9wavefront6targetE0EEEvSP_
    .private_segment_fixed_size: 0
    .sgpr_count:     0
    .sgpr_spill_count: 0
    .symbol:         _ZN7rocprim17ROCPRIM_400000_NS6detail17trampoline_kernelINS0_14default_configENS1_29binary_search_config_selectorIjbEEZNS1_14transform_implILb0ES3_S5_N6thrust23THRUST_200600_302600_NS6detail15normal_iteratorINS8_10device_ptrIjEEEENSA_INSB_IbEEEEZNS1_13binary_searchIS3_S5_SD_SD_SF_NS1_16binary_search_opENS9_16wrapped_functionINS0_4lessIvEEbEEEE10hipError_tPvRmT1_T2_T3_mmT4_T5_P12ihipStream_tbEUlRKjE_EESM_SQ_SR_mSS_SV_bEUlT_E_NS1_11comp_targetILNS1_3genE10ELNS1_11target_archE1200ELNS1_3gpuE4ELNS1_3repE0EEENS1_30default_config_static_selectorELNS0_4arch9wavefront6targetE0EEEvSP_.kd
    .uniform_work_group_size: 1
    .uses_dynamic_stack: false
    .vgpr_count:     0
    .vgpr_spill_count: 0
    .wavefront_size: 32
    .workgroup_processor_mode: 1
  - .args:
      - .offset:         0
        .size:           56
        .value_kind:     by_value
      - .offset:         56
        .size:           4
        .value_kind:     hidden_block_count_x
      - .offset:         60
        .size:           4
        .value_kind:     hidden_block_count_y
      - .offset:         64
        .size:           4
        .value_kind:     hidden_block_count_z
      - .offset:         68
        .size:           2
        .value_kind:     hidden_group_size_x
      - .offset:         70
        .size:           2
        .value_kind:     hidden_group_size_y
      - .offset:         72
        .size:           2
        .value_kind:     hidden_group_size_z
      - .offset:         74
        .size:           2
        .value_kind:     hidden_remainder_x
      - .offset:         76
        .size:           2
        .value_kind:     hidden_remainder_y
      - .offset:         78
        .size:           2
        .value_kind:     hidden_remainder_z
      - .offset:         96
        .size:           8
        .value_kind:     hidden_global_offset_x
      - .offset:         104
        .size:           8
        .value_kind:     hidden_global_offset_y
      - .offset:         112
        .size:           8
        .value_kind:     hidden_global_offset_z
      - .offset:         120
        .size:           2
        .value_kind:     hidden_grid_dims
    .group_segment_fixed_size: 0
    .kernarg_segment_align: 8
    .kernarg_segment_size: 312
    .language:       OpenCL C
    .language_version:
      - 2
      - 0
    .max_flat_workgroup_size: 256
    .name:           _ZN7rocprim17ROCPRIM_400000_NS6detail17trampoline_kernelINS0_14default_configENS1_29binary_search_config_selectorIjbEEZNS1_14transform_implILb0ES3_S5_N6thrust23THRUST_200600_302600_NS6detail15normal_iteratorINS8_10device_ptrIjEEEENSA_INSB_IbEEEEZNS1_13binary_searchIS3_S5_SD_SD_SF_NS1_16binary_search_opENS9_16wrapped_functionINS0_4lessIvEEbEEEE10hipError_tPvRmT1_T2_T3_mmT4_T5_P12ihipStream_tbEUlRKjE_EESM_SQ_SR_mSS_SV_bEUlT_E_NS1_11comp_targetILNS1_3genE9ELNS1_11target_archE1100ELNS1_3gpuE3ELNS1_3repE0EEENS1_30default_config_static_selectorELNS0_4arch9wavefront6targetE0EEEvSP_
    .private_segment_fixed_size: 0
    .sgpr_count:     22
    .sgpr_spill_count: 0
    .symbol:         _ZN7rocprim17ROCPRIM_400000_NS6detail17trampoline_kernelINS0_14default_configENS1_29binary_search_config_selectorIjbEEZNS1_14transform_implILb0ES3_S5_N6thrust23THRUST_200600_302600_NS6detail15normal_iteratorINS8_10device_ptrIjEEEENSA_INSB_IbEEEEZNS1_13binary_searchIS3_S5_SD_SD_SF_NS1_16binary_search_opENS9_16wrapped_functionINS0_4lessIvEEbEEEE10hipError_tPvRmT1_T2_T3_mmT4_T5_P12ihipStream_tbEUlRKjE_EESM_SQ_SR_mSS_SV_bEUlT_E_NS1_11comp_targetILNS1_3genE9ELNS1_11target_archE1100ELNS1_3gpuE3ELNS1_3repE0EEENS1_30default_config_static_selectorELNS0_4arch9wavefront6targetE0EEEvSP_.kd
    .uniform_work_group_size: 1
    .uses_dynamic_stack: false
    .vgpr_count:     11
    .vgpr_spill_count: 0
    .wavefront_size: 32
    .workgroup_processor_mode: 1
  - .args:
      - .offset:         0
        .size:           56
        .value_kind:     by_value
    .group_segment_fixed_size: 0
    .kernarg_segment_align: 8
    .kernarg_segment_size: 56
    .language:       OpenCL C
    .language_version:
      - 2
      - 0
    .max_flat_workgroup_size: 256
    .name:           _ZN7rocprim17ROCPRIM_400000_NS6detail17trampoline_kernelINS0_14default_configENS1_29binary_search_config_selectorIjbEEZNS1_14transform_implILb0ES3_S5_N6thrust23THRUST_200600_302600_NS6detail15normal_iteratorINS8_10device_ptrIjEEEENSA_INSB_IbEEEEZNS1_13binary_searchIS3_S5_SD_SD_SF_NS1_16binary_search_opENS9_16wrapped_functionINS0_4lessIvEEbEEEE10hipError_tPvRmT1_T2_T3_mmT4_T5_P12ihipStream_tbEUlRKjE_EESM_SQ_SR_mSS_SV_bEUlT_E_NS1_11comp_targetILNS1_3genE8ELNS1_11target_archE1030ELNS1_3gpuE2ELNS1_3repE0EEENS1_30default_config_static_selectorELNS0_4arch9wavefront6targetE0EEEvSP_
    .private_segment_fixed_size: 0
    .sgpr_count:     0
    .sgpr_spill_count: 0
    .symbol:         _ZN7rocprim17ROCPRIM_400000_NS6detail17trampoline_kernelINS0_14default_configENS1_29binary_search_config_selectorIjbEEZNS1_14transform_implILb0ES3_S5_N6thrust23THRUST_200600_302600_NS6detail15normal_iteratorINS8_10device_ptrIjEEEENSA_INSB_IbEEEEZNS1_13binary_searchIS3_S5_SD_SD_SF_NS1_16binary_search_opENS9_16wrapped_functionINS0_4lessIvEEbEEEE10hipError_tPvRmT1_T2_T3_mmT4_T5_P12ihipStream_tbEUlRKjE_EESM_SQ_SR_mSS_SV_bEUlT_E_NS1_11comp_targetILNS1_3genE8ELNS1_11target_archE1030ELNS1_3gpuE2ELNS1_3repE0EEENS1_30default_config_static_selectorELNS0_4arch9wavefront6targetE0EEEvSP_.kd
    .uniform_work_group_size: 1
    .uses_dynamic_stack: false
    .vgpr_count:     0
    .vgpr_spill_count: 0
    .wavefront_size: 32
    .workgroup_processor_mode: 1
  - .args:
      - .offset:         0
        .size:           56
        .value_kind:     by_value
    .group_segment_fixed_size: 0
    .kernarg_segment_align: 8
    .kernarg_segment_size: 56
    .language:       OpenCL C
    .language_version:
      - 2
      - 0
    .max_flat_workgroup_size: 256
    .name:           _ZN7rocprim17ROCPRIM_400000_NS6detail17trampoline_kernelINS0_14default_configENS1_29binary_search_config_selectorIjiEEZNS1_14transform_implILb0ES3_S5_N6thrust23THRUST_200600_302600_NS6detail15normal_iteratorINS8_10device_ptrIjEEEENSA_INSB_IiEEEEZNS1_13binary_searchIS3_S5_SD_SD_SF_NS1_16binary_search_opENS9_16wrapped_functionINS0_4lessIvEEbEEEE10hipError_tPvRmT1_T2_T3_mmT4_T5_P12ihipStream_tbEUlRKjE_EESM_SQ_SR_mSS_SV_bEUlT_E_NS1_11comp_targetILNS1_3genE0ELNS1_11target_archE4294967295ELNS1_3gpuE0ELNS1_3repE0EEENS1_30default_config_static_selectorELNS0_4arch9wavefront6targetE0EEEvSP_
    .private_segment_fixed_size: 0
    .sgpr_count:     0
    .sgpr_spill_count: 0
    .symbol:         _ZN7rocprim17ROCPRIM_400000_NS6detail17trampoline_kernelINS0_14default_configENS1_29binary_search_config_selectorIjiEEZNS1_14transform_implILb0ES3_S5_N6thrust23THRUST_200600_302600_NS6detail15normal_iteratorINS8_10device_ptrIjEEEENSA_INSB_IiEEEEZNS1_13binary_searchIS3_S5_SD_SD_SF_NS1_16binary_search_opENS9_16wrapped_functionINS0_4lessIvEEbEEEE10hipError_tPvRmT1_T2_T3_mmT4_T5_P12ihipStream_tbEUlRKjE_EESM_SQ_SR_mSS_SV_bEUlT_E_NS1_11comp_targetILNS1_3genE0ELNS1_11target_archE4294967295ELNS1_3gpuE0ELNS1_3repE0EEENS1_30default_config_static_selectorELNS0_4arch9wavefront6targetE0EEEvSP_.kd
    .uniform_work_group_size: 1
    .uses_dynamic_stack: false
    .vgpr_count:     0
    .vgpr_spill_count: 0
    .wavefront_size: 32
    .workgroup_processor_mode: 1
  - .args:
      - .offset:         0
        .size:           56
        .value_kind:     by_value
    .group_segment_fixed_size: 0
    .kernarg_segment_align: 8
    .kernarg_segment_size: 56
    .language:       OpenCL C
    .language_version:
      - 2
      - 0
    .max_flat_workgroup_size: 256
    .name:           _ZN7rocprim17ROCPRIM_400000_NS6detail17trampoline_kernelINS0_14default_configENS1_29binary_search_config_selectorIjiEEZNS1_14transform_implILb0ES3_S5_N6thrust23THRUST_200600_302600_NS6detail15normal_iteratorINS8_10device_ptrIjEEEENSA_INSB_IiEEEEZNS1_13binary_searchIS3_S5_SD_SD_SF_NS1_16binary_search_opENS9_16wrapped_functionINS0_4lessIvEEbEEEE10hipError_tPvRmT1_T2_T3_mmT4_T5_P12ihipStream_tbEUlRKjE_EESM_SQ_SR_mSS_SV_bEUlT_E_NS1_11comp_targetILNS1_3genE5ELNS1_11target_archE942ELNS1_3gpuE9ELNS1_3repE0EEENS1_30default_config_static_selectorELNS0_4arch9wavefront6targetE0EEEvSP_
    .private_segment_fixed_size: 0
    .sgpr_count:     0
    .sgpr_spill_count: 0
    .symbol:         _ZN7rocprim17ROCPRIM_400000_NS6detail17trampoline_kernelINS0_14default_configENS1_29binary_search_config_selectorIjiEEZNS1_14transform_implILb0ES3_S5_N6thrust23THRUST_200600_302600_NS6detail15normal_iteratorINS8_10device_ptrIjEEEENSA_INSB_IiEEEEZNS1_13binary_searchIS3_S5_SD_SD_SF_NS1_16binary_search_opENS9_16wrapped_functionINS0_4lessIvEEbEEEE10hipError_tPvRmT1_T2_T3_mmT4_T5_P12ihipStream_tbEUlRKjE_EESM_SQ_SR_mSS_SV_bEUlT_E_NS1_11comp_targetILNS1_3genE5ELNS1_11target_archE942ELNS1_3gpuE9ELNS1_3repE0EEENS1_30default_config_static_selectorELNS0_4arch9wavefront6targetE0EEEvSP_.kd
    .uniform_work_group_size: 1
    .uses_dynamic_stack: false
    .vgpr_count:     0
    .vgpr_spill_count: 0
    .wavefront_size: 32
    .workgroup_processor_mode: 1
  - .args:
      - .offset:         0
        .size:           56
        .value_kind:     by_value
    .group_segment_fixed_size: 0
    .kernarg_segment_align: 8
    .kernarg_segment_size: 56
    .language:       OpenCL C
    .language_version:
      - 2
      - 0
    .max_flat_workgroup_size: 256
    .name:           _ZN7rocprim17ROCPRIM_400000_NS6detail17trampoline_kernelINS0_14default_configENS1_29binary_search_config_selectorIjiEEZNS1_14transform_implILb0ES3_S5_N6thrust23THRUST_200600_302600_NS6detail15normal_iteratorINS8_10device_ptrIjEEEENSA_INSB_IiEEEEZNS1_13binary_searchIS3_S5_SD_SD_SF_NS1_16binary_search_opENS9_16wrapped_functionINS0_4lessIvEEbEEEE10hipError_tPvRmT1_T2_T3_mmT4_T5_P12ihipStream_tbEUlRKjE_EESM_SQ_SR_mSS_SV_bEUlT_E_NS1_11comp_targetILNS1_3genE4ELNS1_11target_archE910ELNS1_3gpuE8ELNS1_3repE0EEENS1_30default_config_static_selectorELNS0_4arch9wavefront6targetE0EEEvSP_
    .private_segment_fixed_size: 0
    .sgpr_count:     0
    .sgpr_spill_count: 0
    .symbol:         _ZN7rocprim17ROCPRIM_400000_NS6detail17trampoline_kernelINS0_14default_configENS1_29binary_search_config_selectorIjiEEZNS1_14transform_implILb0ES3_S5_N6thrust23THRUST_200600_302600_NS6detail15normal_iteratorINS8_10device_ptrIjEEEENSA_INSB_IiEEEEZNS1_13binary_searchIS3_S5_SD_SD_SF_NS1_16binary_search_opENS9_16wrapped_functionINS0_4lessIvEEbEEEE10hipError_tPvRmT1_T2_T3_mmT4_T5_P12ihipStream_tbEUlRKjE_EESM_SQ_SR_mSS_SV_bEUlT_E_NS1_11comp_targetILNS1_3genE4ELNS1_11target_archE910ELNS1_3gpuE8ELNS1_3repE0EEENS1_30default_config_static_selectorELNS0_4arch9wavefront6targetE0EEEvSP_.kd
    .uniform_work_group_size: 1
    .uses_dynamic_stack: false
    .vgpr_count:     0
    .vgpr_spill_count: 0
    .wavefront_size: 32
    .workgroup_processor_mode: 1
  - .args:
      - .offset:         0
        .size:           56
        .value_kind:     by_value
    .group_segment_fixed_size: 0
    .kernarg_segment_align: 8
    .kernarg_segment_size: 56
    .language:       OpenCL C
    .language_version:
      - 2
      - 0
    .max_flat_workgroup_size: 256
    .name:           _ZN7rocprim17ROCPRIM_400000_NS6detail17trampoline_kernelINS0_14default_configENS1_29binary_search_config_selectorIjiEEZNS1_14transform_implILb0ES3_S5_N6thrust23THRUST_200600_302600_NS6detail15normal_iteratorINS8_10device_ptrIjEEEENSA_INSB_IiEEEEZNS1_13binary_searchIS3_S5_SD_SD_SF_NS1_16binary_search_opENS9_16wrapped_functionINS0_4lessIvEEbEEEE10hipError_tPvRmT1_T2_T3_mmT4_T5_P12ihipStream_tbEUlRKjE_EESM_SQ_SR_mSS_SV_bEUlT_E_NS1_11comp_targetILNS1_3genE3ELNS1_11target_archE908ELNS1_3gpuE7ELNS1_3repE0EEENS1_30default_config_static_selectorELNS0_4arch9wavefront6targetE0EEEvSP_
    .private_segment_fixed_size: 0
    .sgpr_count:     0
    .sgpr_spill_count: 0
    .symbol:         _ZN7rocprim17ROCPRIM_400000_NS6detail17trampoline_kernelINS0_14default_configENS1_29binary_search_config_selectorIjiEEZNS1_14transform_implILb0ES3_S5_N6thrust23THRUST_200600_302600_NS6detail15normal_iteratorINS8_10device_ptrIjEEEENSA_INSB_IiEEEEZNS1_13binary_searchIS3_S5_SD_SD_SF_NS1_16binary_search_opENS9_16wrapped_functionINS0_4lessIvEEbEEEE10hipError_tPvRmT1_T2_T3_mmT4_T5_P12ihipStream_tbEUlRKjE_EESM_SQ_SR_mSS_SV_bEUlT_E_NS1_11comp_targetILNS1_3genE3ELNS1_11target_archE908ELNS1_3gpuE7ELNS1_3repE0EEENS1_30default_config_static_selectorELNS0_4arch9wavefront6targetE0EEEvSP_.kd
    .uniform_work_group_size: 1
    .uses_dynamic_stack: false
    .vgpr_count:     0
    .vgpr_spill_count: 0
    .wavefront_size: 32
    .workgroup_processor_mode: 1
  - .args:
      - .offset:         0
        .size:           56
        .value_kind:     by_value
    .group_segment_fixed_size: 0
    .kernarg_segment_align: 8
    .kernarg_segment_size: 56
    .language:       OpenCL C
    .language_version:
      - 2
      - 0
    .max_flat_workgroup_size: 256
    .name:           _ZN7rocprim17ROCPRIM_400000_NS6detail17trampoline_kernelINS0_14default_configENS1_29binary_search_config_selectorIjiEEZNS1_14transform_implILb0ES3_S5_N6thrust23THRUST_200600_302600_NS6detail15normal_iteratorINS8_10device_ptrIjEEEENSA_INSB_IiEEEEZNS1_13binary_searchIS3_S5_SD_SD_SF_NS1_16binary_search_opENS9_16wrapped_functionINS0_4lessIvEEbEEEE10hipError_tPvRmT1_T2_T3_mmT4_T5_P12ihipStream_tbEUlRKjE_EESM_SQ_SR_mSS_SV_bEUlT_E_NS1_11comp_targetILNS1_3genE2ELNS1_11target_archE906ELNS1_3gpuE6ELNS1_3repE0EEENS1_30default_config_static_selectorELNS0_4arch9wavefront6targetE0EEEvSP_
    .private_segment_fixed_size: 0
    .sgpr_count:     0
    .sgpr_spill_count: 0
    .symbol:         _ZN7rocprim17ROCPRIM_400000_NS6detail17trampoline_kernelINS0_14default_configENS1_29binary_search_config_selectorIjiEEZNS1_14transform_implILb0ES3_S5_N6thrust23THRUST_200600_302600_NS6detail15normal_iteratorINS8_10device_ptrIjEEEENSA_INSB_IiEEEEZNS1_13binary_searchIS3_S5_SD_SD_SF_NS1_16binary_search_opENS9_16wrapped_functionINS0_4lessIvEEbEEEE10hipError_tPvRmT1_T2_T3_mmT4_T5_P12ihipStream_tbEUlRKjE_EESM_SQ_SR_mSS_SV_bEUlT_E_NS1_11comp_targetILNS1_3genE2ELNS1_11target_archE906ELNS1_3gpuE6ELNS1_3repE0EEENS1_30default_config_static_selectorELNS0_4arch9wavefront6targetE0EEEvSP_.kd
    .uniform_work_group_size: 1
    .uses_dynamic_stack: false
    .vgpr_count:     0
    .vgpr_spill_count: 0
    .wavefront_size: 32
    .workgroup_processor_mode: 1
  - .args:
      - .offset:         0
        .size:           56
        .value_kind:     by_value
    .group_segment_fixed_size: 0
    .kernarg_segment_align: 8
    .kernarg_segment_size: 56
    .language:       OpenCL C
    .language_version:
      - 2
      - 0
    .max_flat_workgroup_size: 128
    .name:           _ZN7rocprim17ROCPRIM_400000_NS6detail17trampoline_kernelINS0_14default_configENS1_29binary_search_config_selectorIjiEEZNS1_14transform_implILb0ES3_S5_N6thrust23THRUST_200600_302600_NS6detail15normal_iteratorINS8_10device_ptrIjEEEENSA_INSB_IiEEEEZNS1_13binary_searchIS3_S5_SD_SD_SF_NS1_16binary_search_opENS9_16wrapped_functionINS0_4lessIvEEbEEEE10hipError_tPvRmT1_T2_T3_mmT4_T5_P12ihipStream_tbEUlRKjE_EESM_SQ_SR_mSS_SV_bEUlT_E_NS1_11comp_targetILNS1_3genE10ELNS1_11target_archE1201ELNS1_3gpuE5ELNS1_3repE0EEENS1_30default_config_static_selectorELNS0_4arch9wavefront6targetE0EEEvSP_
    .private_segment_fixed_size: 0
    .sgpr_count:     0
    .sgpr_spill_count: 0
    .symbol:         _ZN7rocprim17ROCPRIM_400000_NS6detail17trampoline_kernelINS0_14default_configENS1_29binary_search_config_selectorIjiEEZNS1_14transform_implILb0ES3_S5_N6thrust23THRUST_200600_302600_NS6detail15normal_iteratorINS8_10device_ptrIjEEEENSA_INSB_IiEEEEZNS1_13binary_searchIS3_S5_SD_SD_SF_NS1_16binary_search_opENS9_16wrapped_functionINS0_4lessIvEEbEEEE10hipError_tPvRmT1_T2_T3_mmT4_T5_P12ihipStream_tbEUlRKjE_EESM_SQ_SR_mSS_SV_bEUlT_E_NS1_11comp_targetILNS1_3genE10ELNS1_11target_archE1201ELNS1_3gpuE5ELNS1_3repE0EEENS1_30default_config_static_selectorELNS0_4arch9wavefront6targetE0EEEvSP_.kd
    .uniform_work_group_size: 1
    .uses_dynamic_stack: false
    .vgpr_count:     0
    .vgpr_spill_count: 0
    .wavefront_size: 32
    .workgroup_processor_mode: 1
  - .args:
      - .offset:         0
        .size:           56
        .value_kind:     by_value
    .group_segment_fixed_size: 0
    .kernarg_segment_align: 8
    .kernarg_segment_size: 56
    .language:       OpenCL C
    .language_version:
      - 2
      - 0
    .max_flat_workgroup_size: 128
    .name:           _ZN7rocprim17ROCPRIM_400000_NS6detail17trampoline_kernelINS0_14default_configENS1_29binary_search_config_selectorIjiEEZNS1_14transform_implILb0ES3_S5_N6thrust23THRUST_200600_302600_NS6detail15normal_iteratorINS8_10device_ptrIjEEEENSA_INSB_IiEEEEZNS1_13binary_searchIS3_S5_SD_SD_SF_NS1_16binary_search_opENS9_16wrapped_functionINS0_4lessIvEEbEEEE10hipError_tPvRmT1_T2_T3_mmT4_T5_P12ihipStream_tbEUlRKjE_EESM_SQ_SR_mSS_SV_bEUlT_E_NS1_11comp_targetILNS1_3genE10ELNS1_11target_archE1200ELNS1_3gpuE4ELNS1_3repE0EEENS1_30default_config_static_selectorELNS0_4arch9wavefront6targetE0EEEvSP_
    .private_segment_fixed_size: 0
    .sgpr_count:     0
    .sgpr_spill_count: 0
    .symbol:         _ZN7rocprim17ROCPRIM_400000_NS6detail17trampoline_kernelINS0_14default_configENS1_29binary_search_config_selectorIjiEEZNS1_14transform_implILb0ES3_S5_N6thrust23THRUST_200600_302600_NS6detail15normal_iteratorINS8_10device_ptrIjEEEENSA_INSB_IiEEEEZNS1_13binary_searchIS3_S5_SD_SD_SF_NS1_16binary_search_opENS9_16wrapped_functionINS0_4lessIvEEbEEEE10hipError_tPvRmT1_T2_T3_mmT4_T5_P12ihipStream_tbEUlRKjE_EESM_SQ_SR_mSS_SV_bEUlT_E_NS1_11comp_targetILNS1_3genE10ELNS1_11target_archE1200ELNS1_3gpuE4ELNS1_3repE0EEENS1_30default_config_static_selectorELNS0_4arch9wavefront6targetE0EEEvSP_.kd
    .uniform_work_group_size: 1
    .uses_dynamic_stack: false
    .vgpr_count:     0
    .vgpr_spill_count: 0
    .wavefront_size: 32
    .workgroup_processor_mode: 1
  - .args:
      - .offset:         0
        .size:           56
        .value_kind:     by_value
      - .offset:         56
        .size:           4
        .value_kind:     hidden_block_count_x
      - .offset:         60
        .size:           4
        .value_kind:     hidden_block_count_y
      - .offset:         64
        .size:           4
        .value_kind:     hidden_block_count_z
      - .offset:         68
        .size:           2
        .value_kind:     hidden_group_size_x
      - .offset:         70
        .size:           2
        .value_kind:     hidden_group_size_y
      - .offset:         72
        .size:           2
        .value_kind:     hidden_group_size_z
      - .offset:         74
        .size:           2
        .value_kind:     hidden_remainder_x
      - .offset:         76
        .size:           2
        .value_kind:     hidden_remainder_y
      - .offset:         78
        .size:           2
        .value_kind:     hidden_remainder_z
      - .offset:         96
        .size:           8
        .value_kind:     hidden_global_offset_x
      - .offset:         104
        .size:           8
        .value_kind:     hidden_global_offset_y
      - .offset:         112
        .size:           8
        .value_kind:     hidden_global_offset_z
      - .offset:         120
        .size:           2
        .value_kind:     hidden_grid_dims
    .group_segment_fixed_size: 0
    .kernarg_segment_align: 8
    .kernarg_segment_size: 312
    .language:       OpenCL C
    .language_version:
      - 2
      - 0
    .max_flat_workgroup_size: 256
    .name:           _ZN7rocprim17ROCPRIM_400000_NS6detail17trampoline_kernelINS0_14default_configENS1_29binary_search_config_selectorIjiEEZNS1_14transform_implILb0ES3_S5_N6thrust23THRUST_200600_302600_NS6detail15normal_iteratorINS8_10device_ptrIjEEEENSA_INSB_IiEEEEZNS1_13binary_searchIS3_S5_SD_SD_SF_NS1_16binary_search_opENS9_16wrapped_functionINS0_4lessIvEEbEEEE10hipError_tPvRmT1_T2_T3_mmT4_T5_P12ihipStream_tbEUlRKjE_EESM_SQ_SR_mSS_SV_bEUlT_E_NS1_11comp_targetILNS1_3genE9ELNS1_11target_archE1100ELNS1_3gpuE3ELNS1_3repE0EEENS1_30default_config_static_selectorELNS0_4arch9wavefront6targetE0EEEvSP_
    .private_segment_fixed_size: 0
    .sgpr_count:     22
    .sgpr_spill_count: 0
    .symbol:         _ZN7rocprim17ROCPRIM_400000_NS6detail17trampoline_kernelINS0_14default_configENS1_29binary_search_config_selectorIjiEEZNS1_14transform_implILb0ES3_S5_N6thrust23THRUST_200600_302600_NS6detail15normal_iteratorINS8_10device_ptrIjEEEENSA_INSB_IiEEEEZNS1_13binary_searchIS3_S5_SD_SD_SF_NS1_16binary_search_opENS9_16wrapped_functionINS0_4lessIvEEbEEEE10hipError_tPvRmT1_T2_T3_mmT4_T5_P12ihipStream_tbEUlRKjE_EESM_SQ_SR_mSS_SV_bEUlT_E_NS1_11comp_targetILNS1_3genE9ELNS1_11target_archE1100ELNS1_3gpuE3ELNS1_3repE0EEENS1_30default_config_static_selectorELNS0_4arch9wavefront6targetE0EEEvSP_.kd
    .uniform_work_group_size: 1
    .uses_dynamic_stack: false
    .vgpr_count:     12
    .vgpr_spill_count: 0
    .wavefront_size: 32
    .workgroup_processor_mode: 1
  - .args:
      - .offset:         0
        .size:           56
        .value_kind:     by_value
    .group_segment_fixed_size: 0
    .kernarg_segment_align: 8
    .kernarg_segment_size: 56
    .language:       OpenCL C
    .language_version:
      - 2
      - 0
    .max_flat_workgroup_size: 256
    .name:           _ZN7rocprim17ROCPRIM_400000_NS6detail17trampoline_kernelINS0_14default_configENS1_29binary_search_config_selectorIjiEEZNS1_14transform_implILb0ES3_S5_N6thrust23THRUST_200600_302600_NS6detail15normal_iteratorINS8_10device_ptrIjEEEENSA_INSB_IiEEEEZNS1_13binary_searchIS3_S5_SD_SD_SF_NS1_16binary_search_opENS9_16wrapped_functionINS0_4lessIvEEbEEEE10hipError_tPvRmT1_T2_T3_mmT4_T5_P12ihipStream_tbEUlRKjE_EESM_SQ_SR_mSS_SV_bEUlT_E_NS1_11comp_targetILNS1_3genE8ELNS1_11target_archE1030ELNS1_3gpuE2ELNS1_3repE0EEENS1_30default_config_static_selectorELNS0_4arch9wavefront6targetE0EEEvSP_
    .private_segment_fixed_size: 0
    .sgpr_count:     0
    .sgpr_spill_count: 0
    .symbol:         _ZN7rocprim17ROCPRIM_400000_NS6detail17trampoline_kernelINS0_14default_configENS1_29binary_search_config_selectorIjiEEZNS1_14transform_implILb0ES3_S5_N6thrust23THRUST_200600_302600_NS6detail15normal_iteratorINS8_10device_ptrIjEEEENSA_INSB_IiEEEEZNS1_13binary_searchIS3_S5_SD_SD_SF_NS1_16binary_search_opENS9_16wrapped_functionINS0_4lessIvEEbEEEE10hipError_tPvRmT1_T2_T3_mmT4_T5_P12ihipStream_tbEUlRKjE_EESM_SQ_SR_mSS_SV_bEUlT_E_NS1_11comp_targetILNS1_3genE8ELNS1_11target_archE1030ELNS1_3gpuE2ELNS1_3repE0EEENS1_30default_config_static_selectorELNS0_4arch9wavefront6targetE0EEEvSP_.kd
    .uniform_work_group_size: 1
    .uses_dynamic_stack: false
    .vgpr_count:     0
    .vgpr_spill_count: 0
    .wavefront_size: 32
    .workgroup_processor_mode: 1
  - .args:
      - .offset:         0
        .size:           56
        .value_kind:     by_value
    .group_segment_fixed_size: 0
    .kernarg_segment_align: 8
    .kernarg_segment_size: 56
    .language:       OpenCL C
    .language_version:
      - 2
      - 0
    .max_flat_workgroup_size: 128
    .name:           _ZN7rocprim17ROCPRIM_400000_NS6detail17trampoline_kernelINS0_14default_configENS1_29binary_search_config_selectorItbEEZNS1_14transform_implILb0ES3_S5_N6thrust23THRUST_200600_302600_NS6detail15normal_iteratorINS8_10device_ptrItEEEENSA_INSB_IbEEEEZNS1_13binary_searchIS3_S5_SD_SD_SF_NS1_16binary_search_opENS9_16wrapped_functionINS0_4lessIvEEbEEEE10hipError_tPvRmT1_T2_T3_mmT4_T5_P12ihipStream_tbEUlRKtE_EESM_SQ_SR_mSS_SV_bEUlT_E_NS1_11comp_targetILNS1_3genE0ELNS1_11target_archE4294967295ELNS1_3gpuE0ELNS1_3repE0EEENS1_30default_config_static_selectorELNS0_4arch9wavefront6targetE0EEEvSP_
    .private_segment_fixed_size: 0
    .sgpr_count:     0
    .sgpr_spill_count: 0
    .symbol:         _ZN7rocprim17ROCPRIM_400000_NS6detail17trampoline_kernelINS0_14default_configENS1_29binary_search_config_selectorItbEEZNS1_14transform_implILb0ES3_S5_N6thrust23THRUST_200600_302600_NS6detail15normal_iteratorINS8_10device_ptrItEEEENSA_INSB_IbEEEEZNS1_13binary_searchIS3_S5_SD_SD_SF_NS1_16binary_search_opENS9_16wrapped_functionINS0_4lessIvEEbEEEE10hipError_tPvRmT1_T2_T3_mmT4_T5_P12ihipStream_tbEUlRKtE_EESM_SQ_SR_mSS_SV_bEUlT_E_NS1_11comp_targetILNS1_3genE0ELNS1_11target_archE4294967295ELNS1_3gpuE0ELNS1_3repE0EEENS1_30default_config_static_selectorELNS0_4arch9wavefront6targetE0EEEvSP_.kd
    .uniform_work_group_size: 1
    .uses_dynamic_stack: false
    .vgpr_count:     0
    .vgpr_spill_count: 0
    .wavefront_size: 32
    .workgroup_processor_mode: 1
  - .args:
      - .offset:         0
        .size:           56
        .value_kind:     by_value
    .group_segment_fixed_size: 0
    .kernarg_segment_align: 8
    .kernarg_segment_size: 56
    .language:       OpenCL C
    .language_version:
      - 2
      - 0
    .max_flat_workgroup_size: 256
    .name:           _ZN7rocprim17ROCPRIM_400000_NS6detail17trampoline_kernelINS0_14default_configENS1_29binary_search_config_selectorItbEEZNS1_14transform_implILb0ES3_S5_N6thrust23THRUST_200600_302600_NS6detail15normal_iteratorINS8_10device_ptrItEEEENSA_INSB_IbEEEEZNS1_13binary_searchIS3_S5_SD_SD_SF_NS1_16binary_search_opENS9_16wrapped_functionINS0_4lessIvEEbEEEE10hipError_tPvRmT1_T2_T3_mmT4_T5_P12ihipStream_tbEUlRKtE_EESM_SQ_SR_mSS_SV_bEUlT_E_NS1_11comp_targetILNS1_3genE5ELNS1_11target_archE942ELNS1_3gpuE9ELNS1_3repE0EEENS1_30default_config_static_selectorELNS0_4arch9wavefront6targetE0EEEvSP_
    .private_segment_fixed_size: 0
    .sgpr_count:     0
    .sgpr_spill_count: 0
    .symbol:         _ZN7rocprim17ROCPRIM_400000_NS6detail17trampoline_kernelINS0_14default_configENS1_29binary_search_config_selectorItbEEZNS1_14transform_implILb0ES3_S5_N6thrust23THRUST_200600_302600_NS6detail15normal_iteratorINS8_10device_ptrItEEEENSA_INSB_IbEEEEZNS1_13binary_searchIS3_S5_SD_SD_SF_NS1_16binary_search_opENS9_16wrapped_functionINS0_4lessIvEEbEEEE10hipError_tPvRmT1_T2_T3_mmT4_T5_P12ihipStream_tbEUlRKtE_EESM_SQ_SR_mSS_SV_bEUlT_E_NS1_11comp_targetILNS1_3genE5ELNS1_11target_archE942ELNS1_3gpuE9ELNS1_3repE0EEENS1_30default_config_static_selectorELNS0_4arch9wavefront6targetE0EEEvSP_.kd
    .uniform_work_group_size: 1
    .uses_dynamic_stack: false
    .vgpr_count:     0
    .vgpr_spill_count: 0
    .wavefront_size: 32
    .workgroup_processor_mode: 1
  - .args:
      - .offset:         0
        .size:           56
        .value_kind:     by_value
    .group_segment_fixed_size: 0
    .kernarg_segment_align: 8
    .kernarg_segment_size: 56
    .language:       OpenCL C
    .language_version:
      - 2
      - 0
    .max_flat_workgroup_size: 256
    .name:           _ZN7rocprim17ROCPRIM_400000_NS6detail17trampoline_kernelINS0_14default_configENS1_29binary_search_config_selectorItbEEZNS1_14transform_implILb0ES3_S5_N6thrust23THRUST_200600_302600_NS6detail15normal_iteratorINS8_10device_ptrItEEEENSA_INSB_IbEEEEZNS1_13binary_searchIS3_S5_SD_SD_SF_NS1_16binary_search_opENS9_16wrapped_functionINS0_4lessIvEEbEEEE10hipError_tPvRmT1_T2_T3_mmT4_T5_P12ihipStream_tbEUlRKtE_EESM_SQ_SR_mSS_SV_bEUlT_E_NS1_11comp_targetILNS1_3genE4ELNS1_11target_archE910ELNS1_3gpuE8ELNS1_3repE0EEENS1_30default_config_static_selectorELNS0_4arch9wavefront6targetE0EEEvSP_
    .private_segment_fixed_size: 0
    .sgpr_count:     0
    .sgpr_spill_count: 0
    .symbol:         _ZN7rocprim17ROCPRIM_400000_NS6detail17trampoline_kernelINS0_14default_configENS1_29binary_search_config_selectorItbEEZNS1_14transform_implILb0ES3_S5_N6thrust23THRUST_200600_302600_NS6detail15normal_iteratorINS8_10device_ptrItEEEENSA_INSB_IbEEEEZNS1_13binary_searchIS3_S5_SD_SD_SF_NS1_16binary_search_opENS9_16wrapped_functionINS0_4lessIvEEbEEEE10hipError_tPvRmT1_T2_T3_mmT4_T5_P12ihipStream_tbEUlRKtE_EESM_SQ_SR_mSS_SV_bEUlT_E_NS1_11comp_targetILNS1_3genE4ELNS1_11target_archE910ELNS1_3gpuE8ELNS1_3repE0EEENS1_30default_config_static_selectorELNS0_4arch9wavefront6targetE0EEEvSP_.kd
    .uniform_work_group_size: 1
    .uses_dynamic_stack: false
    .vgpr_count:     0
    .vgpr_spill_count: 0
    .wavefront_size: 32
    .workgroup_processor_mode: 1
  - .args:
      - .offset:         0
        .size:           56
        .value_kind:     by_value
    .group_segment_fixed_size: 0
    .kernarg_segment_align: 8
    .kernarg_segment_size: 56
    .language:       OpenCL C
    .language_version:
      - 2
      - 0
    .max_flat_workgroup_size: 128
    .name:           _ZN7rocprim17ROCPRIM_400000_NS6detail17trampoline_kernelINS0_14default_configENS1_29binary_search_config_selectorItbEEZNS1_14transform_implILb0ES3_S5_N6thrust23THRUST_200600_302600_NS6detail15normal_iteratorINS8_10device_ptrItEEEENSA_INSB_IbEEEEZNS1_13binary_searchIS3_S5_SD_SD_SF_NS1_16binary_search_opENS9_16wrapped_functionINS0_4lessIvEEbEEEE10hipError_tPvRmT1_T2_T3_mmT4_T5_P12ihipStream_tbEUlRKtE_EESM_SQ_SR_mSS_SV_bEUlT_E_NS1_11comp_targetILNS1_3genE3ELNS1_11target_archE908ELNS1_3gpuE7ELNS1_3repE0EEENS1_30default_config_static_selectorELNS0_4arch9wavefront6targetE0EEEvSP_
    .private_segment_fixed_size: 0
    .sgpr_count:     0
    .sgpr_spill_count: 0
    .symbol:         _ZN7rocprim17ROCPRIM_400000_NS6detail17trampoline_kernelINS0_14default_configENS1_29binary_search_config_selectorItbEEZNS1_14transform_implILb0ES3_S5_N6thrust23THRUST_200600_302600_NS6detail15normal_iteratorINS8_10device_ptrItEEEENSA_INSB_IbEEEEZNS1_13binary_searchIS3_S5_SD_SD_SF_NS1_16binary_search_opENS9_16wrapped_functionINS0_4lessIvEEbEEEE10hipError_tPvRmT1_T2_T3_mmT4_T5_P12ihipStream_tbEUlRKtE_EESM_SQ_SR_mSS_SV_bEUlT_E_NS1_11comp_targetILNS1_3genE3ELNS1_11target_archE908ELNS1_3gpuE7ELNS1_3repE0EEENS1_30default_config_static_selectorELNS0_4arch9wavefront6targetE0EEEvSP_.kd
    .uniform_work_group_size: 1
    .uses_dynamic_stack: false
    .vgpr_count:     0
    .vgpr_spill_count: 0
    .wavefront_size: 32
    .workgroup_processor_mode: 1
  - .args:
      - .offset:         0
        .size:           56
        .value_kind:     by_value
    .group_segment_fixed_size: 0
    .kernarg_segment_align: 8
    .kernarg_segment_size: 56
    .language:       OpenCL C
    .language_version:
      - 2
      - 0
    .max_flat_workgroup_size: 256
    .name:           _ZN7rocprim17ROCPRIM_400000_NS6detail17trampoline_kernelINS0_14default_configENS1_29binary_search_config_selectorItbEEZNS1_14transform_implILb0ES3_S5_N6thrust23THRUST_200600_302600_NS6detail15normal_iteratorINS8_10device_ptrItEEEENSA_INSB_IbEEEEZNS1_13binary_searchIS3_S5_SD_SD_SF_NS1_16binary_search_opENS9_16wrapped_functionINS0_4lessIvEEbEEEE10hipError_tPvRmT1_T2_T3_mmT4_T5_P12ihipStream_tbEUlRKtE_EESM_SQ_SR_mSS_SV_bEUlT_E_NS1_11comp_targetILNS1_3genE2ELNS1_11target_archE906ELNS1_3gpuE6ELNS1_3repE0EEENS1_30default_config_static_selectorELNS0_4arch9wavefront6targetE0EEEvSP_
    .private_segment_fixed_size: 0
    .sgpr_count:     0
    .sgpr_spill_count: 0
    .symbol:         _ZN7rocprim17ROCPRIM_400000_NS6detail17trampoline_kernelINS0_14default_configENS1_29binary_search_config_selectorItbEEZNS1_14transform_implILb0ES3_S5_N6thrust23THRUST_200600_302600_NS6detail15normal_iteratorINS8_10device_ptrItEEEENSA_INSB_IbEEEEZNS1_13binary_searchIS3_S5_SD_SD_SF_NS1_16binary_search_opENS9_16wrapped_functionINS0_4lessIvEEbEEEE10hipError_tPvRmT1_T2_T3_mmT4_T5_P12ihipStream_tbEUlRKtE_EESM_SQ_SR_mSS_SV_bEUlT_E_NS1_11comp_targetILNS1_3genE2ELNS1_11target_archE906ELNS1_3gpuE6ELNS1_3repE0EEENS1_30default_config_static_selectorELNS0_4arch9wavefront6targetE0EEEvSP_.kd
    .uniform_work_group_size: 1
    .uses_dynamic_stack: false
    .vgpr_count:     0
    .vgpr_spill_count: 0
    .wavefront_size: 32
    .workgroup_processor_mode: 1
  - .args:
      - .offset:         0
        .size:           56
        .value_kind:     by_value
    .group_segment_fixed_size: 0
    .kernarg_segment_align: 8
    .kernarg_segment_size: 56
    .language:       OpenCL C
    .language_version:
      - 2
      - 0
    .max_flat_workgroup_size: 256
    .name:           _ZN7rocprim17ROCPRIM_400000_NS6detail17trampoline_kernelINS0_14default_configENS1_29binary_search_config_selectorItbEEZNS1_14transform_implILb0ES3_S5_N6thrust23THRUST_200600_302600_NS6detail15normal_iteratorINS8_10device_ptrItEEEENSA_INSB_IbEEEEZNS1_13binary_searchIS3_S5_SD_SD_SF_NS1_16binary_search_opENS9_16wrapped_functionINS0_4lessIvEEbEEEE10hipError_tPvRmT1_T2_T3_mmT4_T5_P12ihipStream_tbEUlRKtE_EESM_SQ_SR_mSS_SV_bEUlT_E_NS1_11comp_targetILNS1_3genE10ELNS1_11target_archE1201ELNS1_3gpuE5ELNS1_3repE0EEENS1_30default_config_static_selectorELNS0_4arch9wavefront6targetE0EEEvSP_
    .private_segment_fixed_size: 0
    .sgpr_count:     0
    .sgpr_spill_count: 0
    .symbol:         _ZN7rocprim17ROCPRIM_400000_NS6detail17trampoline_kernelINS0_14default_configENS1_29binary_search_config_selectorItbEEZNS1_14transform_implILb0ES3_S5_N6thrust23THRUST_200600_302600_NS6detail15normal_iteratorINS8_10device_ptrItEEEENSA_INSB_IbEEEEZNS1_13binary_searchIS3_S5_SD_SD_SF_NS1_16binary_search_opENS9_16wrapped_functionINS0_4lessIvEEbEEEE10hipError_tPvRmT1_T2_T3_mmT4_T5_P12ihipStream_tbEUlRKtE_EESM_SQ_SR_mSS_SV_bEUlT_E_NS1_11comp_targetILNS1_3genE10ELNS1_11target_archE1201ELNS1_3gpuE5ELNS1_3repE0EEENS1_30default_config_static_selectorELNS0_4arch9wavefront6targetE0EEEvSP_.kd
    .uniform_work_group_size: 1
    .uses_dynamic_stack: false
    .vgpr_count:     0
    .vgpr_spill_count: 0
    .wavefront_size: 32
    .workgroup_processor_mode: 1
  - .args:
      - .offset:         0
        .size:           56
        .value_kind:     by_value
    .group_segment_fixed_size: 0
    .kernarg_segment_align: 8
    .kernarg_segment_size: 56
    .language:       OpenCL C
    .language_version:
      - 2
      - 0
    .max_flat_workgroup_size: 256
    .name:           _ZN7rocprim17ROCPRIM_400000_NS6detail17trampoline_kernelINS0_14default_configENS1_29binary_search_config_selectorItbEEZNS1_14transform_implILb0ES3_S5_N6thrust23THRUST_200600_302600_NS6detail15normal_iteratorINS8_10device_ptrItEEEENSA_INSB_IbEEEEZNS1_13binary_searchIS3_S5_SD_SD_SF_NS1_16binary_search_opENS9_16wrapped_functionINS0_4lessIvEEbEEEE10hipError_tPvRmT1_T2_T3_mmT4_T5_P12ihipStream_tbEUlRKtE_EESM_SQ_SR_mSS_SV_bEUlT_E_NS1_11comp_targetILNS1_3genE10ELNS1_11target_archE1200ELNS1_3gpuE4ELNS1_3repE0EEENS1_30default_config_static_selectorELNS0_4arch9wavefront6targetE0EEEvSP_
    .private_segment_fixed_size: 0
    .sgpr_count:     0
    .sgpr_spill_count: 0
    .symbol:         _ZN7rocprim17ROCPRIM_400000_NS6detail17trampoline_kernelINS0_14default_configENS1_29binary_search_config_selectorItbEEZNS1_14transform_implILb0ES3_S5_N6thrust23THRUST_200600_302600_NS6detail15normal_iteratorINS8_10device_ptrItEEEENSA_INSB_IbEEEEZNS1_13binary_searchIS3_S5_SD_SD_SF_NS1_16binary_search_opENS9_16wrapped_functionINS0_4lessIvEEbEEEE10hipError_tPvRmT1_T2_T3_mmT4_T5_P12ihipStream_tbEUlRKtE_EESM_SQ_SR_mSS_SV_bEUlT_E_NS1_11comp_targetILNS1_3genE10ELNS1_11target_archE1200ELNS1_3gpuE4ELNS1_3repE0EEENS1_30default_config_static_selectorELNS0_4arch9wavefront6targetE0EEEvSP_.kd
    .uniform_work_group_size: 1
    .uses_dynamic_stack: false
    .vgpr_count:     0
    .vgpr_spill_count: 0
    .wavefront_size: 32
    .workgroup_processor_mode: 1
  - .args:
      - .offset:         0
        .size:           56
        .value_kind:     by_value
      - .offset:         56
        .size:           4
        .value_kind:     hidden_block_count_x
      - .offset:         60
        .size:           4
        .value_kind:     hidden_block_count_y
      - .offset:         64
        .size:           4
        .value_kind:     hidden_block_count_z
      - .offset:         68
        .size:           2
        .value_kind:     hidden_group_size_x
      - .offset:         70
        .size:           2
        .value_kind:     hidden_group_size_y
      - .offset:         72
        .size:           2
        .value_kind:     hidden_group_size_z
      - .offset:         74
        .size:           2
        .value_kind:     hidden_remainder_x
      - .offset:         76
        .size:           2
        .value_kind:     hidden_remainder_y
      - .offset:         78
        .size:           2
        .value_kind:     hidden_remainder_z
      - .offset:         96
        .size:           8
        .value_kind:     hidden_global_offset_x
      - .offset:         104
        .size:           8
        .value_kind:     hidden_global_offset_y
      - .offset:         112
        .size:           8
        .value_kind:     hidden_global_offset_z
      - .offset:         120
        .size:           2
        .value_kind:     hidden_grid_dims
    .group_segment_fixed_size: 0
    .kernarg_segment_align: 8
    .kernarg_segment_size: 312
    .language:       OpenCL C
    .language_version:
      - 2
      - 0
    .max_flat_workgroup_size: 64
    .name:           _ZN7rocprim17ROCPRIM_400000_NS6detail17trampoline_kernelINS0_14default_configENS1_29binary_search_config_selectorItbEEZNS1_14transform_implILb0ES3_S5_N6thrust23THRUST_200600_302600_NS6detail15normal_iteratorINS8_10device_ptrItEEEENSA_INSB_IbEEEEZNS1_13binary_searchIS3_S5_SD_SD_SF_NS1_16binary_search_opENS9_16wrapped_functionINS0_4lessIvEEbEEEE10hipError_tPvRmT1_T2_T3_mmT4_T5_P12ihipStream_tbEUlRKtE_EESM_SQ_SR_mSS_SV_bEUlT_E_NS1_11comp_targetILNS1_3genE9ELNS1_11target_archE1100ELNS1_3gpuE3ELNS1_3repE0EEENS1_30default_config_static_selectorELNS0_4arch9wavefront6targetE0EEEvSP_
    .private_segment_fixed_size: 0
    .sgpr_count:     22
    .sgpr_spill_count: 0
    .symbol:         _ZN7rocprim17ROCPRIM_400000_NS6detail17trampoline_kernelINS0_14default_configENS1_29binary_search_config_selectorItbEEZNS1_14transform_implILb0ES3_S5_N6thrust23THRUST_200600_302600_NS6detail15normal_iteratorINS8_10device_ptrItEEEENSA_INSB_IbEEEEZNS1_13binary_searchIS3_S5_SD_SD_SF_NS1_16binary_search_opENS9_16wrapped_functionINS0_4lessIvEEbEEEE10hipError_tPvRmT1_T2_T3_mmT4_T5_P12ihipStream_tbEUlRKtE_EESM_SQ_SR_mSS_SV_bEUlT_E_NS1_11comp_targetILNS1_3genE9ELNS1_11target_archE1100ELNS1_3gpuE3ELNS1_3repE0EEENS1_30default_config_static_selectorELNS0_4arch9wavefront6targetE0EEEvSP_.kd
    .uniform_work_group_size: 1
    .uses_dynamic_stack: false
    .vgpr_count:     18
    .vgpr_spill_count: 0
    .wavefront_size: 32
    .workgroup_processor_mode: 1
  - .args:
      - .offset:         0
        .size:           56
        .value_kind:     by_value
    .group_segment_fixed_size: 0
    .kernarg_segment_align: 8
    .kernarg_segment_size: 56
    .language:       OpenCL C
    .language_version:
      - 2
      - 0
    .max_flat_workgroup_size: 128
    .name:           _ZN7rocprim17ROCPRIM_400000_NS6detail17trampoline_kernelINS0_14default_configENS1_29binary_search_config_selectorItbEEZNS1_14transform_implILb0ES3_S5_N6thrust23THRUST_200600_302600_NS6detail15normal_iteratorINS8_10device_ptrItEEEENSA_INSB_IbEEEEZNS1_13binary_searchIS3_S5_SD_SD_SF_NS1_16binary_search_opENS9_16wrapped_functionINS0_4lessIvEEbEEEE10hipError_tPvRmT1_T2_T3_mmT4_T5_P12ihipStream_tbEUlRKtE_EESM_SQ_SR_mSS_SV_bEUlT_E_NS1_11comp_targetILNS1_3genE8ELNS1_11target_archE1030ELNS1_3gpuE2ELNS1_3repE0EEENS1_30default_config_static_selectorELNS0_4arch9wavefront6targetE0EEEvSP_
    .private_segment_fixed_size: 0
    .sgpr_count:     0
    .sgpr_spill_count: 0
    .symbol:         _ZN7rocprim17ROCPRIM_400000_NS6detail17trampoline_kernelINS0_14default_configENS1_29binary_search_config_selectorItbEEZNS1_14transform_implILb0ES3_S5_N6thrust23THRUST_200600_302600_NS6detail15normal_iteratorINS8_10device_ptrItEEEENSA_INSB_IbEEEEZNS1_13binary_searchIS3_S5_SD_SD_SF_NS1_16binary_search_opENS9_16wrapped_functionINS0_4lessIvEEbEEEE10hipError_tPvRmT1_T2_T3_mmT4_T5_P12ihipStream_tbEUlRKtE_EESM_SQ_SR_mSS_SV_bEUlT_E_NS1_11comp_targetILNS1_3genE8ELNS1_11target_archE1030ELNS1_3gpuE2ELNS1_3repE0EEENS1_30default_config_static_selectorELNS0_4arch9wavefront6targetE0EEEvSP_.kd
    .uniform_work_group_size: 1
    .uses_dynamic_stack: false
    .vgpr_count:     0
    .vgpr_spill_count: 0
    .wavefront_size: 32
    .workgroup_processor_mode: 1
  - .args:
      - .offset:         0
        .size:           56
        .value_kind:     by_value
    .group_segment_fixed_size: 0
    .kernarg_segment_align: 8
    .kernarg_segment_size: 56
    .language:       OpenCL C
    .language_version:
      - 2
      - 0
    .max_flat_workgroup_size: 128
    .name:           _ZN7rocprim17ROCPRIM_400000_NS6detail17trampoline_kernelINS0_14default_configENS1_29binary_search_config_selectorItiEEZNS1_14transform_implILb0ES3_S5_N6thrust23THRUST_200600_302600_NS6detail15normal_iteratorINS8_10device_ptrItEEEENSA_INSB_IiEEEEZNS1_13binary_searchIS3_S5_SD_SD_SF_NS1_16binary_search_opENS9_16wrapped_functionINS0_4lessIvEEbEEEE10hipError_tPvRmT1_T2_T3_mmT4_T5_P12ihipStream_tbEUlRKtE_EESM_SQ_SR_mSS_SV_bEUlT_E_NS1_11comp_targetILNS1_3genE0ELNS1_11target_archE4294967295ELNS1_3gpuE0ELNS1_3repE0EEENS1_30default_config_static_selectorELNS0_4arch9wavefront6targetE0EEEvSP_
    .private_segment_fixed_size: 0
    .sgpr_count:     0
    .sgpr_spill_count: 0
    .symbol:         _ZN7rocprim17ROCPRIM_400000_NS6detail17trampoline_kernelINS0_14default_configENS1_29binary_search_config_selectorItiEEZNS1_14transform_implILb0ES3_S5_N6thrust23THRUST_200600_302600_NS6detail15normal_iteratorINS8_10device_ptrItEEEENSA_INSB_IiEEEEZNS1_13binary_searchIS3_S5_SD_SD_SF_NS1_16binary_search_opENS9_16wrapped_functionINS0_4lessIvEEbEEEE10hipError_tPvRmT1_T2_T3_mmT4_T5_P12ihipStream_tbEUlRKtE_EESM_SQ_SR_mSS_SV_bEUlT_E_NS1_11comp_targetILNS1_3genE0ELNS1_11target_archE4294967295ELNS1_3gpuE0ELNS1_3repE0EEENS1_30default_config_static_selectorELNS0_4arch9wavefront6targetE0EEEvSP_.kd
    .uniform_work_group_size: 1
    .uses_dynamic_stack: false
    .vgpr_count:     0
    .vgpr_spill_count: 0
    .wavefront_size: 32
    .workgroup_processor_mode: 1
  - .args:
      - .offset:         0
        .size:           56
        .value_kind:     by_value
    .group_segment_fixed_size: 0
    .kernarg_segment_align: 8
    .kernarg_segment_size: 56
    .language:       OpenCL C
    .language_version:
      - 2
      - 0
    .max_flat_workgroup_size: 256
    .name:           _ZN7rocprim17ROCPRIM_400000_NS6detail17trampoline_kernelINS0_14default_configENS1_29binary_search_config_selectorItiEEZNS1_14transform_implILb0ES3_S5_N6thrust23THRUST_200600_302600_NS6detail15normal_iteratorINS8_10device_ptrItEEEENSA_INSB_IiEEEEZNS1_13binary_searchIS3_S5_SD_SD_SF_NS1_16binary_search_opENS9_16wrapped_functionINS0_4lessIvEEbEEEE10hipError_tPvRmT1_T2_T3_mmT4_T5_P12ihipStream_tbEUlRKtE_EESM_SQ_SR_mSS_SV_bEUlT_E_NS1_11comp_targetILNS1_3genE5ELNS1_11target_archE942ELNS1_3gpuE9ELNS1_3repE0EEENS1_30default_config_static_selectorELNS0_4arch9wavefront6targetE0EEEvSP_
    .private_segment_fixed_size: 0
    .sgpr_count:     0
    .sgpr_spill_count: 0
    .symbol:         _ZN7rocprim17ROCPRIM_400000_NS6detail17trampoline_kernelINS0_14default_configENS1_29binary_search_config_selectorItiEEZNS1_14transform_implILb0ES3_S5_N6thrust23THRUST_200600_302600_NS6detail15normal_iteratorINS8_10device_ptrItEEEENSA_INSB_IiEEEEZNS1_13binary_searchIS3_S5_SD_SD_SF_NS1_16binary_search_opENS9_16wrapped_functionINS0_4lessIvEEbEEEE10hipError_tPvRmT1_T2_T3_mmT4_T5_P12ihipStream_tbEUlRKtE_EESM_SQ_SR_mSS_SV_bEUlT_E_NS1_11comp_targetILNS1_3genE5ELNS1_11target_archE942ELNS1_3gpuE9ELNS1_3repE0EEENS1_30default_config_static_selectorELNS0_4arch9wavefront6targetE0EEEvSP_.kd
    .uniform_work_group_size: 1
    .uses_dynamic_stack: false
    .vgpr_count:     0
    .vgpr_spill_count: 0
    .wavefront_size: 32
    .workgroup_processor_mode: 1
  - .args:
      - .offset:         0
        .size:           56
        .value_kind:     by_value
    .group_segment_fixed_size: 0
    .kernarg_segment_align: 8
    .kernarg_segment_size: 56
    .language:       OpenCL C
    .language_version:
      - 2
      - 0
    .max_flat_workgroup_size: 256
    .name:           _ZN7rocprim17ROCPRIM_400000_NS6detail17trampoline_kernelINS0_14default_configENS1_29binary_search_config_selectorItiEEZNS1_14transform_implILb0ES3_S5_N6thrust23THRUST_200600_302600_NS6detail15normal_iteratorINS8_10device_ptrItEEEENSA_INSB_IiEEEEZNS1_13binary_searchIS3_S5_SD_SD_SF_NS1_16binary_search_opENS9_16wrapped_functionINS0_4lessIvEEbEEEE10hipError_tPvRmT1_T2_T3_mmT4_T5_P12ihipStream_tbEUlRKtE_EESM_SQ_SR_mSS_SV_bEUlT_E_NS1_11comp_targetILNS1_3genE4ELNS1_11target_archE910ELNS1_3gpuE8ELNS1_3repE0EEENS1_30default_config_static_selectorELNS0_4arch9wavefront6targetE0EEEvSP_
    .private_segment_fixed_size: 0
    .sgpr_count:     0
    .sgpr_spill_count: 0
    .symbol:         _ZN7rocprim17ROCPRIM_400000_NS6detail17trampoline_kernelINS0_14default_configENS1_29binary_search_config_selectorItiEEZNS1_14transform_implILb0ES3_S5_N6thrust23THRUST_200600_302600_NS6detail15normal_iteratorINS8_10device_ptrItEEEENSA_INSB_IiEEEEZNS1_13binary_searchIS3_S5_SD_SD_SF_NS1_16binary_search_opENS9_16wrapped_functionINS0_4lessIvEEbEEEE10hipError_tPvRmT1_T2_T3_mmT4_T5_P12ihipStream_tbEUlRKtE_EESM_SQ_SR_mSS_SV_bEUlT_E_NS1_11comp_targetILNS1_3genE4ELNS1_11target_archE910ELNS1_3gpuE8ELNS1_3repE0EEENS1_30default_config_static_selectorELNS0_4arch9wavefront6targetE0EEEvSP_.kd
    .uniform_work_group_size: 1
    .uses_dynamic_stack: false
    .vgpr_count:     0
    .vgpr_spill_count: 0
    .wavefront_size: 32
    .workgroup_processor_mode: 1
  - .args:
      - .offset:         0
        .size:           56
        .value_kind:     by_value
    .group_segment_fixed_size: 0
    .kernarg_segment_align: 8
    .kernarg_segment_size: 56
    .language:       OpenCL C
    .language_version:
      - 2
      - 0
    .max_flat_workgroup_size: 128
    .name:           _ZN7rocprim17ROCPRIM_400000_NS6detail17trampoline_kernelINS0_14default_configENS1_29binary_search_config_selectorItiEEZNS1_14transform_implILb0ES3_S5_N6thrust23THRUST_200600_302600_NS6detail15normal_iteratorINS8_10device_ptrItEEEENSA_INSB_IiEEEEZNS1_13binary_searchIS3_S5_SD_SD_SF_NS1_16binary_search_opENS9_16wrapped_functionINS0_4lessIvEEbEEEE10hipError_tPvRmT1_T2_T3_mmT4_T5_P12ihipStream_tbEUlRKtE_EESM_SQ_SR_mSS_SV_bEUlT_E_NS1_11comp_targetILNS1_3genE3ELNS1_11target_archE908ELNS1_3gpuE7ELNS1_3repE0EEENS1_30default_config_static_selectorELNS0_4arch9wavefront6targetE0EEEvSP_
    .private_segment_fixed_size: 0
    .sgpr_count:     0
    .sgpr_spill_count: 0
    .symbol:         _ZN7rocprim17ROCPRIM_400000_NS6detail17trampoline_kernelINS0_14default_configENS1_29binary_search_config_selectorItiEEZNS1_14transform_implILb0ES3_S5_N6thrust23THRUST_200600_302600_NS6detail15normal_iteratorINS8_10device_ptrItEEEENSA_INSB_IiEEEEZNS1_13binary_searchIS3_S5_SD_SD_SF_NS1_16binary_search_opENS9_16wrapped_functionINS0_4lessIvEEbEEEE10hipError_tPvRmT1_T2_T3_mmT4_T5_P12ihipStream_tbEUlRKtE_EESM_SQ_SR_mSS_SV_bEUlT_E_NS1_11comp_targetILNS1_3genE3ELNS1_11target_archE908ELNS1_3gpuE7ELNS1_3repE0EEENS1_30default_config_static_selectorELNS0_4arch9wavefront6targetE0EEEvSP_.kd
    .uniform_work_group_size: 1
    .uses_dynamic_stack: false
    .vgpr_count:     0
    .vgpr_spill_count: 0
    .wavefront_size: 32
    .workgroup_processor_mode: 1
  - .args:
      - .offset:         0
        .size:           56
        .value_kind:     by_value
    .group_segment_fixed_size: 0
    .kernarg_segment_align: 8
    .kernarg_segment_size: 56
    .language:       OpenCL C
    .language_version:
      - 2
      - 0
    .max_flat_workgroup_size: 256
    .name:           _ZN7rocprim17ROCPRIM_400000_NS6detail17trampoline_kernelINS0_14default_configENS1_29binary_search_config_selectorItiEEZNS1_14transform_implILb0ES3_S5_N6thrust23THRUST_200600_302600_NS6detail15normal_iteratorINS8_10device_ptrItEEEENSA_INSB_IiEEEEZNS1_13binary_searchIS3_S5_SD_SD_SF_NS1_16binary_search_opENS9_16wrapped_functionINS0_4lessIvEEbEEEE10hipError_tPvRmT1_T2_T3_mmT4_T5_P12ihipStream_tbEUlRKtE_EESM_SQ_SR_mSS_SV_bEUlT_E_NS1_11comp_targetILNS1_3genE2ELNS1_11target_archE906ELNS1_3gpuE6ELNS1_3repE0EEENS1_30default_config_static_selectorELNS0_4arch9wavefront6targetE0EEEvSP_
    .private_segment_fixed_size: 0
    .sgpr_count:     0
    .sgpr_spill_count: 0
    .symbol:         _ZN7rocprim17ROCPRIM_400000_NS6detail17trampoline_kernelINS0_14default_configENS1_29binary_search_config_selectorItiEEZNS1_14transform_implILb0ES3_S5_N6thrust23THRUST_200600_302600_NS6detail15normal_iteratorINS8_10device_ptrItEEEENSA_INSB_IiEEEEZNS1_13binary_searchIS3_S5_SD_SD_SF_NS1_16binary_search_opENS9_16wrapped_functionINS0_4lessIvEEbEEEE10hipError_tPvRmT1_T2_T3_mmT4_T5_P12ihipStream_tbEUlRKtE_EESM_SQ_SR_mSS_SV_bEUlT_E_NS1_11comp_targetILNS1_3genE2ELNS1_11target_archE906ELNS1_3gpuE6ELNS1_3repE0EEENS1_30default_config_static_selectorELNS0_4arch9wavefront6targetE0EEEvSP_.kd
    .uniform_work_group_size: 1
    .uses_dynamic_stack: false
    .vgpr_count:     0
    .vgpr_spill_count: 0
    .wavefront_size: 32
    .workgroup_processor_mode: 1
  - .args:
      - .offset:         0
        .size:           56
        .value_kind:     by_value
    .group_segment_fixed_size: 0
    .kernarg_segment_align: 8
    .kernarg_segment_size: 56
    .language:       OpenCL C
    .language_version:
      - 2
      - 0
    .max_flat_workgroup_size: 256
    .name:           _ZN7rocprim17ROCPRIM_400000_NS6detail17trampoline_kernelINS0_14default_configENS1_29binary_search_config_selectorItiEEZNS1_14transform_implILb0ES3_S5_N6thrust23THRUST_200600_302600_NS6detail15normal_iteratorINS8_10device_ptrItEEEENSA_INSB_IiEEEEZNS1_13binary_searchIS3_S5_SD_SD_SF_NS1_16binary_search_opENS9_16wrapped_functionINS0_4lessIvEEbEEEE10hipError_tPvRmT1_T2_T3_mmT4_T5_P12ihipStream_tbEUlRKtE_EESM_SQ_SR_mSS_SV_bEUlT_E_NS1_11comp_targetILNS1_3genE10ELNS1_11target_archE1201ELNS1_3gpuE5ELNS1_3repE0EEENS1_30default_config_static_selectorELNS0_4arch9wavefront6targetE0EEEvSP_
    .private_segment_fixed_size: 0
    .sgpr_count:     0
    .sgpr_spill_count: 0
    .symbol:         _ZN7rocprim17ROCPRIM_400000_NS6detail17trampoline_kernelINS0_14default_configENS1_29binary_search_config_selectorItiEEZNS1_14transform_implILb0ES3_S5_N6thrust23THRUST_200600_302600_NS6detail15normal_iteratorINS8_10device_ptrItEEEENSA_INSB_IiEEEEZNS1_13binary_searchIS3_S5_SD_SD_SF_NS1_16binary_search_opENS9_16wrapped_functionINS0_4lessIvEEbEEEE10hipError_tPvRmT1_T2_T3_mmT4_T5_P12ihipStream_tbEUlRKtE_EESM_SQ_SR_mSS_SV_bEUlT_E_NS1_11comp_targetILNS1_3genE10ELNS1_11target_archE1201ELNS1_3gpuE5ELNS1_3repE0EEENS1_30default_config_static_selectorELNS0_4arch9wavefront6targetE0EEEvSP_.kd
    .uniform_work_group_size: 1
    .uses_dynamic_stack: false
    .vgpr_count:     0
    .vgpr_spill_count: 0
    .wavefront_size: 32
    .workgroup_processor_mode: 1
  - .args:
      - .offset:         0
        .size:           56
        .value_kind:     by_value
    .group_segment_fixed_size: 0
    .kernarg_segment_align: 8
    .kernarg_segment_size: 56
    .language:       OpenCL C
    .language_version:
      - 2
      - 0
    .max_flat_workgroup_size: 256
    .name:           _ZN7rocprim17ROCPRIM_400000_NS6detail17trampoline_kernelINS0_14default_configENS1_29binary_search_config_selectorItiEEZNS1_14transform_implILb0ES3_S5_N6thrust23THRUST_200600_302600_NS6detail15normal_iteratorINS8_10device_ptrItEEEENSA_INSB_IiEEEEZNS1_13binary_searchIS3_S5_SD_SD_SF_NS1_16binary_search_opENS9_16wrapped_functionINS0_4lessIvEEbEEEE10hipError_tPvRmT1_T2_T3_mmT4_T5_P12ihipStream_tbEUlRKtE_EESM_SQ_SR_mSS_SV_bEUlT_E_NS1_11comp_targetILNS1_3genE10ELNS1_11target_archE1200ELNS1_3gpuE4ELNS1_3repE0EEENS1_30default_config_static_selectorELNS0_4arch9wavefront6targetE0EEEvSP_
    .private_segment_fixed_size: 0
    .sgpr_count:     0
    .sgpr_spill_count: 0
    .symbol:         _ZN7rocprim17ROCPRIM_400000_NS6detail17trampoline_kernelINS0_14default_configENS1_29binary_search_config_selectorItiEEZNS1_14transform_implILb0ES3_S5_N6thrust23THRUST_200600_302600_NS6detail15normal_iteratorINS8_10device_ptrItEEEENSA_INSB_IiEEEEZNS1_13binary_searchIS3_S5_SD_SD_SF_NS1_16binary_search_opENS9_16wrapped_functionINS0_4lessIvEEbEEEE10hipError_tPvRmT1_T2_T3_mmT4_T5_P12ihipStream_tbEUlRKtE_EESM_SQ_SR_mSS_SV_bEUlT_E_NS1_11comp_targetILNS1_3genE10ELNS1_11target_archE1200ELNS1_3gpuE4ELNS1_3repE0EEENS1_30default_config_static_selectorELNS0_4arch9wavefront6targetE0EEEvSP_.kd
    .uniform_work_group_size: 1
    .uses_dynamic_stack: false
    .vgpr_count:     0
    .vgpr_spill_count: 0
    .wavefront_size: 32
    .workgroup_processor_mode: 1
  - .args:
      - .offset:         0
        .size:           56
        .value_kind:     by_value
      - .offset:         56
        .size:           4
        .value_kind:     hidden_block_count_x
      - .offset:         60
        .size:           4
        .value_kind:     hidden_block_count_y
      - .offset:         64
        .size:           4
        .value_kind:     hidden_block_count_z
      - .offset:         68
        .size:           2
        .value_kind:     hidden_group_size_x
      - .offset:         70
        .size:           2
        .value_kind:     hidden_group_size_y
      - .offset:         72
        .size:           2
        .value_kind:     hidden_group_size_z
      - .offset:         74
        .size:           2
        .value_kind:     hidden_remainder_x
      - .offset:         76
        .size:           2
        .value_kind:     hidden_remainder_y
      - .offset:         78
        .size:           2
        .value_kind:     hidden_remainder_z
      - .offset:         96
        .size:           8
        .value_kind:     hidden_global_offset_x
      - .offset:         104
        .size:           8
        .value_kind:     hidden_global_offset_y
      - .offset:         112
        .size:           8
        .value_kind:     hidden_global_offset_z
      - .offset:         120
        .size:           2
        .value_kind:     hidden_grid_dims
    .group_segment_fixed_size: 0
    .kernarg_segment_align: 8
    .kernarg_segment_size: 312
    .language:       OpenCL C
    .language_version:
      - 2
      - 0
    .max_flat_workgroup_size: 64
    .name:           _ZN7rocprim17ROCPRIM_400000_NS6detail17trampoline_kernelINS0_14default_configENS1_29binary_search_config_selectorItiEEZNS1_14transform_implILb0ES3_S5_N6thrust23THRUST_200600_302600_NS6detail15normal_iteratorINS8_10device_ptrItEEEENSA_INSB_IiEEEEZNS1_13binary_searchIS3_S5_SD_SD_SF_NS1_16binary_search_opENS9_16wrapped_functionINS0_4lessIvEEbEEEE10hipError_tPvRmT1_T2_T3_mmT4_T5_P12ihipStream_tbEUlRKtE_EESM_SQ_SR_mSS_SV_bEUlT_E_NS1_11comp_targetILNS1_3genE9ELNS1_11target_archE1100ELNS1_3gpuE3ELNS1_3repE0EEENS1_30default_config_static_selectorELNS0_4arch9wavefront6targetE0EEEvSP_
    .private_segment_fixed_size: 0
    .sgpr_count:     22
    .sgpr_spill_count: 0
    .symbol:         _ZN7rocprim17ROCPRIM_400000_NS6detail17trampoline_kernelINS0_14default_configENS1_29binary_search_config_selectorItiEEZNS1_14transform_implILb0ES3_S5_N6thrust23THRUST_200600_302600_NS6detail15normal_iteratorINS8_10device_ptrItEEEENSA_INSB_IiEEEEZNS1_13binary_searchIS3_S5_SD_SD_SF_NS1_16binary_search_opENS9_16wrapped_functionINS0_4lessIvEEbEEEE10hipError_tPvRmT1_T2_T3_mmT4_T5_P12ihipStream_tbEUlRKtE_EESM_SQ_SR_mSS_SV_bEUlT_E_NS1_11comp_targetILNS1_3genE9ELNS1_11target_archE1100ELNS1_3gpuE3ELNS1_3repE0EEENS1_30default_config_static_selectorELNS0_4arch9wavefront6targetE0EEEvSP_.kd
    .uniform_work_group_size: 1
    .uses_dynamic_stack: false
    .vgpr_count:     19
    .vgpr_spill_count: 0
    .wavefront_size: 32
    .workgroup_processor_mode: 1
  - .args:
      - .offset:         0
        .size:           56
        .value_kind:     by_value
    .group_segment_fixed_size: 0
    .kernarg_segment_align: 8
    .kernarg_segment_size: 56
    .language:       OpenCL C
    .language_version:
      - 2
      - 0
    .max_flat_workgroup_size: 128
    .name:           _ZN7rocprim17ROCPRIM_400000_NS6detail17trampoline_kernelINS0_14default_configENS1_29binary_search_config_selectorItiEEZNS1_14transform_implILb0ES3_S5_N6thrust23THRUST_200600_302600_NS6detail15normal_iteratorINS8_10device_ptrItEEEENSA_INSB_IiEEEEZNS1_13binary_searchIS3_S5_SD_SD_SF_NS1_16binary_search_opENS9_16wrapped_functionINS0_4lessIvEEbEEEE10hipError_tPvRmT1_T2_T3_mmT4_T5_P12ihipStream_tbEUlRKtE_EESM_SQ_SR_mSS_SV_bEUlT_E_NS1_11comp_targetILNS1_3genE8ELNS1_11target_archE1030ELNS1_3gpuE2ELNS1_3repE0EEENS1_30default_config_static_selectorELNS0_4arch9wavefront6targetE0EEEvSP_
    .private_segment_fixed_size: 0
    .sgpr_count:     0
    .sgpr_spill_count: 0
    .symbol:         _ZN7rocprim17ROCPRIM_400000_NS6detail17trampoline_kernelINS0_14default_configENS1_29binary_search_config_selectorItiEEZNS1_14transform_implILb0ES3_S5_N6thrust23THRUST_200600_302600_NS6detail15normal_iteratorINS8_10device_ptrItEEEENSA_INSB_IiEEEEZNS1_13binary_searchIS3_S5_SD_SD_SF_NS1_16binary_search_opENS9_16wrapped_functionINS0_4lessIvEEbEEEE10hipError_tPvRmT1_T2_T3_mmT4_T5_P12ihipStream_tbEUlRKtE_EESM_SQ_SR_mSS_SV_bEUlT_E_NS1_11comp_targetILNS1_3genE8ELNS1_11target_archE1030ELNS1_3gpuE2ELNS1_3repE0EEENS1_30default_config_static_selectorELNS0_4arch9wavefront6targetE0EEEvSP_.kd
    .uniform_work_group_size: 1
    .uses_dynamic_stack: false
    .vgpr_count:     0
    .vgpr_spill_count: 0
    .wavefront_size: 32
    .workgroup_processor_mode: 1
  - .args:
      - .offset:         0
        .size:           56
        .value_kind:     by_value
    .group_segment_fixed_size: 0
    .kernarg_segment_align: 8
    .kernarg_segment_size: 56
    .language:       OpenCL C
    .language_version:
      - 2
      - 0
    .max_flat_workgroup_size: 256
    .name:           _ZN7rocprim17ROCPRIM_400000_NS6detail17trampoline_kernelINS0_14default_configENS1_29binary_search_config_selectorIxbEEZNS1_14transform_implILb0ES3_S5_N6thrust23THRUST_200600_302600_NS6detail15normal_iteratorINS8_10device_ptrIxEEEENSA_INSB_IbEEEEZNS1_13binary_searchIS3_S5_SD_SD_SF_NS1_16binary_search_opENS9_16wrapped_functionINS0_4lessIvEEbEEEE10hipError_tPvRmT1_T2_T3_mmT4_T5_P12ihipStream_tbEUlRKxE_EESM_SQ_SR_mSS_SV_bEUlT_E_NS1_11comp_targetILNS1_3genE0ELNS1_11target_archE4294967295ELNS1_3gpuE0ELNS1_3repE0EEENS1_30default_config_static_selectorELNS0_4arch9wavefront6targetE0EEEvSP_
    .private_segment_fixed_size: 0
    .sgpr_count:     0
    .sgpr_spill_count: 0
    .symbol:         _ZN7rocprim17ROCPRIM_400000_NS6detail17trampoline_kernelINS0_14default_configENS1_29binary_search_config_selectorIxbEEZNS1_14transform_implILb0ES3_S5_N6thrust23THRUST_200600_302600_NS6detail15normal_iteratorINS8_10device_ptrIxEEEENSA_INSB_IbEEEEZNS1_13binary_searchIS3_S5_SD_SD_SF_NS1_16binary_search_opENS9_16wrapped_functionINS0_4lessIvEEbEEEE10hipError_tPvRmT1_T2_T3_mmT4_T5_P12ihipStream_tbEUlRKxE_EESM_SQ_SR_mSS_SV_bEUlT_E_NS1_11comp_targetILNS1_3genE0ELNS1_11target_archE4294967295ELNS1_3gpuE0ELNS1_3repE0EEENS1_30default_config_static_selectorELNS0_4arch9wavefront6targetE0EEEvSP_.kd
    .uniform_work_group_size: 1
    .uses_dynamic_stack: false
    .vgpr_count:     0
    .vgpr_spill_count: 0
    .wavefront_size: 32
    .workgroup_processor_mode: 1
  - .args:
      - .offset:         0
        .size:           56
        .value_kind:     by_value
    .group_segment_fixed_size: 0
    .kernarg_segment_align: 8
    .kernarg_segment_size: 56
    .language:       OpenCL C
    .language_version:
      - 2
      - 0
    .max_flat_workgroup_size: 64
    .name:           _ZN7rocprim17ROCPRIM_400000_NS6detail17trampoline_kernelINS0_14default_configENS1_29binary_search_config_selectorIxbEEZNS1_14transform_implILb0ES3_S5_N6thrust23THRUST_200600_302600_NS6detail15normal_iteratorINS8_10device_ptrIxEEEENSA_INSB_IbEEEEZNS1_13binary_searchIS3_S5_SD_SD_SF_NS1_16binary_search_opENS9_16wrapped_functionINS0_4lessIvEEbEEEE10hipError_tPvRmT1_T2_T3_mmT4_T5_P12ihipStream_tbEUlRKxE_EESM_SQ_SR_mSS_SV_bEUlT_E_NS1_11comp_targetILNS1_3genE5ELNS1_11target_archE942ELNS1_3gpuE9ELNS1_3repE0EEENS1_30default_config_static_selectorELNS0_4arch9wavefront6targetE0EEEvSP_
    .private_segment_fixed_size: 0
    .sgpr_count:     0
    .sgpr_spill_count: 0
    .symbol:         _ZN7rocprim17ROCPRIM_400000_NS6detail17trampoline_kernelINS0_14default_configENS1_29binary_search_config_selectorIxbEEZNS1_14transform_implILb0ES3_S5_N6thrust23THRUST_200600_302600_NS6detail15normal_iteratorINS8_10device_ptrIxEEEENSA_INSB_IbEEEEZNS1_13binary_searchIS3_S5_SD_SD_SF_NS1_16binary_search_opENS9_16wrapped_functionINS0_4lessIvEEbEEEE10hipError_tPvRmT1_T2_T3_mmT4_T5_P12ihipStream_tbEUlRKxE_EESM_SQ_SR_mSS_SV_bEUlT_E_NS1_11comp_targetILNS1_3genE5ELNS1_11target_archE942ELNS1_3gpuE9ELNS1_3repE0EEENS1_30default_config_static_selectorELNS0_4arch9wavefront6targetE0EEEvSP_.kd
    .uniform_work_group_size: 1
    .uses_dynamic_stack: false
    .vgpr_count:     0
    .vgpr_spill_count: 0
    .wavefront_size: 32
    .workgroup_processor_mode: 1
  - .args:
      - .offset:         0
        .size:           56
        .value_kind:     by_value
    .group_segment_fixed_size: 0
    .kernarg_segment_align: 8
    .kernarg_segment_size: 56
    .language:       OpenCL C
    .language_version:
      - 2
      - 0
    .max_flat_workgroup_size: 64
    .name:           _ZN7rocprim17ROCPRIM_400000_NS6detail17trampoline_kernelINS0_14default_configENS1_29binary_search_config_selectorIxbEEZNS1_14transform_implILb0ES3_S5_N6thrust23THRUST_200600_302600_NS6detail15normal_iteratorINS8_10device_ptrIxEEEENSA_INSB_IbEEEEZNS1_13binary_searchIS3_S5_SD_SD_SF_NS1_16binary_search_opENS9_16wrapped_functionINS0_4lessIvEEbEEEE10hipError_tPvRmT1_T2_T3_mmT4_T5_P12ihipStream_tbEUlRKxE_EESM_SQ_SR_mSS_SV_bEUlT_E_NS1_11comp_targetILNS1_3genE4ELNS1_11target_archE910ELNS1_3gpuE8ELNS1_3repE0EEENS1_30default_config_static_selectorELNS0_4arch9wavefront6targetE0EEEvSP_
    .private_segment_fixed_size: 0
    .sgpr_count:     0
    .sgpr_spill_count: 0
    .symbol:         _ZN7rocprim17ROCPRIM_400000_NS6detail17trampoline_kernelINS0_14default_configENS1_29binary_search_config_selectorIxbEEZNS1_14transform_implILb0ES3_S5_N6thrust23THRUST_200600_302600_NS6detail15normal_iteratorINS8_10device_ptrIxEEEENSA_INSB_IbEEEEZNS1_13binary_searchIS3_S5_SD_SD_SF_NS1_16binary_search_opENS9_16wrapped_functionINS0_4lessIvEEbEEEE10hipError_tPvRmT1_T2_T3_mmT4_T5_P12ihipStream_tbEUlRKxE_EESM_SQ_SR_mSS_SV_bEUlT_E_NS1_11comp_targetILNS1_3genE4ELNS1_11target_archE910ELNS1_3gpuE8ELNS1_3repE0EEENS1_30default_config_static_selectorELNS0_4arch9wavefront6targetE0EEEvSP_.kd
    .uniform_work_group_size: 1
    .uses_dynamic_stack: false
    .vgpr_count:     0
    .vgpr_spill_count: 0
    .wavefront_size: 32
    .workgroup_processor_mode: 1
  - .args:
      - .offset:         0
        .size:           56
        .value_kind:     by_value
    .group_segment_fixed_size: 0
    .kernarg_segment_align: 8
    .kernarg_segment_size: 56
    .language:       OpenCL C
    .language_version:
      - 2
      - 0
    .max_flat_workgroup_size: 256
    .name:           _ZN7rocprim17ROCPRIM_400000_NS6detail17trampoline_kernelINS0_14default_configENS1_29binary_search_config_selectorIxbEEZNS1_14transform_implILb0ES3_S5_N6thrust23THRUST_200600_302600_NS6detail15normal_iteratorINS8_10device_ptrIxEEEENSA_INSB_IbEEEEZNS1_13binary_searchIS3_S5_SD_SD_SF_NS1_16binary_search_opENS9_16wrapped_functionINS0_4lessIvEEbEEEE10hipError_tPvRmT1_T2_T3_mmT4_T5_P12ihipStream_tbEUlRKxE_EESM_SQ_SR_mSS_SV_bEUlT_E_NS1_11comp_targetILNS1_3genE3ELNS1_11target_archE908ELNS1_3gpuE7ELNS1_3repE0EEENS1_30default_config_static_selectorELNS0_4arch9wavefront6targetE0EEEvSP_
    .private_segment_fixed_size: 0
    .sgpr_count:     0
    .sgpr_spill_count: 0
    .symbol:         _ZN7rocprim17ROCPRIM_400000_NS6detail17trampoline_kernelINS0_14default_configENS1_29binary_search_config_selectorIxbEEZNS1_14transform_implILb0ES3_S5_N6thrust23THRUST_200600_302600_NS6detail15normal_iteratorINS8_10device_ptrIxEEEENSA_INSB_IbEEEEZNS1_13binary_searchIS3_S5_SD_SD_SF_NS1_16binary_search_opENS9_16wrapped_functionINS0_4lessIvEEbEEEE10hipError_tPvRmT1_T2_T3_mmT4_T5_P12ihipStream_tbEUlRKxE_EESM_SQ_SR_mSS_SV_bEUlT_E_NS1_11comp_targetILNS1_3genE3ELNS1_11target_archE908ELNS1_3gpuE7ELNS1_3repE0EEENS1_30default_config_static_selectorELNS0_4arch9wavefront6targetE0EEEvSP_.kd
    .uniform_work_group_size: 1
    .uses_dynamic_stack: false
    .vgpr_count:     0
    .vgpr_spill_count: 0
    .wavefront_size: 32
    .workgroup_processor_mode: 1
  - .args:
      - .offset:         0
        .size:           56
        .value_kind:     by_value
    .group_segment_fixed_size: 0
    .kernarg_segment_align: 8
    .kernarg_segment_size: 56
    .language:       OpenCL C
    .language_version:
      - 2
      - 0
    .max_flat_workgroup_size: 256
    .name:           _ZN7rocprim17ROCPRIM_400000_NS6detail17trampoline_kernelINS0_14default_configENS1_29binary_search_config_selectorIxbEEZNS1_14transform_implILb0ES3_S5_N6thrust23THRUST_200600_302600_NS6detail15normal_iteratorINS8_10device_ptrIxEEEENSA_INSB_IbEEEEZNS1_13binary_searchIS3_S5_SD_SD_SF_NS1_16binary_search_opENS9_16wrapped_functionINS0_4lessIvEEbEEEE10hipError_tPvRmT1_T2_T3_mmT4_T5_P12ihipStream_tbEUlRKxE_EESM_SQ_SR_mSS_SV_bEUlT_E_NS1_11comp_targetILNS1_3genE2ELNS1_11target_archE906ELNS1_3gpuE6ELNS1_3repE0EEENS1_30default_config_static_selectorELNS0_4arch9wavefront6targetE0EEEvSP_
    .private_segment_fixed_size: 0
    .sgpr_count:     0
    .sgpr_spill_count: 0
    .symbol:         _ZN7rocprim17ROCPRIM_400000_NS6detail17trampoline_kernelINS0_14default_configENS1_29binary_search_config_selectorIxbEEZNS1_14transform_implILb0ES3_S5_N6thrust23THRUST_200600_302600_NS6detail15normal_iteratorINS8_10device_ptrIxEEEENSA_INSB_IbEEEEZNS1_13binary_searchIS3_S5_SD_SD_SF_NS1_16binary_search_opENS9_16wrapped_functionINS0_4lessIvEEbEEEE10hipError_tPvRmT1_T2_T3_mmT4_T5_P12ihipStream_tbEUlRKxE_EESM_SQ_SR_mSS_SV_bEUlT_E_NS1_11comp_targetILNS1_3genE2ELNS1_11target_archE906ELNS1_3gpuE6ELNS1_3repE0EEENS1_30default_config_static_selectorELNS0_4arch9wavefront6targetE0EEEvSP_.kd
    .uniform_work_group_size: 1
    .uses_dynamic_stack: false
    .vgpr_count:     0
    .vgpr_spill_count: 0
    .wavefront_size: 32
    .workgroup_processor_mode: 1
  - .args:
      - .offset:         0
        .size:           56
        .value_kind:     by_value
    .group_segment_fixed_size: 0
    .kernarg_segment_align: 8
    .kernarg_segment_size: 56
    .language:       OpenCL C
    .language_version:
      - 2
      - 0
    .max_flat_workgroup_size: 256
    .name:           _ZN7rocprim17ROCPRIM_400000_NS6detail17trampoline_kernelINS0_14default_configENS1_29binary_search_config_selectorIxbEEZNS1_14transform_implILb0ES3_S5_N6thrust23THRUST_200600_302600_NS6detail15normal_iteratorINS8_10device_ptrIxEEEENSA_INSB_IbEEEEZNS1_13binary_searchIS3_S5_SD_SD_SF_NS1_16binary_search_opENS9_16wrapped_functionINS0_4lessIvEEbEEEE10hipError_tPvRmT1_T2_T3_mmT4_T5_P12ihipStream_tbEUlRKxE_EESM_SQ_SR_mSS_SV_bEUlT_E_NS1_11comp_targetILNS1_3genE10ELNS1_11target_archE1201ELNS1_3gpuE5ELNS1_3repE0EEENS1_30default_config_static_selectorELNS0_4arch9wavefront6targetE0EEEvSP_
    .private_segment_fixed_size: 0
    .sgpr_count:     0
    .sgpr_spill_count: 0
    .symbol:         _ZN7rocprim17ROCPRIM_400000_NS6detail17trampoline_kernelINS0_14default_configENS1_29binary_search_config_selectorIxbEEZNS1_14transform_implILb0ES3_S5_N6thrust23THRUST_200600_302600_NS6detail15normal_iteratorINS8_10device_ptrIxEEEENSA_INSB_IbEEEEZNS1_13binary_searchIS3_S5_SD_SD_SF_NS1_16binary_search_opENS9_16wrapped_functionINS0_4lessIvEEbEEEE10hipError_tPvRmT1_T2_T3_mmT4_T5_P12ihipStream_tbEUlRKxE_EESM_SQ_SR_mSS_SV_bEUlT_E_NS1_11comp_targetILNS1_3genE10ELNS1_11target_archE1201ELNS1_3gpuE5ELNS1_3repE0EEENS1_30default_config_static_selectorELNS0_4arch9wavefront6targetE0EEEvSP_.kd
    .uniform_work_group_size: 1
    .uses_dynamic_stack: false
    .vgpr_count:     0
    .vgpr_spill_count: 0
    .wavefront_size: 32
    .workgroup_processor_mode: 1
  - .args:
      - .offset:         0
        .size:           56
        .value_kind:     by_value
    .group_segment_fixed_size: 0
    .kernarg_segment_align: 8
    .kernarg_segment_size: 56
    .language:       OpenCL C
    .language_version:
      - 2
      - 0
    .max_flat_workgroup_size: 128
    .name:           _ZN7rocprim17ROCPRIM_400000_NS6detail17trampoline_kernelINS0_14default_configENS1_29binary_search_config_selectorIxbEEZNS1_14transform_implILb0ES3_S5_N6thrust23THRUST_200600_302600_NS6detail15normal_iteratorINS8_10device_ptrIxEEEENSA_INSB_IbEEEEZNS1_13binary_searchIS3_S5_SD_SD_SF_NS1_16binary_search_opENS9_16wrapped_functionINS0_4lessIvEEbEEEE10hipError_tPvRmT1_T2_T3_mmT4_T5_P12ihipStream_tbEUlRKxE_EESM_SQ_SR_mSS_SV_bEUlT_E_NS1_11comp_targetILNS1_3genE10ELNS1_11target_archE1200ELNS1_3gpuE4ELNS1_3repE0EEENS1_30default_config_static_selectorELNS0_4arch9wavefront6targetE0EEEvSP_
    .private_segment_fixed_size: 0
    .sgpr_count:     0
    .sgpr_spill_count: 0
    .symbol:         _ZN7rocprim17ROCPRIM_400000_NS6detail17trampoline_kernelINS0_14default_configENS1_29binary_search_config_selectorIxbEEZNS1_14transform_implILb0ES3_S5_N6thrust23THRUST_200600_302600_NS6detail15normal_iteratorINS8_10device_ptrIxEEEENSA_INSB_IbEEEEZNS1_13binary_searchIS3_S5_SD_SD_SF_NS1_16binary_search_opENS9_16wrapped_functionINS0_4lessIvEEbEEEE10hipError_tPvRmT1_T2_T3_mmT4_T5_P12ihipStream_tbEUlRKxE_EESM_SQ_SR_mSS_SV_bEUlT_E_NS1_11comp_targetILNS1_3genE10ELNS1_11target_archE1200ELNS1_3gpuE4ELNS1_3repE0EEENS1_30default_config_static_selectorELNS0_4arch9wavefront6targetE0EEEvSP_.kd
    .uniform_work_group_size: 1
    .uses_dynamic_stack: false
    .vgpr_count:     0
    .vgpr_spill_count: 0
    .wavefront_size: 32
    .workgroup_processor_mode: 1
  - .args:
      - .offset:         0
        .size:           56
        .value_kind:     by_value
      - .offset:         56
        .size:           4
        .value_kind:     hidden_block_count_x
      - .offset:         60
        .size:           4
        .value_kind:     hidden_block_count_y
      - .offset:         64
        .size:           4
        .value_kind:     hidden_block_count_z
      - .offset:         68
        .size:           2
        .value_kind:     hidden_group_size_x
      - .offset:         70
        .size:           2
        .value_kind:     hidden_group_size_y
      - .offset:         72
        .size:           2
        .value_kind:     hidden_group_size_z
      - .offset:         74
        .size:           2
        .value_kind:     hidden_remainder_x
      - .offset:         76
        .size:           2
        .value_kind:     hidden_remainder_y
      - .offset:         78
        .size:           2
        .value_kind:     hidden_remainder_z
      - .offset:         96
        .size:           8
        .value_kind:     hidden_global_offset_x
      - .offset:         104
        .size:           8
        .value_kind:     hidden_global_offset_y
      - .offset:         112
        .size:           8
        .value_kind:     hidden_global_offset_z
      - .offset:         120
        .size:           2
        .value_kind:     hidden_grid_dims
    .group_segment_fixed_size: 0
    .kernarg_segment_align: 8
    .kernarg_segment_size: 312
    .language:       OpenCL C
    .language_version:
      - 2
      - 0
    .max_flat_workgroup_size: 64
    .name:           _ZN7rocprim17ROCPRIM_400000_NS6detail17trampoline_kernelINS0_14default_configENS1_29binary_search_config_selectorIxbEEZNS1_14transform_implILb0ES3_S5_N6thrust23THRUST_200600_302600_NS6detail15normal_iteratorINS8_10device_ptrIxEEEENSA_INSB_IbEEEEZNS1_13binary_searchIS3_S5_SD_SD_SF_NS1_16binary_search_opENS9_16wrapped_functionINS0_4lessIvEEbEEEE10hipError_tPvRmT1_T2_T3_mmT4_T5_P12ihipStream_tbEUlRKxE_EESM_SQ_SR_mSS_SV_bEUlT_E_NS1_11comp_targetILNS1_3genE9ELNS1_11target_archE1100ELNS1_3gpuE3ELNS1_3repE0EEENS1_30default_config_static_selectorELNS0_4arch9wavefront6targetE0EEEvSP_
    .private_segment_fixed_size: 0
    .sgpr_count:     30
    .sgpr_spill_count: 0
    .symbol:         _ZN7rocprim17ROCPRIM_400000_NS6detail17trampoline_kernelINS0_14default_configENS1_29binary_search_config_selectorIxbEEZNS1_14transform_implILb0ES3_S5_N6thrust23THRUST_200600_302600_NS6detail15normal_iteratorINS8_10device_ptrIxEEEENSA_INSB_IbEEEEZNS1_13binary_searchIS3_S5_SD_SD_SF_NS1_16binary_search_opENS9_16wrapped_functionINS0_4lessIvEEbEEEE10hipError_tPvRmT1_T2_T3_mmT4_T5_P12ihipStream_tbEUlRKxE_EESM_SQ_SR_mSS_SV_bEUlT_E_NS1_11comp_targetILNS1_3genE9ELNS1_11target_archE1100ELNS1_3gpuE3ELNS1_3repE0EEENS1_30default_config_static_selectorELNS0_4arch9wavefront6targetE0EEEvSP_.kd
    .uniform_work_group_size: 1
    .uses_dynamic_stack: false
    .vgpr_count:     42
    .vgpr_spill_count: 0
    .wavefront_size: 32
    .workgroup_processor_mode: 1
  - .args:
      - .offset:         0
        .size:           56
        .value_kind:     by_value
    .group_segment_fixed_size: 0
    .kernarg_segment_align: 8
    .kernarg_segment_size: 56
    .language:       OpenCL C
    .language_version:
      - 2
      - 0
    .max_flat_workgroup_size: 256
    .name:           _ZN7rocprim17ROCPRIM_400000_NS6detail17trampoline_kernelINS0_14default_configENS1_29binary_search_config_selectorIxbEEZNS1_14transform_implILb0ES3_S5_N6thrust23THRUST_200600_302600_NS6detail15normal_iteratorINS8_10device_ptrIxEEEENSA_INSB_IbEEEEZNS1_13binary_searchIS3_S5_SD_SD_SF_NS1_16binary_search_opENS9_16wrapped_functionINS0_4lessIvEEbEEEE10hipError_tPvRmT1_T2_T3_mmT4_T5_P12ihipStream_tbEUlRKxE_EESM_SQ_SR_mSS_SV_bEUlT_E_NS1_11comp_targetILNS1_3genE8ELNS1_11target_archE1030ELNS1_3gpuE2ELNS1_3repE0EEENS1_30default_config_static_selectorELNS0_4arch9wavefront6targetE0EEEvSP_
    .private_segment_fixed_size: 0
    .sgpr_count:     0
    .sgpr_spill_count: 0
    .symbol:         _ZN7rocprim17ROCPRIM_400000_NS6detail17trampoline_kernelINS0_14default_configENS1_29binary_search_config_selectorIxbEEZNS1_14transform_implILb0ES3_S5_N6thrust23THRUST_200600_302600_NS6detail15normal_iteratorINS8_10device_ptrIxEEEENSA_INSB_IbEEEEZNS1_13binary_searchIS3_S5_SD_SD_SF_NS1_16binary_search_opENS9_16wrapped_functionINS0_4lessIvEEbEEEE10hipError_tPvRmT1_T2_T3_mmT4_T5_P12ihipStream_tbEUlRKxE_EESM_SQ_SR_mSS_SV_bEUlT_E_NS1_11comp_targetILNS1_3genE8ELNS1_11target_archE1030ELNS1_3gpuE2ELNS1_3repE0EEENS1_30default_config_static_selectorELNS0_4arch9wavefront6targetE0EEEvSP_.kd
    .uniform_work_group_size: 1
    .uses_dynamic_stack: false
    .vgpr_count:     0
    .vgpr_spill_count: 0
    .wavefront_size: 32
    .workgroup_processor_mode: 1
  - .args:
      - .offset:         0
        .size:           56
        .value_kind:     by_value
    .group_segment_fixed_size: 0
    .kernarg_segment_align: 8
    .kernarg_segment_size: 56
    .language:       OpenCL C
    .language_version:
      - 2
      - 0
    .max_flat_workgroup_size: 256
    .name:           _ZN7rocprim17ROCPRIM_400000_NS6detail17trampoline_kernelINS0_14default_configENS1_29binary_search_config_selectorIxiEEZNS1_14transform_implILb0ES3_S5_N6thrust23THRUST_200600_302600_NS6detail15normal_iteratorINS8_10device_ptrIxEEEENSA_INSB_IiEEEEZNS1_13binary_searchIS3_S5_SD_SD_SF_NS1_16binary_search_opENS9_16wrapped_functionINS0_4lessIvEEbEEEE10hipError_tPvRmT1_T2_T3_mmT4_T5_P12ihipStream_tbEUlRKxE_EESM_SQ_SR_mSS_SV_bEUlT_E_NS1_11comp_targetILNS1_3genE0ELNS1_11target_archE4294967295ELNS1_3gpuE0ELNS1_3repE0EEENS1_30default_config_static_selectorELNS0_4arch9wavefront6targetE0EEEvSP_
    .private_segment_fixed_size: 0
    .sgpr_count:     0
    .sgpr_spill_count: 0
    .symbol:         _ZN7rocprim17ROCPRIM_400000_NS6detail17trampoline_kernelINS0_14default_configENS1_29binary_search_config_selectorIxiEEZNS1_14transform_implILb0ES3_S5_N6thrust23THRUST_200600_302600_NS6detail15normal_iteratorINS8_10device_ptrIxEEEENSA_INSB_IiEEEEZNS1_13binary_searchIS3_S5_SD_SD_SF_NS1_16binary_search_opENS9_16wrapped_functionINS0_4lessIvEEbEEEE10hipError_tPvRmT1_T2_T3_mmT4_T5_P12ihipStream_tbEUlRKxE_EESM_SQ_SR_mSS_SV_bEUlT_E_NS1_11comp_targetILNS1_3genE0ELNS1_11target_archE4294967295ELNS1_3gpuE0ELNS1_3repE0EEENS1_30default_config_static_selectorELNS0_4arch9wavefront6targetE0EEEvSP_.kd
    .uniform_work_group_size: 1
    .uses_dynamic_stack: false
    .vgpr_count:     0
    .vgpr_spill_count: 0
    .wavefront_size: 32
    .workgroup_processor_mode: 1
  - .args:
      - .offset:         0
        .size:           56
        .value_kind:     by_value
    .group_segment_fixed_size: 0
    .kernarg_segment_align: 8
    .kernarg_segment_size: 56
    .language:       OpenCL C
    .language_version:
      - 2
      - 0
    .max_flat_workgroup_size: 64
    .name:           _ZN7rocprim17ROCPRIM_400000_NS6detail17trampoline_kernelINS0_14default_configENS1_29binary_search_config_selectorIxiEEZNS1_14transform_implILb0ES3_S5_N6thrust23THRUST_200600_302600_NS6detail15normal_iteratorINS8_10device_ptrIxEEEENSA_INSB_IiEEEEZNS1_13binary_searchIS3_S5_SD_SD_SF_NS1_16binary_search_opENS9_16wrapped_functionINS0_4lessIvEEbEEEE10hipError_tPvRmT1_T2_T3_mmT4_T5_P12ihipStream_tbEUlRKxE_EESM_SQ_SR_mSS_SV_bEUlT_E_NS1_11comp_targetILNS1_3genE5ELNS1_11target_archE942ELNS1_3gpuE9ELNS1_3repE0EEENS1_30default_config_static_selectorELNS0_4arch9wavefront6targetE0EEEvSP_
    .private_segment_fixed_size: 0
    .sgpr_count:     0
    .sgpr_spill_count: 0
    .symbol:         _ZN7rocprim17ROCPRIM_400000_NS6detail17trampoline_kernelINS0_14default_configENS1_29binary_search_config_selectorIxiEEZNS1_14transform_implILb0ES3_S5_N6thrust23THRUST_200600_302600_NS6detail15normal_iteratorINS8_10device_ptrIxEEEENSA_INSB_IiEEEEZNS1_13binary_searchIS3_S5_SD_SD_SF_NS1_16binary_search_opENS9_16wrapped_functionINS0_4lessIvEEbEEEE10hipError_tPvRmT1_T2_T3_mmT4_T5_P12ihipStream_tbEUlRKxE_EESM_SQ_SR_mSS_SV_bEUlT_E_NS1_11comp_targetILNS1_3genE5ELNS1_11target_archE942ELNS1_3gpuE9ELNS1_3repE0EEENS1_30default_config_static_selectorELNS0_4arch9wavefront6targetE0EEEvSP_.kd
    .uniform_work_group_size: 1
    .uses_dynamic_stack: false
    .vgpr_count:     0
    .vgpr_spill_count: 0
    .wavefront_size: 32
    .workgroup_processor_mode: 1
  - .args:
      - .offset:         0
        .size:           56
        .value_kind:     by_value
    .group_segment_fixed_size: 0
    .kernarg_segment_align: 8
    .kernarg_segment_size: 56
    .language:       OpenCL C
    .language_version:
      - 2
      - 0
    .max_flat_workgroup_size: 64
    .name:           _ZN7rocprim17ROCPRIM_400000_NS6detail17trampoline_kernelINS0_14default_configENS1_29binary_search_config_selectorIxiEEZNS1_14transform_implILb0ES3_S5_N6thrust23THRUST_200600_302600_NS6detail15normal_iteratorINS8_10device_ptrIxEEEENSA_INSB_IiEEEEZNS1_13binary_searchIS3_S5_SD_SD_SF_NS1_16binary_search_opENS9_16wrapped_functionINS0_4lessIvEEbEEEE10hipError_tPvRmT1_T2_T3_mmT4_T5_P12ihipStream_tbEUlRKxE_EESM_SQ_SR_mSS_SV_bEUlT_E_NS1_11comp_targetILNS1_3genE4ELNS1_11target_archE910ELNS1_3gpuE8ELNS1_3repE0EEENS1_30default_config_static_selectorELNS0_4arch9wavefront6targetE0EEEvSP_
    .private_segment_fixed_size: 0
    .sgpr_count:     0
    .sgpr_spill_count: 0
    .symbol:         _ZN7rocprim17ROCPRIM_400000_NS6detail17trampoline_kernelINS0_14default_configENS1_29binary_search_config_selectorIxiEEZNS1_14transform_implILb0ES3_S5_N6thrust23THRUST_200600_302600_NS6detail15normal_iteratorINS8_10device_ptrIxEEEENSA_INSB_IiEEEEZNS1_13binary_searchIS3_S5_SD_SD_SF_NS1_16binary_search_opENS9_16wrapped_functionINS0_4lessIvEEbEEEE10hipError_tPvRmT1_T2_T3_mmT4_T5_P12ihipStream_tbEUlRKxE_EESM_SQ_SR_mSS_SV_bEUlT_E_NS1_11comp_targetILNS1_3genE4ELNS1_11target_archE910ELNS1_3gpuE8ELNS1_3repE0EEENS1_30default_config_static_selectorELNS0_4arch9wavefront6targetE0EEEvSP_.kd
    .uniform_work_group_size: 1
    .uses_dynamic_stack: false
    .vgpr_count:     0
    .vgpr_spill_count: 0
    .wavefront_size: 32
    .workgroup_processor_mode: 1
  - .args:
      - .offset:         0
        .size:           56
        .value_kind:     by_value
    .group_segment_fixed_size: 0
    .kernarg_segment_align: 8
    .kernarg_segment_size: 56
    .language:       OpenCL C
    .language_version:
      - 2
      - 0
    .max_flat_workgroup_size: 256
    .name:           _ZN7rocprim17ROCPRIM_400000_NS6detail17trampoline_kernelINS0_14default_configENS1_29binary_search_config_selectorIxiEEZNS1_14transform_implILb0ES3_S5_N6thrust23THRUST_200600_302600_NS6detail15normal_iteratorINS8_10device_ptrIxEEEENSA_INSB_IiEEEEZNS1_13binary_searchIS3_S5_SD_SD_SF_NS1_16binary_search_opENS9_16wrapped_functionINS0_4lessIvEEbEEEE10hipError_tPvRmT1_T2_T3_mmT4_T5_P12ihipStream_tbEUlRKxE_EESM_SQ_SR_mSS_SV_bEUlT_E_NS1_11comp_targetILNS1_3genE3ELNS1_11target_archE908ELNS1_3gpuE7ELNS1_3repE0EEENS1_30default_config_static_selectorELNS0_4arch9wavefront6targetE0EEEvSP_
    .private_segment_fixed_size: 0
    .sgpr_count:     0
    .sgpr_spill_count: 0
    .symbol:         _ZN7rocprim17ROCPRIM_400000_NS6detail17trampoline_kernelINS0_14default_configENS1_29binary_search_config_selectorIxiEEZNS1_14transform_implILb0ES3_S5_N6thrust23THRUST_200600_302600_NS6detail15normal_iteratorINS8_10device_ptrIxEEEENSA_INSB_IiEEEEZNS1_13binary_searchIS3_S5_SD_SD_SF_NS1_16binary_search_opENS9_16wrapped_functionINS0_4lessIvEEbEEEE10hipError_tPvRmT1_T2_T3_mmT4_T5_P12ihipStream_tbEUlRKxE_EESM_SQ_SR_mSS_SV_bEUlT_E_NS1_11comp_targetILNS1_3genE3ELNS1_11target_archE908ELNS1_3gpuE7ELNS1_3repE0EEENS1_30default_config_static_selectorELNS0_4arch9wavefront6targetE0EEEvSP_.kd
    .uniform_work_group_size: 1
    .uses_dynamic_stack: false
    .vgpr_count:     0
    .vgpr_spill_count: 0
    .wavefront_size: 32
    .workgroup_processor_mode: 1
  - .args:
      - .offset:         0
        .size:           56
        .value_kind:     by_value
    .group_segment_fixed_size: 0
    .kernarg_segment_align: 8
    .kernarg_segment_size: 56
    .language:       OpenCL C
    .language_version:
      - 2
      - 0
    .max_flat_workgroup_size: 256
    .name:           _ZN7rocprim17ROCPRIM_400000_NS6detail17trampoline_kernelINS0_14default_configENS1_29binary_search_config_selectorIxiEEZNS1_14transform_implILb0ES3_S5_N6thrust23THRUST_200600_302600_NS6detail15normal_iteratorINS8_10device_ptrIxEEEENSA_INSB_IiEEEEZNS1_13binary_searchIS3_S5_SD_SD_SF_NS1_16binary_search_opENS9_16wrapped_functionINS0_4lessIvEEbEEEE10hipError_tPvRmT1_T2_T3_mmT4_T5_P12ihipStream_tbEUlRKxE_EESM_SQ_SR_mSS_SV_bEUlT_E_NS1_11comp_targetILNS1_3genE2ELNS1_11target_archE906ELNS1_3gpuE6ELNS1_3repE0EEENS1_30default_config_static_selectorELNS0_4arch9wavefront6targetE0EEEvSP_
    .private_segment_fixed_size: 0
    .sgpr_count:     0
    .sgpr_spill_count: 0
    .symbol:         _ZN7rocprim17ROCPRIM_400000_NS6detail17trampoline_kernelINS0_14default_configENS1_29binary_search_config_selectorIxiEEZNS1_14transform_implILb0ES3_S5_N6thrust23THRUST_200600_302600_NS6detail15normal_iteratorINS8_10device_ptrIxEEEENSA_INSB_IiEEEEZNS1_13binary_searchIS3_S5_SD_SD_SF_NS1_16binary_search_opENS9_16wrapped_functionINS0_4lessIvEEbEEEE10hipError_tPvRmT1_T2_T3_mmT4_T5_P12ihipStream_tbEUlRKxE_EESM_SQ_SR_mSS_SV_bEUlT_E_NS1_11comp_targetILNS1_3genE2ELNS1_11target_archE906ELNS1_3gpuE6ELNS1_3repE0EEENS1_30default_config_static_selectorELNS0_4arch9wavefront6targetE0EEEvSP_.kd
    .uniform_work_group_size: 1
    .uses_dynamic_stack: false
    .vgpr_count:     0
    .vgpr_spill_count: 0
    .wavefront_size: 32
    .workgroup_processor_mode: 1
  - .args:
      - .offset:         0
        .size:           56
        .value_kind:     by_value
    .group_segment_fixed_size: 0
    .kernarg_segment_align: 8
    .kernarg_segment_size: 56
    .language:       OpenCL C
    .language_version:
      - 2
      - 0
    .max_flat_workgroup_size: 128
    .name:           _ZN7rocprim17ROCPRIM_400000_NS6detail17trampoline_kernelINS0_14default_configENS1_29binary_search_config_selectorIxiEEZNS1_14transform_implILb0ES3_S5_N6thrust23THRUST_200600_302600_NS6detail15normal_iteratorINS8_10device_ptrIxEEEENSA_INSB_IiEEEEZNS1_13binary_searchIS3_S5_SD_SD_SF_NS1_16binary_search_opENS9_16wrapped_functionINS0_4lessIvEEbEEEE10hipError_tPvRmT1_T2_T3_mmT4_T5_P12ihipStream_tbEUlRKxE_EESM_SQ_SR_mSS_SV_bEUlT_E_NS1_11comp_targetILNS1_3genE10ELNS1_11target_archE1201ELNS1_3gpuE5ELNS1_3repE0EEENS1_30default_config_static_selectorELNS0_4arch9wavefront6targetE0EEEvSP_
    .private_segment_fixed_size: 0
    .sgpr_count:     0
    .sgpr_spill_count: 0
    .symbol:         _ZN7rocprim17ROCPRIM_400000_NS6detail17trampoline_kernelINS0_14default_configENS1_29binary_search_config_selectorIxiEEZNS1_14transform_implILb0ES3_S5_N6thrust23THRUST_200600_302600_NS6detail15normal_iteratorINS8_10device_ptrIxEEEENSA_INSB_IiEEEEZNS1_13binary_searchIS3_S5_SD_SD_SF_NS1_16binary_search_opENS9_16wrapped_functionINS0_4lessIvEEbEEEE10hipError_tPvRmT1_T2_T3_mmT4_T5_P12ihipStream_tbEUlRKxE_EESM_SQ_SR_mSS_SV_bEUlT_E_NS1_11comp_targetILNS1_3genE10ELNS1_11target_archE1201ELNS1_3gpuE5ELNS1_3repE0EEENS1_30default_config_static_selectorELNS0_4arch9wavefront6targetE0EEEvSP_.kd
    .uniform_work_group_size: 1
    .uses_dynamic_stack: false
    .vgpr_count:     0
    .vgpr_spill_count: 0
    .wavefront_size: 32
    .workgroup_processor_mode: 1
  - .args:
      - .offset:         0
        .size:           56
        .value_kind:     by_value
    .group_segment_fixed_size: 0
    .kernarg_segment_align: 8
    .kernarg_segment_size: 56
    .language:       OpenCL C
    .language_version:
      - 2
      - 0
    .max_flat_workgroup_size: 128
    .name:           _ZN7rocprim17ROCPRIM_400000_NS6detail17trampoline_kernelINS0_14default_configENS1_29binary_search_config_selectorIxiEEZNS1_14transform_implILb0ES3_S5_N6thrust23THRUST_200600_302600_NS6detail15normal_iteratorINS8_10device_ptrIxEEEENSA_INSB_IiEEEEZNS1_13binary_searchIS3_S5_SD_SD_SF_NS1_16binary_search_opENS9_16wrapped_functionINS0_4lessIvEEbEEEE10hipError_tPvRmT1_T2_T3_mmT4_T5_P12ihipStream_tbEUlRKxE_EESM_SQ_SR_mSS_SV_bEUlT_E_NS1_11comp_targetILNS1_3genE10ELNS1_11target_archE1200ELNS1_3gpuE4ELNS1_3repE0EEENS1_30default_config_static_selectorELNS0_4arch9wavefront6targetE0EEEvSP_
    .private_segment_fixed_size: 0
    .sgpr_count:     0
    .sgpr_spill_count: 0
    .symbol:         _ZN7rocprim17ROCPRIM_400000_NS6detail17trampoline_kernelINS0_14default_configENS1_29binary_search_config_selectorIxiEEZNS1_14transform_implILb0ES3_S5_N6thrust23THRUST_200600_302600_NS6detail15normal_iteratorINS8_10device_ptrIxEEEENSA_INSB_IiEEEEZNS1_13binary_searchIS3_S5_SD_SD_SF_NS1_16binary_search_opENS9_16wrapped_functionINS0_4lessIvEEbEEEE10hipError_tPvRmT1_T2_T3_mmT4_T5_P12ihipStream_tbEUlRKxE_EESM_SQ_SR_mSS_SV_bEUlT_E_NS1_11comp_targetILNS1_3genE10ELNS1_11target_archE1200ELNS1_3gpuE4ELNS1_3repE0EEENS1_30default_config_static_selectorELNS0_4arch9wavefront6targetE0EEEvSP_.kd
    .uniform_work_group_size: 1
    .uses_dynamic_stack: false
    .vgpr_count:     0
    .vgpr_spill_count: 0
    .wavefront_size: 32
    .workgroup_processor_mode: 1
  - .args:
      - .offset:         0
        .size:           56
        .value_kind:     by_value
      - .offset:         56
        .size:           4
        .value_kind:     hidden_block_count_x
      - .offset:         60
        .size:           4
        .value_kind:     hidden_block_count_y
      - .offset:         64
        .size:           4
        .value_kind:     hidden_block_count_z
      - .offset:         68
        .size:           2
        .value_kind:     hidden_group_size_x
      - .offset:         70
        .size:           2
        .value_kind:     hidden_group_size_y
      - .offset:         72
        .size:           2
        .value_kind:     hidden_group_size_z
      - .offset:         74
        .size:           2
        .value_kind:     hidden_remainder_x
      - .offset:         76
        .size:           2
        .value_kind:     hidden_remainder_y
      - .offset:         78
        .size:           2
        .value_kind:     hidden_remainder_z
      - .offset:         96
        .size:           8
        .value_kind:     hidden_global_offset_x
      - .offset:         104
        .size:           8
        .value_kind:     hidden_global_offset_y
      - .offset:         112
        .size:           8
        .value_kind:     hidden_global_offset_z
      - .offset:         120
        .size:           2
        .value_kind:     hidden_grid_dims
    .group_segment_fixed_size: 0
    .kernarg_segment_align: 8
    .kernarg_segment_size: 312
    .language:       OpenCL C
    .language_version:
      - 2
      - 0
    .max_flat_workgroup_size: 256
    .name:           _ZN7rocprim17ROCPRIM_400000_NS6detail17trampoline_kernelINS0_14default_configENS1_29binary_search_config_selectorIxiEEZNS1_14transform_implILb0ES3_S5_N6thrust23THRUST_200600_302600_NS6detail15normal_iteratorINS8_10device_ptrIxEEEENSA_INSB_IiEEEEZNS1_13binary_searchIS3_S5_SD_SD_SF_NS1_16binary_search_opENS9_16wrapped_functionINS0_4lessIvEEbEEEE10hipError_tPvRmT1_T2_T3_mmT4_T5_P12ihipStream_tbEUlRKxE_EESM_SQ_SR_mSS_SV_bEUlT_E_NS1_11comp_targetILNS1_3genE9ELNS1_11target_archE1100ELNS1_3gpuE3ELNS1_3repE0EEENS1_30default_config_static_selectorELNS0_4arch9wavefront6targetE0EEEvSP_
    .private_segment_fixed_size: 0
    .sgpr_count:     30
    .sgpr_spill_count: 0
    .symbol:         _ZN7rocprim17ROCPRIM_400000_NS6detail17trampoline_kernelINS0_14default_configENS1_29binary_search_config_selectorIxiEEZNS1_14transform_implILb0ES3_S5_N6thrust23THRUST_200600_302600_NS6detail15normal_iteratorINS8_10device_ptrIxEEEENSA_INSB_IiEEEEZNS1_13binary_searchIS3_S5_SD_SD_SF_NS1_16binary_search_opENS9_16wrapped_functionINS0_4lessIvEEbEEEE10hipError_tPvRmT1_T2_T3_mmT4_T5_P12ihipStream_tbEUlRKxE_EESM_SQ_SR_mSS_SV_bEUlT_E_NS1_11comp_targetILNS1_3genE9ELNS1_11target_archE1100ELNS1_3gpuE3ELNS1_3repE0EEENS1_30default_config_static_selectorELNS0_4arch9wavefront6targetE0EEEvSP_.kd
    .uniform_work_group_size: 1
    .uses_dynamic_stack: false
    .vgpr_count:     42
    .vgpr_spill_count: 0
    .wavefront_size: 32
    .workgroup_processor_mode: 1
  - .args:
      - .offset:         0
        .size:           56
        .value_kind:     by_value
    .group_segment_fixed_size: 0
    .kernarg_segment_align: 8
    .kernarg_segment_size: 56
    .language:       OpenCL C
    .language_version:
      - 2
      - 0
    .max_flat_workgroup_size: 256
    .name:           _ZN7rocprim17ROCPRIM_400000_NS6detail17trampoline_kernelINS0_14default_configENS1_29binary_search_config_selectorIxiEEZNS1_14transform_implILb0ES3_S5_N6thrust23THRUST_200600_302600_NS6detail15normal_iteratorINS8_10device_ptrIxEEEENSA_INSB_IiEEEEZNS1_13binary_searchIS3_S5_SD_SD_SF_NS1_16binary_search_opENS9_16wrapped_functionINS0_4lessIvEEbEEEE10hipError_tPvRmT1_T2_T3_mmT4_T5_P12ihipStream_tbEUlRKxE_EESM_SQ_SR_mSS_SV_bEUlT_E_NS1_11comp_targetILNS1_3genE8ELNS1_11target_archE1030ELNS1_3gpuE2ELNS1_3repE0EEENS1_30default_config_static_selectorELNS0_4arch9wavefront6targetE0EEEvSP_
    .private_segment_fixed_size: 0
    .sgpr_count:     0
    .sgpr_spill_count: 0
    .symbol:         _ZN7rocprim17ROCPRIM_400000_NS6detail17trampoline_kernelINS0_14default_configENS1_29binary_search_config_selectorIxiEEZNS1_14transform_implILb0ES3_S5_N6thrust23THRUST_200600_302600_NS6detail15normal_iteratorINS8_10device_ptrIxEEEENSA_INSB_IiEEEEZNS1_13binary_searchIS3_S5_SD_SD_SF_NS1_16binary_search_opENS9_16wrapped_functionINS0_4lessIvEEbEEEE10hipError_tPvRmT1_T2_T3_mmT4_T5_P12ihipStream_tbEUlRKxE_EESM_SQ_SR_mSS_SV_bEUlT_E_NS1_11comp_targetILNS1_3genE8ELNS1_11target_archE1030ELNS1_3gpuE2ELNS1_3repE0EEENS1_30default_config_static_selectorELNS0_4arch9wavefront6targetE0EEEvSP_.kd
    .uniform_work_group_size: 1
    .uses_dynamic_stack: false
    .vgpr_count:     0
    .vgpr_spill_count: 0
    .wavefront_size: 32
    .workgroup_processor_mode: 1
  - .args:
      - .offset:         0
        .size:           56
        .value_kind:     by_value
    .group_segment_fixed_size: 0
    .kernarg_segment_align: 8
    .kernarg_segment_size: 56
    .language:       OpenCL C
    .language_version:
      - 2
      - 0
    .max_flat_workgroup_size: 256
    .name:           _ZN7rocprim17ROCPRIM_400000_NS6detail17trampoline_kernelINS0_14default_configENS1_29binary_search_config_selectorIibEEZNS1_14transform_implILb0ES3_S5_N6thrust23THRUST_200600_302600_NS6detail15normal_iteratorINS8_10device_ptrIiEEEENSA_INSB_IbEEEEZNS1_13binary_searchIS3_S5_SD_SD_SF_NS1_16binary_search_opENS9_16wrapped_functionINS0_4lessIvEEbEEEE10hipError_tPvRmT1_T2_T3_mmT4_T5_P12ihipStream_tbEUlRKiE_EESM_SQ_SR_mSS_SV_bEUlT_E_NS1_11comp_targetILNS1_3genE0ELNS1_11target_archE4294967295ELNS1_3gpuE0ELNS1_3repE0EEENS1_30default_config_static_selectorELNS0_4arch9wavefront6targetE0EEEvSP_
    .private_segment_fixed_size: 0
    .sgpr_count:     0
    .sgpr_spill_count: 0
    .symbol:         _ZN7rocprim17ROCPRIM_400000_NS6detail17trampoline_kernelINS0_14default_configENS1_29binary_search_config_selectorIibEEZNS1_14transform_implILb0ES3_S5_N6thrust23THRUST_200600_302600_NS6detail15normal_iteratorINS8_10device_ptrIiEEEENSA_INSB_IbEEEEZNS1_13binary_searchIS3_S5_SD_SD_SF_NS1_16binary_search_opENS9_16wrapped_functionINS0_4lessIvEEbEEEE10hipError_tPvRmT1_T2_T3_mmT4_T5_P12ihipStream_tbEUlRKiE_EESM_SQ_SR_mSS_SV_bEUlT_E_NS1_11comp_targetILNS1_3genE0ELNS1_11target_archE4294967295ELNS1_3gpuE0ELNS1_3repE0EEENS1_30default_config_static_selectorELNS0_4arch9wavefront6targetE0EEEvSP_.kd
    .uniform_work_group_size: 1
    .uses_dynamic_stack: false
    .vgpr_count:     0
    .vgpr_spill_count: 0
    .wavefront_size: 32
    .workgroup_processor_mode: 1
  - .args:
      - .offset:         0
        .size:           56
        .value_kind:     by_value
    .group_segment_fixed_size: 0
    .kernarg_segment_align: 8
    .kernarg_segment_size: 56
    .language:       OpenCL C
    .language_version:
      - 2
      - 0
    .max_flat_workgroup_size: 256
    .name:           _ZN7rocprim17ROCPRIM_400000_NS6detail17trampoline_kernelINS0_14default_configENS1_29binary_search_config_selectorIibEEZNS1_14transform_implILb0ES3_S5_N6thrust23THRUST_200600_302600_NS6detail15normal_iteratorINS8_10device_ptrIiEEEENSA_INSB_IbEEEEZNS1_13binary_searchIS3_S5_SD_SD_SF_NS1_16binary_search_opENS9_16wrapped_functionINS0_4lessIvEEbEEEE10hipError_tPvRmT1_T2_T3_mmT4_T5_P12ihipStream_tbEUlRKiE_EESM_SQ_SR_mSS_SV_bEUlT_E_NS1_11comp_targetILNS1_3genE5ELNS1_11target_archE942ELNS1_3gpuE9ELNS1_3repE0EEENS1_30default_config_static_selectorELNS0_4arch9wavefront6targetE0EEEvSP_
    .private_segment_fixed_size: 0
    .sgpr_count:     0
    .sgpr_spill_count: 0
    .symbol:         _ZN7rocprim17ROCPRIM_400000_NS6detail17trampoline_kernelINS0_14default_configENS1_29binary_search_config_selectorIibEEZNS1_14transform_implILb0ES3_S5_N6thrust23THRUST_200600_302600_NS6detail15normal_iteratorINS8_10device_ptrIiEEEENSA_INSB_IbEEEEZNS1_13binary_searchIS3_S5_SD_SD_SF_NS1_16binary_search_opENS9_16wrapped_functionINS0_4lessIvEEbEEEE10hipError_tPvRmT1_T2_T3_mmT4_T5_P12ihipStream_tbEUlRKiE_EESM_SQ_SR_mSS_SV_bEUlT_E_NS1_11comp_targetILNS1_3genE5ELNS1_11target_archE942ELNS1_3gpuE9ELNS1_3repE0EEENS1_30default_config_static_selectorELNS0_4arch9wavefront6targetE0EEEvSP_.kd
    .uniform_work_group_size: 1
    .uses_dynamic_stack: false
    .vgpr_count:     0
    .vgpr_spill_count: 0
    .wavefront_size: 32
    .workgroup_processor_mode: 1
  - .args:
      - .offset:         0
        .size:           56
        .value_kind:     by_value
    .group_segment_fixed_size: 0
    .kernarg_segment_align: 8
    .kernarg_segment_size: 56
    .language:       OpenCL C
    .language_version:
      - 2
      - 0
    .max_flat_workgroup_size: 256
    .name:           _ZN7rocprim17ROCPRIM_400000_NS6detail17trampoline_kernelINS0_14default_configENS1_29binary_search_config_selectorIibEEZNS1_14transform_implILb0ES3_S5_N6thrust23THRUST_200600_302600_NS6detail15normal_iteratorINS8_10device_ptrIiEEEENSA_INSB_IbEEEEZNS1_13binary_searchIS3_S5_SD_SD_SF_NS1_16binary_search_opENS9_16wrapped_functionINS0_4lessIvEEbEEEE10hipError_tPvRmT1_T2_T3_mmT4_T5_P12ihipStream_tbEUlRKiE_EESM_SQ_SR_mSS_SV_bEUlT_E_NS1_11comp_targetILNS1_3genE4ELNS1_11target_archE910ELNS1_3gpuE8ELNS1_3repE0EEENS1_30default_config_static_selectorELNS0_4arch9wavefront6targetE0EEEvSP_
    .private_segment_fixed_size: 0
    .sgpr_count:     0
    .sgpr_spill_count: 0
    .symbol:         _ZN7rocprim17ROCPRIM_400000_NS6detail17trampoline_kernelINS0_14default_configENS1_29binary_search_config_selectorIibEEZNS1_14transform_implILb0ES3_S5_N6thrust23THRUST_200600_302600_NS6detail15normal_iteratorINS8_10device_ptrIiEEEENSA_INSB_IbEEEEZNS1_13binary_searchIS3_S5_SD_SD_SF_NS1_16binary_search_opENS9_16wrapped_functionINS0_4lessIvEEbEEEE10hipError_tPvRmT1_T2_T3_mmT4_T5_P12ihipStream_tbEUlRKiE_EESM_SQ_SR_mSS_SV_bEUlT_E_NS1_11comp_targetILNS1_3genE4ELNS1_11target_archE910ELNS1_3gpuE8ELNS1_3repE0EEENS1_30default_config_static_selectorELNS0_4arch9wavefront6targetE0EEEvSP_.kd
    .uniform_work_group_size: 1
    .uses_dynamic_stack: false
    .vgpr_count:     0
    .vgpr_spill_count: 0
    .wavefront_size: 32
    .workgroup_processor_mode: 1
  - .args:
      - .offset:         0
        .size:           56
        .value_kind:     by_value
    .group_segment_fixed_size: 0
    .kernarg_segment_align: 8
    .kernarg_segment_size: 56
    .language:       OpenCL C
    .language_version:
      - 2
      - 0
    .max_flat_workgroup_size: 256
    .name:           _ZN7rocprim17ROCPRIM_400000_NS6detail17trampoline_kernelINS0_14default_configENS1_29binary_search_config_selectorIibEEZNS1_14transform_implILb0ES3_S5_N6thrust23THRUST_200600_302600_NS6detail15normal_iteratorINS8_10device_ptrIiEEEENSA_INSB_IbEEEEZNS1_13binary_searchIS3_S5_SD_SD_SF_NS1_16binary_search_opENS9_16wrapped_functionINS0_4lessIvEEbEEEE10hipError_tPvRmT1_T2_T3_mmT4_T5_P12ihipStream_tbEUlRKiE_EESM_SQ_SR_mSS_SV_bEUlT_E_NS1_11comp_targetILNS1_3genE3ELNS1_11target_archE908ELNS1_3gpuE7ELNS1_3repE0EEENS1_30default_config_static_selectorELNS0_4arch9wavefront6targetE0EEEvSP_
    .private_segment_fixed_size: 0
    .sgpr_count:     0
    .sgpr_spill_count: 0
    .symbol:         _ZN7rocprim17ROCPRIM_400000_NS6detail17trampoline_kernelINS0_14default_configENS1_29binary_search_config_selectorIibEEZNS1_14transform_implILb0ES3_S5_N6thrust23THRUST_200600_302600_NS6detail15normal_iteratorINS8_10device_ptrIiEEEENSA_INSB_IbEEEEZNS1_13binary_searchIS3_S5_SD_SD_SF_NS1_16binary_search_opENS9_16wrapped_functionINS0_4lessIvEEbEEEE10hipError_tPvRmT1_T2_T3_mmT4_T5_P12ihipStream_tbEUlRKiE_EESM_SQ_SR_mSS_SV_bEUlT_E_NS1_11comp_targetILNS1_3genE3ELNS1_11target_archE908ELNS1_3gpuE7ELNS1_3repE0EEENS1_30default_config_static_selectorELNS0_4arch9wavefront6targetE0EEEvSP_.kd
    .uniform_work_group_size: 1
    .uses_dynamic_stack: false
    .vgpr_count:     0
    .vgpr_spill_count: 0
    .wavefront_size: 32
    .workgroup_processor_mode: 1
  - .args:
      - .offset:         0
        .size:           56
        .value_kind:     by_value
    .group_segment_fixed_size: 0
    .kernarg_segment_align: 8
    .kernarg_segment_size: 56
    .language:       OpenCL C
    .language_version:
      - 2
      - 0
    .max_flat_workgroup_size: 256
    .name:           _ZN7rocprim17ROCPRIM_400000_NS6detail17trampoline_kernelINS0_14default_configENS1_29binary_search_config_selectorIibEEZNS1_14transform_implILb0ES3_S5_N6thrust23THRUST_200600_302600_NS6detail15normal_iteratorINS8_10device_ptrIiEEEENSA_INSB_IbEEEEZNS1_13binary_searchIS3_S5_SD_SD_SF_NS1_16binary_search_opENS9_16wrapped_functionINS0_4lessIvEEbEEEE10hipError_tPvRmT1_T2_T3_mmT4_T5_P12ihipStream_tbEUlRKiE_EESM_SQ_SR_mSS_SV_bEUlT_E_NS1_11comp_targetILNS1_3genE2ELNS1_11target_archE906ELNS1_3gpuE6ELNS1_3repE0EEENS1_30default_config_static_selectorELNS0_4arch9wavefront6targetE0EEEvSP_
    .private_segment_fixed_size: 0
    .sgpr_count:     0
    .sgpr_spill_count: 0
    .symbol:         _ZN7rocprim17ROCPRIM_400000_NS6detail17trampoline_kernelINS0_14default_configENS1_29binary_search_config_selectorIibEEZNS1_14transform_implILb0ES3_S5_N6thrust23THRUST_200600_302600_NS6detail15normal_iteratorINS8_10device_ptrIiEEEENSA_INSB_IbEEEEZNS1_13binary_searchIS3_S5_SD_SD_SF_NS1_16binary_search_opENS9_16wrapped_functionINS0_4lessIvEEbEEEE10hipError_tPvRmT1_T2_T3_mmT4_T5_P12ihipStream_tbEUlRKiE_EESM_SQ_SR_mSS_SV_bEUlT_E_NS1_11comp_targetILNS1_3genE2ELNS1_11target_archE906ELNS1_3gpuE6ELNS1_3repE0EEENS1_30default_config_static_selectorELNS0_4arch9wavefront6targetE0EEEvSP_.kd
    .uniform_work_group_size: 1
    .uses_dynamic_stack: false
    .vgpr_count:     0
    .vgpr_spill_count: 0
    .wavefront_size: 32
    .workgroup_processor_mode: 1
  - .args:
      - .offset:         0
        .size:           56
        .value_kind:     by_value
    .group_segment_fixed_size: 0
    .kernarg_segment_align: 8
    .kernarg_segment_size: 56
    .language:       OpenCL C
    .language_version:
      - 2
      - 0
    .max_flat_workgroup_size: 128
    .name:           _ZN7rocprim17ROCPRIM_400000_NS6detail17trampoline_kernelINS0_14default_configENS1_29binary_search_config_selectorIibEEZNS1_14transform_implILb0ES3_S5_N6thrust23THRUST_200600_302600_NS6detail15normal_iteratorINS8_10device_ptrIiEEEENSA_INSB_IbEEEEZNS1_13binary_searchIS3_S5_SD_SD_SF_NS1_16binary_search_opENS9_16wrapped_functionINS0_4lessIvEEbEEEE10hipError_tPvRmT1_T2_T3_mmT4_T5_P12ihipStream_tbEUlRKiE_EESM_SQ_SR_mSS_SV_bEUlT_E_NS1_11comp_targetILNS1_3genE10ELNS1_11target_archE1201ELNS1_3gpuE5ELNS1_3repE0EEENS1_30default_config_static_selectorELNS0_4arch9wavefront6targetE0EEEvSP_
    .private_segment_fixed_size: 0
    .sgpr_count:     0
    .sgpr_spill_count: 0
    .symbol:         _ZN7rocprim17ROCPRIM_400000_NS6detail17trampoline_kernelINS0_14default_configENS1_29binary_search_config_selectorIibEEZNS1_14transform_implILb0ES3_S5_N6thrust23THRUST_200600_302600_NS6detail15normal_iteratorINS8_10device_ptrIiEEEENSA_INSB_IbEEEEZNS1_13binary_searchIS3_S5_SD_SD_SF_NS1_16binary_search_opENS9_16wrapped_functionINS0_4lessIvEEbEEEE10hipError_tPvRmT1_T2_T3_mmT4_T5_P12ihipStream_tbEUlRKiE_EESM_SQ_SR_mSS_SV_bEUlT_E_NS1_11comp_targetILNS1_3genE10ELNS1_11target_archE1201ELNS1_3gpuE5ELNS1_3repE0EEENS1_30default_config_static_selectorELNS0_4arch9wavefront6targetE0EEEvSP_.kd
    .uniform_work_group_size: 1
    .uses_dynamic_stack: false
    .vgpr_count:     0
    .vgpr_spill_count: 0
    .wavefront_size: 32
    .workgroup_processor_mode: 1
  - .args:
      - .offset:         0
        .size:           56
        .value_kind:     by_value
    .group_segment_fixed_size: 0
    .kernarg_segment_align: 8
    .kernarg_segment_size: 56
    .language:       OpenCL C
    .language_version:
      - 2
      - 0
    .max_flat_workgroup_size: 128
    .name:           _ZN7rocprim17ROCPRIM_400000_NS6detail17trampoline_kernelINS0_14default_configENS1_29binary_search_config_selectorIibEEZNS1_14transform_implILb0ES3_S5_N6thrust23THRUST_200600_302600_NS6detail15normal_iteratorINS8_10device_ptrIiEEEENSA_INSB_IbEEEEZNS1_13binary_searchIS3_S5_SD_SD_SF_NS1_16binary_search_opENS9_16wrapped_functionINS0_4lessIvEEbEEEE10hipError_tPvRmT1_T2_T3_mmT4_T5_P12ihipStream_tbEUlRKiE_EESM_SQ_SR_mSS_SV_bEUlT_E_NS1_11comp_targetILNS1_3genE10ELNS1_11target_archE1200ELNS1_3gpuE4ELNS1_3repE0EEENS1_30default_config_static_selectorELNS0_4arch9wavefront6targetE0EEEvSP_
    .private_segment_fixed_size: 0
    .sgpr_count:     0
    .sgpr_spill_count: 0
    .symbol:         _ZN7rocprim17ROCPRIM_400000_NS6detail17trampoline_kernelINS0_14default_configENS1_29binary_search_config_selectorIibEEZNS1_14transform_implILb0ES3_S5_N6thrust23THRUST_200600_302600_NS6detail15normal_iteratorINS8_10device_ptrIiEEEENSA_INSB_IbEEEEZNS1_13binary_searchIS3_S5_SD_SD_SF_NS1_16binary_search_opENS9_16wrapped_functionINS0_4lessIvEEbEEEE10hipError_tPvRmT1_T2_T3_mmT4_T5_P12ihipStream_tbEUlRKiE_EESM_SQ_SR_mSS_SV_bEUlT_E_NS1_11comp_targetILNS1_3genE10ELNS1_11target_archE1200ELNS1_3gpuE4ELNS1_3repE0EEENS1_30default_config_static_selectorELNS0_4arch9wavefront6targetE0EEEvSP_.kd
    .uniform_work_group_size: 1
    .uses_dynamic_stack: false
    .vgpr_count:     0
    .vgpr_spill_count: 0
    .wavefront_size: 32
    .workgroup_processor_mode: 1
  - .args:
      - .offset:         0
        .size:           56
        .value_kind:     by_value
      - .offset:         56
        .size:           4
        .value_kind:     hidden_block_count_x
      - .offset:         60
        .size:           4
        .value_kind:     hidden_block_count_y
      - .offset:         64
        .size:           4
        .value_kind:     hidden_block_count_z
      - .offset:         68
        .size:           2
        .value_kind:     hidden_group_size_x
      - .offset:         70
        .size:           2
        .value_kind:     hidden_group_size_y
      - .offset:         72
        .size:           2
        .value_kind:     hidden_group_size_z
      - .offset:         74
        .size:           2
        .value_kind:     hidden_remainder_x
      - .offset:         76
        .size:           2
        .value_kind:     hidden_remainder_y
      - .offset:         78
        .size:           2
        .value_kind:     hidden_remainder_z
      - .offset:         96
        .size:           8
        .value_kind:     hidden_global_offset_x
      - .offset:         104
        .size:           8
        .value_kind:     hidden_global_offset_y
      - .offset:         112
        .size:           8
        .value_kind:     hidden_global_offset_z
      - .offset:         120
        .size:           2
        .value_kind:     hidden_grid_dims
    .group_segment_fixed_size: 0
    .kernarg_segment_align: 8
    .kernarg_segment_size: 312
    .language:       OpenCL C
    .language_version:
      - 2
      - 0
    .max_flat_workgroup_size: 256
    .name:           _ZN7rocprim17ROCPRIM_400000_NS6detail17trampoline_kernelINS0_14default_configENS1_29binary_search_config_selectorIibEEZNS1_14transform_implILb0ES3_S5_N6thrust23THRUST_200600_302600_NS6detail15normal_iteratorINS8_10device_ptrIiEEEENSA_INSB_IbEEEEZNS1_13binary_searchIS3_S5_SD_SD_SF_NS1_16binary_search_opENS9_16wrapped_functionINS0_4lessIvEEbEEEE10hipError_tPvRmT1_T2_T3_mmT4_T5_P12ihipStream_tbEUlRKiE_EESM_SQ_SR_mSS_SV_bEUlT_E_NS1_11comp_targetILNS1_3genE9ELNS1_11target_archE1100ELNS1_3gpuE3ELNS1_3repE0EEENS1_30default_config_static_selectorELNS0_4arch9wavefront6targetE0EEEvSP_
    .private_segment_fixed_size: 0
    .sgpr_count:     22
    .sgpr_spill_count: 0
    .symbol:         _ZN7rocprim17ROCPRIM_400000_NS6detail17trampoline_kernelINS0_14default_configENS1_29binary_search_config_selectorIibEEZNS1_14transform_implILb0ES3_S5_N6thrust23THRUST_200600_302600_NS6detail15normal_iteratorINS8_10device_ptrIiEEEENSA_INSB_IbEEEEZNS1_13binary_searchIS3_S5_SD_SD_SF_NS1_16binary_search_opENS9_16wrapped_functionINS0_4lessIvEEbEEEE10hipError_tPvRmT1_T2_T3_mmT4_T5_P12ihipStream_tbEUlRKiE_EESM_SQ_SR_mSS_SV_bEUlT_E_NS1_11comp_targetILNS1_3genE9ELNS1_11target_archE1100ELNS1_3gpuE3ELNS1_3repE0EEENS1_30default_config_static_selectorELNS0_4arch9wavefront6targetE0EEEvSP_.kd
    .uniform_work_group_size: 1
    .uses_dynamic_stack: false
    .vgpr_count:     11
    .vgpr_spill_count: 0
    .wavefront_size: 32
    .workgroup_processor_mode: 1
  - .args:
      - .offset:         0
        .size:           56
        .value_kind:     by_value
    .group_segment_fixed_size: 0
    .kernarg_segment_align: 8
    .kernarg_segment_size: 56
    .language:       OpenCL C
    .language_version:
      - 2
      - 0
    .max_flat_workgroup_size: 256
    .name:           _ZN7rocprim17ROCPRIM_400000_NS6detail17trampoline_kernelINS0_14default_configENS1_29binary_search_config_selectorIibEEZNS1_14transform_implILb0ES3_S5_N6thrust23THRUST_200600_302600_NS6detail15normal_iteratorINS8_10device_ptrIiEEEENSA_INSB_IbEEEEZNS1_13binary_searchIS3_S5_SD_SD_SF_NS1_16binary_search_opENS9_16wrapped_functionINS0_4lessIvEEbEEEE10hipError_tPvRmT1_T2_T3_mmT4_T5_P12ihipStream_tbEUlRKiE_EESM_SQ_SR_mSS_SV_bEUlT_E_NS1_11comp_targetILNS1_3genE8ELNS1_11target_archE1030ELNS1_3gpuE2ELNS1_3repE0EEENS1_30default_config_static_selectorELNS0_4arch9wavefront6targetE0EEEvSP_
    .private_segment_fixed_size: 0
    .sgpr_count:     0
    .sgpr_spill_count: 0
    .symbol:         _ZN7rocprim17ROCPRIM_400000_NS6detail17trampoline_kernelINS0_14default_configENS1_29binary_search_config_selectorIibEEZNS1_14transform_implILb0ES3_S5_N6thrust23THRUST_200600_302600_NS6detail15normal_iteratorINS8_10device_ptrIiEEEENSA_INSB_IbEEEEZNS1_13binary_searchIS3_S5_SD_SD_SF_NS1_16binary_search_opENS9_16wrapped_functionINS0_4lessIvEEbEEEE10hipError_tPvRmT1_T2_T3_mmT4_T5_P12ihipStream_tbEUlRKiE_EESM_SQ_SR_mSS_SV_bEUlT_E_NS1_11comp_targetILNS1_3genE8ELNS1_11target_archE1030ELNS1_3gpuE2ELNS1_3repE0EEENS1_30default_config_static_selectorELNS0_4arch9wavefront6targetE0EEEvSP_.kd
    .uniform_work_group_size: 1
    .uses_dynamic_stack: false
    .vgpr_count:     0
    .vgpr_spill_count: 0
    .wavefront_size: 32
    .workgroup_processor_mode: 1
  - .args:
      - .offset:         0
        .size:           56
        .value_kind:     by_value
    .group_segment_fixed_size: 0
    .kernarg_segment_align: 8
    .kernarg_segment_size: 56
    .language:       OpenCL C
    .language_version:
      - 2
      - 0
    .max_flat_workgroup_size: 256
    .name:           _ZN7rocprim17ROCPRIM_400000_NS6detail17trampoline_kernelINS0_14default_configENS1_29binary_search_config_selectorIiiEEZNS1_14transform_implILb0ES3_S5_N6thrust23THRUST_200600_302600_NS6detail15normal_iteratorINS8_10device_ptrIiEEEESD_ZNS1_13binary_searchIS3_S5_SD_SD_SD_NS1_16binary_search_opENS9_16wrapped_functionINS0_4lessIvEEbEEEE10hipError_tPvRmT1_T2_T3_mmT4_T5_P12ihipStream_tbEUlRKiE_EESK_SO_SP_mSQ_ST_bEUlT_E_NS1_11comp_targetILNS1_3genE0ELNS1_11target_archE4294967295ELNS1_3gpuE0ELNS1_3repE0EEENS1_30default_config_static_selectorELNS0_4arch9wavefront6targetE0EEEvSN_
    .private_segment_fixed_size: 0
    .sgpr_count:     0
    .sgpr_spill_count: 0
    .symbol:         _ZN7rocprim17ROCPRIM_400000_NS6detail17trampoline_kernelINS0_14default_configENS1_29binary_search_config_selectorIiiEEZNS1_14transform_implILb0ES3_S5_N6thrust23THRUST_200600_302600_NS6detail15normal_iteratorINS8_10device_ptrIiEEEESD_ZNS1_13binary_searchIS3_S5_SD_SD_SD_NS1_16binary_search_opENS9_16wrapped_functionINS0_4lessIvEEbEEEE10hipError_tPvRmT1_T2_T3_mmT4_T5_P12ihipStream_tbEUlRKiE_EESK_SO_SP_mSQ_ST_bEUlT_E_NS1_11comp_targetILNS1_3genE0ELNS1_11target_archE4294967295ELNS1_3gpuE0ELNS1_3repE0EEENS1_30default_config_static_selectorELNS0_4arch9wavefront6targetE0EEEvSN_.kd
    .uniform_work_group_size: 1
    .uses_dynamic_stack: false
    .vgpr_count:     0
    .vgpr_spill_count: 0
    .wavefront_size: 32
    .workgroup_processor_mode: 1
  - .args:
      - .offset:         0
        .size:           56
        .value_kind:     by_value
    .group_segment_fixed_size: 0
    .kernarg_segment_align: 8
    .kernarg_segment_size: 56
    .language:       OpenCL C
    .language_version:
      - 2
      - 0
    .max_flat_workgroup_size: 256
    .name:           _ZN7rocprim17ROCPRIM_400000_NS6detail17trampoline_kernelINS0_14default_configENS1_29binary_search_config_selectorIiiEEZNS1_14transform_implILb0ES3_S5_N6thrust23THRUST_200600_302600_NS6detail15normal_iteratorINS8_10device_ptrIiEEEESD_ZNS1_13binary_searchIS3_S5_SD_SD_SD_NS1_16binary_search_opENS9_16wrapped_functionINS0_4lessIvEEbEEEE10hipError_tPvRmT1_T2_T3_mmT4_T5_P12ihipStream_tbEUlRKiE_EESK_SO_SP_mSQ_ST_bEUlT_E_NS1_11comp_targetILNS1_3genE5ELNS1_11target_archE942ELNS1_3gpuE9ELNS1_3repE0EEENS1_30default_config_static_selectorELNS0_4arch9wavefront6targetE0EEEvSN_
    .private_segment_fixed_size: 0
    .sgpr_count:     0
    .sgpr_spill_count: 0
    .symbol:         _ZN7rocprim17ROCPRIM_400000_NS6detail17trampoline_kernelINS0_14default_configENS1_29binary_search_config_selectorIiiEEZNS1_14transform_implILb0ES3_S5_N6thrust23THRUST_200600_302600_NS6detail15normal_iteratorINS8_10device_ptrIiEEEESD_ZNS1_13binary_searchIS3_S5_SD_SD_SD_NS1_16binary_search_opENS9_16wrapped_functionINS0_4lessIvEEbEEEE10hipError_tPvRmT1_T2_T3_mmT4_T5_P12ihipStream_tbEUlRKiE_EESK_SO_SP_mSQ_ST_bEUlT_E_NS1_11comp_targetILNS1_3genE5ELNS1_11target_archE942ELNS1_3gpuE9ELNS1_3repE0EEENS1_30default_config_static_selectorELNS0_4arch9wavefront6targetE0EEEvSN_.kd
    .uniform_work_group_size: 1
    .uses_dynamic_stack: false
    .vgpr_count:     0
    .vgpr_spill_count: 0
    .wavefront_size: 32
    .workgroup_processor_mode: 1
  - .args:
      - .offset:         0
        .size:           56
        .value_kind:     by_value
    .group_segment_fixed_size: 0
    .kernarg_segment_align: 8
    .kernarg_segment_size: 56
    .language:       OpenCL C
    .language_version:
      - 2
      - 0
    .max_flat_workgroup_size: 256
    .name:           _ZN7rocprim17ROCPRIM_400000_NS6detail17trampoline_kernelINS0_14default_configENS1_29binary_search_config_selectorIiiEEZNS1_14transform_implILb0ES3_S5_N6thrust23THRUST_200600_302600_NS6detail15normal_iteratorINS8_10device_ptrIiEEEESD_ZNS1_13binary_searchIS3_S5_SD_SD_SD_NS1_16binary_search_opENS9_16wrapped_functionINS0_4lessIvEEbEEEE10hipError_tPvRmT1_T2_T3_mmT4_T5_P12ihipStream_tbEUlRKiE_EESK_SO_SP_mSQ_ST_bEUlT_E_NS1_11comp_targetILNS1_3genE4ELNS1_11target_archE910ELNS1_3gpuE8ELNS1_3repE0EEENS1_30default_config_static_selectorELNS0_4arch9wavefront6targetE0EEEvSN_
    .private_segment_fixed_size: 0
    .sgpr_count:     0
    .sgpr_spill_count: 0
    .symbol:         _ZN7rocprim17ROCPRIM_400000_NS6detail17trampoline_kernelINS0_14default_configENS1_29binary_search_config_selectorIiiEEZNS1_14transform_implILb0ES3_S5_N6thrust23THRUST_200600_302600_NS6detail15normal_iteratorINS8_10device_ptrIiEEEESD_ZNS1_13binary_searchIS3_S5_SD_SD_SD_NS1_16binary_search_opENS9_16wrapped_functionINS0_4lessIvEEbEEEE10hipError_tPvRmT1_T2_T3_mmT4_T5_P12ihipStream_tbEUlRKiE_EESK_SO_SP_mSQ_ST_bEUlT_E_NS1_11comp_targetILNS1_3genE4ELNS1_11target_archE910ELNS1_3gpuE8ELNS1_3repE0EEENS1_30default_config_static_selectorELNS0_4arch9wavefront6targetE0EEEvSN_.kd
    .uniform_work_group_size: 1
    .uses_dynamic_stack: false
    .vgpr_count:     0
    .vgpr_spill_count: 0
    .wavefront_size: 32
    .workgroup_processor_mode: 1
  - .args:
      - .offset:         0
        .size:           56
        .value_kind:     by_value
    .group_segment_fixed_size: 0
    .kernarg_segment_align: 8
    .kernarg_segment_size: 56
    .language:       OpenCL C
    .language_version:
      - 2
      - 0
    .max_flat_workgroup_size: 256
    .name:           _ZN7rocprim17ROCPRIM_400000_NS6detail17trampoline_kernelINS0_14default_configENS1_29binary_search_config_selectorIiiEEZNS1_14transform_implILb0ES3_S5_N6thrust23THRUST_200600_302600_NS6detail15normal_iteratorINS8_10device_ptrIiEEEESD_ZNS1_13binary_searchIS3_S5_SD_SD_SD_NS1_16binary_search_opENS9_16wrapped_functionINS0_4lessIvEEbEEEE10hipError_tPvRmT1_T2_T3_mmT4_T5_P12ihipStream_tbEUlRKiE_EESK_SO_SP_mSQ_ST_bEUlT_E_NS1_11comp_targetILNS1_3genE3ELNS1_11target_archE908ELNS1_3gpuE7ELNS1_3repE0EEENS1_30default_config_static_selectorELNS0_4arch9wavefront6targetE0EEEvSN_
    .private_segment_fixed_size: 0
    .sgpr_count:     0
    .sgpr_spill_count: 0
    .symbol:         _ZN7rocprim17ROCPRIM_400000_NS6detail17trampoline_kernelINS0_14default_configENS1_29binary_search_config_selectorIiiEEZNS1_14transform_implILb0ES3_S5_N6thrust23THRUST_200600_302600_NS6detail15normal_iteratorINS8_10device_ptrIiEEEESD_ZNS1_13binary_searchIS3_S5_SD_SD_SD_NS1_16binary_search_opENS9_16wrapped_functionINS0_4lessIvEEbEEEE10hipError_tPvRmT1_T2_T3_mmT4_T5_P12ihipStream_tbEUlRKiE_EESK_SO_SP_mSQ_ST_bEUlT_E_NS1_11comp_targetILNS1_3genE3ELNS1_11target_archE908ELNS1_3gpuE7ELNS1_3repE0EEENS1_30default_config_static_selectorELNS0_4arch9wavefront6targetE0EEEvSN_.kd
    .uniform_work_group_size: 1
    .uses_dynamic_stack: false
    .vgpr_count:     0
    .vgpr_spill_count: 0
    .wavefront_size: 32
    .workgroup_processor_mode: 1
  - .args:
      - .offset:         0
        .size:           56
        .value_kind:     by_value
    .group_segment_fixed_size: 0
    .kernarg_segment_align: 8
    .kernarg_segment_size: 56
    .language:       OpenCL C
    .language_version:
      - 2
      - 0
    .max_flat_workgroup_size: 256
    .name:           _ZN7rocprim17ROCPRIM_400000_NS6detail17trampoline_kernelINS0_14default_configENS1_29binary_search_config_selectorIiiEEZNS1_14transform_implILb0ES3_S5_N6thrust23THRUST_200600_302600_NS6detail15normal_iteratorINS8_10device_ptrIiEEEESD_ZNS1_13binary_searchIS3_S5_SD_SD_SD_NS1_16binary_search_opENS9_16wrapped_functionINS0_4lessIvEEbEEEE10hipError_tPvRmT1_T2_T3_mmT4_T5_P12ihipStream_tbEUlRKiE_EESK_SO_SP_mSQ_ST_bEUlT_E_NS1_11comp_targetILNS1_3genE2ELNS1_11target_archE906ELNS1_3gpuE6ELNS1_3repE0EEENS1_30default_config_static_selectorELNS0_4arch9wavefront6targetE0EEEvSN_
    .private_segment_fixed_size: 0
    .sgpr_count:     0
    .sgpr_spill_count: 0
    .symbol:         _ZN7rocprim17ROCPRIM_400000_NS6detail17trampoline_kernelINS0_14default_configENS1_29binary_search_config_selectorIiiEEZNS1_14transform_implILb0ES3_S5_N6thrust23THRUST_200600_302600_NS6detail15normal_iteratorINS8_10device_ptrIiEEEESD_ZNS1_13binary_searchIS3_S5_SD_SD_SD_NS1_16binary_search_opENS9_16wrapped_functionINS0_4lessIvEEbEEEE10hipError_tPvRmT1_T2_T3_mmT4_T5_P12ihipStream_tbEUlRKiE_EESK_SO_SP_mSQ_ST_bEUlT_E_NS1_11comp_targetILNS1_3genE2ELNS1_11target_archE906ELNS1_3gpuE6ELNS1_3repE0EEENS1_30default_config_static_selectorELNS0_4arch9wavefront6targetE0EEEvSN_.kd
    .uniform_work_group_size: 1
    .uses_dynamic_stack: false
    .vgpr_count:     0
    .vgpr_spill_count: 0
    .wavefront_size: 32
    .workgroup_processor_mode: 1
  - .args:
      - .offset:         0
        .size:           56
        .value_kind:     by_value
    .group_segment_fixed_size: 0
    .kernarg_segment_align: 8
    .kernarg_segment_size: 56
    .language:       OpenCL C
    .language_version:
      - 2
      - 0
    .max_flat_workgroup_size: 128
    .name:           _ZN7rocprim17ROCPRIM_400000_NS6detail17trampoline_kernelINS0_14default_configENS1_29binary_search_config_selectorIiiEEZNS1_14transform_implILb0ES3_S5_N6thrust23THRUST_200600_302600_NS6detail15normal_iteratorINS8_10device_ptrIiEEEESD_ZNS1_13binary_searchIS3_S5_SD_SD_SD_NS1_16binary_search_opENS9_16wrapped_functionINS0_4lessIvEEbEEEE10hipError_tPvRmT1_T2_T3_mmT4_T5_P12ihipStream_tbEUlRKiE_EESK_SO_SP_mSQ_ST_bEUlT_E_NS1_11comp_targetILNS1_3genE10ELNS1_11target_archE1201ELNS1_3gpuE5ELNS1_3repE0EEENS1_30default_config_static_selectorELNS0_4arch9wavefront6targetE0EEEvSN_
    .private_segment_fixed_size: 0
    .sgpr_count:     0
    .sgpr_spill_count: 0
    .symbol:         _ZN7rocprim17ROCPRIM_400000_NS6detail17trampoline_kernelINS0_14default_configENS1_29binary_search_config_selectorIiiEEZNS1_14transform_implILb0ES3_S5_N6thrust23THRUST_200600_302600_NS6detail15normal_iteratorINS8_10device_ptrIiEEEESD_ZNS1_13binary_searchIS3_S5_SD_SD_SD_NS1_16binary_search_opENS9_16wrapped_functionINS0_4lessIvEEbEEEE10hipError_tPvRmT1_T2_T3_mmT4_T5_P12ihipStream_tbEUlRKiE_EESK_SO_SP_mSQ_ST_bEUlT_E_NS1_11comp_targetILNS1_3genE10ELNS1_11target_archE1201ELNS1_3gpuE5ELNS1_3repE0EEENS1_30default_config_static_selectorELNS0_4arch9wavefront6targetE0EEEvSN_.kd
    .uniform_work_group_size: 1
    .uses_dynamic_stack: false
    .vgpr_count:     0
    .vgpr_spill_count: 0
    .wavefront_size: 32
    .workgroup_processor_mode: 1
  - .args:
      - .offset:         0
        .size:           56
        .value_kind:     by_value
    .group_segment_fixed_size: 0
    .kernarg_segment_align: 8
    .kernarg_segment_size: 56
    .language:       OpenCL C
    .language_version:
      - 2
      - 0
    .max_flat_workgroup_size: 128
    .name:           _ZN7rocprim17ROCPRIM_400000_NS6detail17trampoline_kernelINS0_14default_configENS1_29binary_search_config_selectorIiiEEZNS1_14transform_implILb0ES3_S5_N6thrust23THRUST_200600_302600_NS6detail15normal_iteratorINS8_10device_ptrIiEEEESD_ZNS1_13binary_searchIS3_S5_SD_SD_SD_NS1_16binary_search_opENS9_16wrapped_functionINS0_4lessIvEEbEEEE10hipError_tPvRmT1_T2_T3_mmT4_T5_P12ihipStream_tbEUlRKiE_EESK_SO_SP_mSQ_ST_bEUlT_E_NS1_11comp_targetILNS1_3genE10ELNS1_11target_archE1200ELNS1_3gpuE4ELNS1_3repE0EEENS1_30default_config_static_selectorELNS0_4arch9wavefront6targetE0EEEvSN_
    .private_segment_fixed_size: 0
    .sgpr_count:     0
    .sgpr_spill_count: 0
    .symbol:         _ZN7rocprim17ROCPRIM_400000_NS6detail17trampoline_kernelINS0_14default_configENS1_29binary_search_config_selectorIiiEEZNS1_14transform_implILb0ES3_S5_N6thrust23THRUST_200600_302600_NS6detail15normal_iteratorINS8_10device_ptrIiEEEESD_ZNS1_13binary_searchIS3_S5_SD_SD_SD_NS1_16binary_search_opENS9_16wrapped_functionINS0_4lessIvEEbEEEE10hipError_tPvRmT1_T2_T3_mmT4_T5_P12ihipStream_tbEUlRKiE_EESK_SO_SP_mSQ_ST_bEUlT_E_NS1_11comp_targetILNS1_3genE10ELNS1_11target_archE1200ELNS1_3gpuE4ELNS1_3repE0EEENS1_30default_config_static_selectorELNS0_4arch9wavefront6targetE0EEEvSN_.kd
    .uniform_work_group_size: 1
    .uses_dynamic_stack: false
    .vgpr_count:     0
    .vgpr_spill_count: 0
    .wavefront_size: 32
    .workgroup_processor_mode: 1
  - .args:
      - .offset:         0
        .size:           56
        .value_kind:     by_value
      - .offset:         56
        .size:           4
        .value_kind:     hidden_block_count_x
      - .offset:         60
        .size:           4
        .value_kind:     hidden_block_count_y
      - .offset:         64
        .size:           4
        .value_kind:     hidden_block_count_z
      - .offset:         68
        .size:           2
        .value_kind:     hidden_group_size_x
      - .offset:         70
        .size:           2
        .value_kind:     hidden_group_size_y
      - .offset:         72
        .size:           2
        .value_kind:     hidden_group_size_z
      - .offset:         74
        .size:           2
        .value_kind:     hidden_remainder_x
      - .offset:         76
        .size:           2
        .value_kind:     hidden_remainder_y
      - .offset:         78
        .size:           2
        .value_kind:     hidden_remainder_z
      - .offset:         96
        .size:           8
        .value_kind:     hidden_global_offset_x
      - .offset:         104
        .size:           8
        .value_kind:     hidden_global_offset_y
      - .offset:         112
        .size:           8
        .value_kind:     hidden_global_offset_z
      - .offset:         120
        .size:           2
        .value_kind:     hidden_grid_dims
    .group_segment_fixed_size: 0
    .kernarg_segment_align: 8
    .kernarg_segment_size: 312
    .language:       OpenCL C
    .language_version:
      - 2
      - 0
    .max_flat_workgroup_size: 256
    .name:           _ZN7rocprim17ROCPRIM_400000_NS6detail17trampoline_kernelINS0_14default_configENS1_29binary_search_config_selectorIiiEEZNS1_14transform_implILb0ES3_S5_N6thrust23THRUST_200600_302600_NS6detail15normal_iteratorINS8_10device_ptrIiEEEESD_ZNS1_13binary_searchIS3_S5_SD_SD_SD_NS1_16binary_search_opENS9_16wrapped_functionINS0_4lessIvEEbEEEE10hipError_tPvRmT1_T2_T3_mmT4_T5_P12ihipStream_tbEUlRKiE_EESK_SO_SP_mSQ_ST_bEUlT_E_NS1_11comp_targetILNS1_3genE9ELNS1_11target_archE1100ELNS1_3gpuE3ELNS1_3repE0EEENS1_30default_config_static_selectorELNS0_4arch9wavefront6targetE0EEEvSN_
    .private_segment_fixed_size: 0
    .sgpr_count:     22
    .sgpr_spill_count: 0
    .symbol:         _ZN7rocprim17ROCPRIM_400000_NS6detail17trampoline_kernelINS0_14default_configENS1_29binary_search_config_selectorIiiEEZNS1_14transform_implILb0ES3_S5_N6thrust23THRUST_200600_302600_NS6detail15normal_iteratorINS8_10device_ptrIiEEEESD_ZNS1_13binary_searchIS3_S5_SD_SD_SD_NS1_16binary_search_opENS9_16wrapped_functionINS0_4lessIvEEbEEEE10hipError_tPvRmT1_T2_T3_mmT4_T5_P12ihipStream_tbEUlRKiE_EESK_SO_SP_mSQ_ST_bEUlT_E_NS1_11comp_targetILNS1_3genE9ELNS1_11target_archE1100ELNS1_3gpuE3ELNS1_3repE0EEENS1_30default_config_static_selectorELNS0_4arch9wavefront6targetE0EEEvSN_.kd
    .uniform_work_group_size: 1
    .uses_dynamic_stack: false
    .vgpr_count:     12
    .vgpr_spill_count: 0
    .wavefront_size: 32
    .workgroup_processor_mode: 1
  - .args:
      - .offset:         0
        .size:           56
        .value_kind:     by_value
    .group_segment_fixed_size: 0
    .kernarg_segment_align: 8
    .kernarg_segment_size: 56
    .language:       OpenCL C
    .language_version:
      - 2
      - 0
    .max_flat_workgroup_size: 256
    .name:           _ZN7rocprim17ROCPRIM_400000_NS6detail17trampoline_kernelINS0_14default_configENS1_29binary_search_config_selectorIiiEEZNS1_14transform_implILb0ES3_S5_N6thrust23THRUST_200600_302600_NS6detail15normal_iteratorINS8_10device_ptrIiEEEESD_ZNS1_13binary_searchIS3_S5_SD_SD_SD_NS1_16binary_search_opENS9_16wrapped_functionINS0_4lessIvEEbEEEE10hipError_tPvRmT1_T2_T3_mmT4_T5_P12ihipStream_tbEUlRKiE_EESK_SO_SP_mSQ_ST_bEUlT_E_NS1_11comp_targetILNS1_3genE8ELNS1_11target_archE1030ELNS1_3gpuE2ELNS1_3repE0EEENS1_30default_config_static_selectorELNS0_4arch9wavefront6targetE0EEEvSN_
    .private_segment_fixed_size: 0
    .sgpr_count:     0
    .sgpr_spill_count: 0
    .symbol:         _ZN7rocprim17ROCPRIM_400000_NS6detail17trampoline_kernelINS0_14default_configENS1_29binary_search_config_selectorIiiEEZNS1_14transform_implILb0ES3_S5_N6thrust23THRUST_200600_302600_NS6detail15normal_iteratorINS8_10device_ptrIiEEEESD_ZNS1_13binary_searchIS3_S5_SD_SD_SD_NS1_16binary_search_opENS9_16wrapped_functionINS0_4lessIvEEbEEEE10hipError_tPvRmT1_T2_T3_mmT4_T5_P12ihipStream_tbEUlRKiE_EESK_SO_SP_mSQ_ST_bEUlT_E_NS1_11comp_targetILNS1_3genE8ELNS1_11target_archE1030ELNS1_3gpuE2ELNS1_3repE0EEENS1_30default_config_static_selectorELNS0_4arch9wavefront6targetE0EEEvSN_.kd
    .uniform_work_group_size: 1
    .uses_dynamic_stack: false
    .vgpr_count:     0
    .vgpr_spill_count: 0
    .wavefront_size: 32
    .workgroup_processor_mode: 1
  - .args:
      - .offset:         0
        .size:           56
        .value_kind:     by_value
    .group_segment_fixed_size: 0
    .kernarg_segment_align: 8
    .kernarg_segment_size: 56
    .language:       OpenCL C
    .language_version:
      - 2
      - 0
    .max_flat_workgroup_size: 128
    .name:           _ZN7rocprim17ROCPRIM_400000_NS6detail17trampoline_kernelINS0_14default_configENS1_29binary_search_config_selectorIsbEEZNS1_14transform_implILb0ES3_S5_N6thrust23THRUST_200600_302600_NS6detail15normal_iteratorINS8_10device_ptrIsEEEENSA_INSB_IbEEEEZNS1_13binary_searchIS3_S5_SD_SD_SF_NS1_16binary_search_opENS9_16wrapped_functionINS0_4lessIvEEbEEEE10hipError_tPvRmT1_T2_T3_mmT4_T5_P12ihipStream_tbEUlRKsE_EESM_SQ_SR_mSS_SV_bEUlT_E_NS1_11comp_targetILNS1_3genE0ELNS1_11target_archE4294967295ELNS1_3gpuE0ELNS1_3repE0EEENS1_30default_config_static_selectorELNS0_4arch9wavefront6targetE0EEEvSP_
    .private_segment_fixed_size: 0
    .sgpr_count:     0
    .sgpr_spill_count: 0
    .symbol:         _ZN7rocprim17ROCPRIM_400000_NS6detail17trampoline_kernelINS0_14default_configENS1_29binary_search_config_selectorIsbEEZNS1_14transform_implILb0ES3_S5_N6thrust23THRUST_200600_302600_NS6detail15normal_iteratorINS8_10device_ptrIsEEEENSA_INSB_IbEEEEZNS1_13binary_searchIS3_S5_SD_SD_SF_NS1_16binary_search_opENS9_16wrapped_functionINS0_4lessIvEEbEEEE10hipError_tPvRmT1_T2_T3_mmT4_T5_P12ihipStream_tbEUlRKsE_EESM_SQ_SR_mSS_SV_bEUlT_E_NS1_11comp_targetILNS1_3genE0ELNS1_11target_archE4294967295ELNS1_3gpuE0ELNS1_3repE0EEENS1_30default_config_static_selectorELNS0_4arch9wavefront6targetE0EEEvSP_.kd
    .uniform_work_group_size: 1
    .uses_dynamic_stack: false
    .vgpr_count:     0
    .vgpr_spill_count: 0
    .wavefront_size: 32
    .workgroup_processor_mode: 1
  - .args:
      - .offset:         0
        .size:           56
        .value_kind:     by_value
    .group_segment_fixed_size: 0
    .kernarg_segment_align: 8
    .kernarg_segment_size: 56
    .language:       OpenCL C
    .language_version:
      - 2
      - 0
    .max_flat_workgroup_size: 256
    .name:           _ZN7rocprim17ROCPRIM_400000_NS6detail17trampoline_kernelINS0_14default_configENS1_29binary_search_config_selectorIsbEEZNS1_14transform_implILb0ES3_S5_N6thrust23THRUST_200600_302600_NS6detail15normal_iteratorINS8_10device_ptrIsEEEENSA_INSB_IbEEEEZNS1_13binary_searchIS3_S5_SD_SD_SF_NS1_16binary_search_opENS9_16wrapped_functionINS0_4lessIvEEbEEEE10hipError_tPvRmT1_T2_T3_mmT4_T5_P12ihipStream_tbEUlRKsE_EESM_SQ_SR_mSS_SV_bEUlT_E_NS1_11comp_targetILNS1_3genE5ELNS1_11target_archE942ELNS1_3gpuE9ELNS1_3repE0EEENS1_30default_config_static_selectorELNS0_4arch9wavefront6targetE0EEEvSP_
    .private_segment_fixed_size: 0
    .sgpr_count:     0
    .sgpr_spill_count: 0
    .symbol:         _ZN7rocprim17ROCPRIM_400000_NS6detail17trampoline_kernelINS0_14default_configENS1_29binary_search_config_selectorIsbEEZNS1_14transform_implILb0ES3_S5_N6thrust23THRUST_200600_302600_NS6detail15normal_iteratorINS8_10device_ptrIsEEEENSA_INSB_IbEEEEZNS1_13binary_searchIS3_S5_SD_SD_SF_NS1_16binary_search_opENS9_16wrapped_functionINS0_4lessIvEEbEEEE10hipError_tPvRmT1_T2_T3_mmT4_T5_P12ihipStream_tbEUlRKsE_EESM_SQ_SR_mSS_SV_bEUlT_E_NS1_11comp_targetILNS1_3genE5ELNS1_11target_archE942ELNS1_3gpuE9ELNS1_3repE0EEENS1_30default_config_static_selectorELNS0_4arch9wavefront6targetE0EEEvSP_.kd
    .uniform_work_group_size: 1
    .uses_dynamic_stack: false
    .vgpr_count:     0
    .vgpr_spill_count: 0
    .wavefront_size: 32
    .workgroup_processor_mode: 1
  - .args:
      - .offset:         0
        .size:           56
        .value_kind:     by_value
    .group_segment_fixed_size: 0
    .kernarg_segment_align: 8
    .kernarg_segment_size: 56
    .language:       OpenCL C
    .language_version:
      - 2
      - 0
    .max_flat_workgroup_size: 256
    .name:           _ZN7rocprim17ROCPRIM_400000_NS6detail17trampoline_kernelINS0_14default_configENS1_29binary_search_config_selectorIsbEEZNS1_14transform_implILb0ES3_S5_N6thrust23THRUST_200600_302600_NS6detail15normal_iteratorINS8_10device_ptrIsEEEENSA_INSB_IbEEEEZNS1_13binary_searchIS3_S5_SD_SD_SF_NS1_16binary_search_opENS9_16wrapped_functionINS0_4lessIvEEbEEEE10hipError_tPvRmT1_T2_T3_mmT4_T5_P12ihipStream_tbEUlRKsE_EESM_SQ_SR_mSS_SV_bEUlT_E_NS1_11comp_targetILNS1_3genE4ELNS1_11target_archE910ELNS1_3gpuE8ELNS1_3repE0EEENS1_30default_config_static_selectorELNS0_4arch9wavefront6targetE0EEEvSP_
    .private_segment_fixed_size: 0
    .sgpr_count:     0
    .sgpr_spill_count: 0
    .symbol:         _ZN7rocprim17ROCPRIM_400000_NS6detail17trampoline_kernelINS0_14default_configENS1_29binary_search_config_selectorIsbEEZNS1_14transform_implILb0ES3_S5_N6thrust23THRUST_200600_302600_NS6detail15normal_iteratorINS8_10device_ptrIsEEEENSA_INSB_IbEEEEZNS1_13binary_searchIS3_S5_SD_SD_SF_NS1_16binary_search_opENS9_16wrapped_functionINS0_4lessIvEEbEEEE10hipError_tPvRmT1_T2_T3_mmT4_T5_P12ihipStream_tbEUlRKsE_EESM_SQ_SR_mSS_SV_bEUlT_E_NS1_11comp_targetILNS1_3genE4ELNS1_11target_archE910ELNS1_3gpuE8ELNS1_3repE0EEENS1_30default_config_static_selectorELNS0_4arch9wavefront6targetE0EEEvSP_.kd
    .uniform_work_group_size: 1
    .uses_dynamic_stack: false
    .vgpr_count:     0
    .vgpr_spill_count: 0
    .wavefront_size: 32
    .workgroup_processor_mode: 1
  - .args:
      - .offset:         0
        .size:           56
        .value_kind:     by_value
    .group_segment_fixed_size: 0
    .kernarg_segment_align: 8
    .kernarg_segment_size: 56
    .language:       OpenCL C
    .language_version:
      - 2
      - 0
    .max_flat_workgroup_size: 128
    .name:           _ZN7rocprim17ROCPRIM_400000_NS6detail17trampoline_kernelINS0_14default_configENS1_29binary_search_config_selectorIsbEEZNS1_14transform_implILb0ES3_S5_N6thrust23THRUST_200600_302600_NS6detail15normal_iteratorINS8_10device_ptrIsEEEENSA_INSB_IbEEEEZNS1_13binary_searchIS3_S5_SD_SD_SF_NS1_16binary_search_opENS9_16wrapped_functionINS0_4lessIvEEbEEEE10hipError_tPvRmT1_T2_T3_mmT4_T5_P12ihipStream_tbEUlRKsE_EESM_SQ_SR_mSS_SV_bEUlT_E_NS1_11comp_targetILNS1_3genE3ELNS1_11target_archE908ELNS1_3gpuE7ELNS1_3repE0EEENS1_30default_config_static_selectorELNS0_4arch9wavefront6targetE0EEEvSP_
    .private_segment_fixed_size: 0
    .sgpr_count:     0
    .sgpr_spill_count: 0
    .symbol:         _ZN7rocprim17ROCPRIM_400000_NS6detail17trampoline_kernelINS0_14default_configENS1_29binary_search_config_selectorIsbEEZNS1_14transform_implILb0ES3_S5_N6thrust23THRUST_200600_302600_NS6detail15normal_iteratorINS8_10device_ptrIsEEEENSA_INSB_IbEEEEZNS1_13binary_searchIS3_S5_SD_SD_SF_NS1_16binary_search_opENS9_16wrapped_functionINS0_4lessIvEEbEEEE10hipError_tPvRmT1_T2_T3_mmT4_T5_P12ihipStream_tbEUlRKsE_EESM_SQ_SR_mSS_SV_bEUlT_E_NS1_11comp_targetILNS1_3genE3ELNS1_11target_archE908ELNS1_3gpuE7ELNS1_3repE0EEENS1_30default_config_static_selectorELNS0_4arch9wavefront6targetE0EEEvSP_.kd
    .uniform_work_group_size: 1
    .uses_dynamic_stack: false
    .vgpr_count:     0
    .vgpr_spill_count: 0
    .wavefront_size: 32
    .workgroup_processor_mode: 1
  - .args:
      - .offset:         0
        .size:           56
        .value_kind:     by_value
    .group_segment_fixed_size: 0
    .kernarg_segment_align: 8
    .kernarg_segment_size: 56
    .language:       OpenCL C
    .language_version:
      - 2
      - 0
    .max_flat_workgroup_size: 256
    .name:           _ZN7rocprim17ROCPRIM_400000_NS6detail17trampoline_kernelINS0_14default_configENS1_29binary_search_config_selectorIsbEEZNS1_14transform_implILb0ES3_S5_N6thrust23THRUST_200600_302600_NS6detail15normal_iteratorINS8_10device_ptrIsEEEENSA_INSB_IbEEEEZNS1_13binary_searchIS3_S5_SD_SD_SF_NS1_16binary_search_opENS9_16wrapped_functionINS0_4lessIvEEbEEEE10hipError_tPvRmT1_T2_T3_mmT4_T5_P12ihipStream_tbEUlRKsE_EESM_SQ_SR_mSS_SV_bEUlT_E_NS1_11comp_targetILNS1_3genE2ELNS1_11target_archE906ELNS1_3gpuE6ELNS1_3repE0EEENS1_30default_config_static_selectorELNS0_4arch9wavefront6targetE0EEEvSP_
    .private_segment_fixed_size: 0
    .sgpr_count:     0
    .sgpr_spill_count: 0
    .symbol:         _ZN7rocprim17ROCPRIM_400000_NS6detail17trampoline_kernelINS0_14default_configENS1_29binary_search_config_selectorIsbEEZNS1_14transform_implILb0ES3_S5_N6thrust23THRUST_200600_302600_NS6detail15normal_iteratorINS8_10device_ptrIsEEEENSA_INSB_IbEEEEZNS1_13binary_searchIS3_S5_SD_SD_SF_NS1_16binary_search_opENS9_16wrapped_functionINS0_4lessIvEEbEEEE10hipError_tPvRmT1_T2_T3_mmT4_T5_P12ihipStream_tbEUlRKsE_EESM_SQ_SR_mSS_SV_bEUlT_E_NS1_11comp_targetILNS1_3genE2ELNS1_11target_archE906ELNS1_3gpuE6ELNS1_3repE0EEENS1_30default_config_static_selectorELNS0_4arch9wavefront6targetE0EEEvSP_.kd
    .uniform_work_group_size: 1
    .uses_dynamic_stack: false
    .vgpr_count:     0
    .vgpr_spill_count: 0
    .wavefront_size: 32
    .workgroup_processor_mode: 1
  - .args:
      - .offset:         0
        .size:           56
        .value_kind:     by_value
    .group_segment_fixed_size: 0
    .kernarg_segment_align: 8
    .kernarg_segment_size: 56
    .language:       OpenCL C
    .language_version:
      - 2
      - 0
    .max_flat_workgroup_size: 256
    .name:           _ZN7rocprim17ROCPRIM_400000_NS6detail17trampoline_kernelINS0_14default_configENS1_29binary_search_config_selectorIsbEEZNS1_14transform_implILb0ES3_S5_N6thrust23THRUST_200600_302600_NS6detail15normal_iteratorINS8_10device_ptrIsEEEENSA_INSB_IbEEEEZNS1_13binary_searchIS3_S5_SD_SD_SF_NS1_16binary_search_opENS9_16wrapped_functionINS0_4lessIvEEbEEEE10hipError_tPvRmT1_T2_T3_mmT4_T5_P12ihipStream_tbEUlRKsE_EESM_SQ_SR_mSS_SV_bEUlT_E_NS1_11comp_targetILNS1_3genE10ELNS1_11target_archE1201ELNS1_3gpuE5ELNS1_3repE0EEENS1_30default_config_static_selectorELNS0_4arch9wavefront6targetE0EEEvSP_
    .private_segment_fixed_size: 0
    .sgpr_count:     0
    .sgpr_spill_count: 0
    .symbol:         _ZN7rocprim17ROCPRIM_400000_NS6detail17trampoline_kernelINS0_14default_configENS1_29binary_search_config_selectorIsbEEZNS1_14transform_implILb0ES3_S5_N6thrust23THRUST_200600_302600_NS6detail15normal_iteratorINS8_10device_ptrIsEEEENSA_INSB_IbEEEEZNS1_13binary_searchIS3_S5_SD_SD_SF_NS1_16binary_search_opENS9_16wrapped_functionINS0_4lessIvEEbEEEE10hipError_tPvRmT1_T2_T3_mmT4_T5_P12ihipStream_tbEUlRKsE_EESM_SQ_SR_mSS_SV_bEUlT_E_NS1_11comp_targetILNS1_3genE10ELNS1_11target_archE1201ELNS1_3gpuE5ELNS1_3repE0EEENS1_30default_config_static_selectorELNS0_4arch9wavefront6targetE0EEEvSP_.kd
    .uniform_work_group_size: 1
    .uses_dynamic_stack: false
    .vgpr_count:     0
    .vgpr_spill_count: 0
    .wavefront_size: 32
    .workgroup_processor_mode: 1
  - .args:
      - .offset:         0
        .size:           56
        .value_kind:     by_value
    .group_segment_fixed_size: 0
    .kernarg_segment_align: 8
    .kernarg_segment_size: 56
    .language:       OpenCL C
    .language_version:
      - 2
      - 0
    .max_flat_workgroup_size: 256
    .name:           _ZN7rocprim17ROCPRIM_400000_NS6detail17trampoline_kernelINS0_14default_configENS1_29binary_search_config_selectorIsbEEZNS1_14transform_implILb0ES3_S5_N6thrust23THRUST_200600_302600_NS6detail15normal_iteratorINS8_10device_ptrIsEEEENSA_INSB_IbEEEEZNS1_13binary_searchIS3_S5_SD_SD_SF_NS1_16binary_search_opENS9_16wrapped_functionINS0_4lessIvEEbEEEE10hipError_tPvRmT1_T2_T3_mmT4_T5_P12ihipStream_tbEUlRKsE_EESM_SQ_SR_mSS_SV_bEUlT_E_NS1_11comp_targetILNS1_3genE10ELNS1_11target_archE1200ELNS1_3gpuE4ELNS1_3repE0EEENS1_30default_config_static_selectorELNS0_4arch9wavefront6targetE0EEEvSP_
    .private_segment_fixed_size: 0
    .sgpr_count:     0
    .sgpr_spill_count: 0
    .symbol:         _ZN7rocprim17ROCPRIM_400000_NS6detail17trampoline_kernelINS0_14default_configENS1_29binary_search_config_selectorIsbEEZNS1_14transform_implILb0ES3_S5_N6thrust23THRUST_200600_302600_NS6detail15normal_iteratorINS8_10device_ptrIsEEEENSA_INSB_IbEEEEZNS1_13binary_searchIS3_S5_SD_SD_SF_NS1_16binary_search_opENS9_16wrapped_functionINS0_4lessIvEEbEEEE10hipError_tPvRmT1_T2_T3_mmT4_T5_P12ihipStream_tbEUlRKsE_EESM_SQ_SR_mSS_SV_bEUlT_E_NS1_11comp_targetILNS1_3genE10ELNS1_11target_archE1200ELNS1_3gpuE4ELNS1_3repE0EEENS1_30default_config_static_selectorELNS0_4arch9wavefront6targetE0EEEvSP_.kd
    .uniform_work_group_size: 1
    .uses_dynamic_stack: false
    .vgpr_count:     0
    .vgpr_spill_count: 0
    .wavefront_size: 32
    .workgroup_processor_mode: 1
  - .args:
      - .offset:         0
        .size:           56
        .value_kind:     by_value
      - .offset:         56
        .size:           4
        .value_kind:     hidden_block_count_x
      - .offset:         60
        .size:           4
        .value_kind:     hidden_block_count_y
      - .offset:         64
        .size:           4
        .value_kind:     hidden_block_count_z
      - .offset:         68
        .size:           2
        .value_kind:     hidden_group_size_x
      - .offset:         70
        .size:           2
        .value_kind:     hidden_group_size_y
      - .offset:         72
        .size:           2
        .value_kind:     hidden_group_size_z
      - .offset:         74
        .size:           2
        .value_kind:     hidden_remainder_x
      - .offset:         76
        .size:           2
        .value_kind:     hidden_remainder_y
      - .offset:         78
        .size:           2
        .value_kind:     hidden_remainder_z
      - .offset:         96
        .size:           8
        .value_kind:     hidden_global_offset_x
      - .offset:         104
        .size:           8
        .value_kind:     hidden_global_offset_y
      - .offset:         112
        .size:           8
        .value_kind:     hidden_global_offset_z
      - .offset:         120
        .size:           2
        .value_kind:     hidden_grid_dims
    .group_segment_fixed_size: 0
    .kernarg_segment_align: 8
    .kernarg_segment_size: 312
    .language:       OpenCL C
    .language_version:
      - 2
      - 0
    .max_flat_workgroup_size: 64
    .name:           _ZN7rocprim17ROCPRIM_400000_NS6detail17trampoline_kernelINS0_14default_configENS1_29binary_search_config_selectorIsbEEZNS1_14transform_implILb0ES3_S5_N6thrust23THRUST_200600_302600_NS6detail15normal_iteratorINS8_10device_ptrIsEEEENSA_INSB_IbEEEEZNS1_13binary_searchIS3_S5_SD_SD_SF_NS1_16binary_search_opENS9_16wrapped_functionINS0_4lessIvEEbEEEE10hipError_tPvRmT1_T2_T3_mmT4_T5_P12ihipStream_tbEUlRKsE_EESM_SQ_SR_mSS_SV_bEUlT_E_NS1_11comp_targetILNS1_3genE9ELNS1_11target_archE1100ELNS1_3gpuE3ELNS1_3repE0EEENS1_30default_config_static_selectorELNS0_4arch9wavefront6targetE0EEEvSP_
    .private_segment_fixed_size: 0
    .sgpr_count:     22
    .sgpr_spill_count: 0
    .symbol:         _ZN7rocprim17ROCPRIM_400000_NS6detail17trampoline_kernelINS0_14default_configENS1_29binary_search_config_selectorIsbEEZNS1_14transform_implILb0ES3_S5_N6thrust23THRUST_200600_302600_NS6detail15normal_iteratorINS8_10device_ptrIsEEEENSA_INSB_IbEEEEZNS1_13binary_searchIS3_S5_SD_SD_SF_NS1_16binary_search_opENS9_16wrapped_functionINS0_4lessIvEEbEEEE10hipError_tPvRmT1_T2_T3_mmT4_T5_P12ihipStream_tbEUlRKsE_EESM_SQ_SR_mSS_SV_bEUlT_E_NS1_11comp_targetILNS1_3genE9ELNS1_11target_archE1100ELNS1_3gpuE3ELNS1_3repE0EEENS1_30default_config_static_selectorELNS0_4arch9wavefront6targetE0EEEvSP_.kd
    .uniform_work_group_size: 1
    .uses_dynamic_stack: false
    .vgpr_count:     18
    .vgpr_spill_count: 0
    .wavefront_size: 32
    .workgroup_processor_mode: 1
  - .args:
      - .offset:         0
        .size:           56
        .value_kind:     by_value
    .group_segment_fixed_size: 0
    .kernarg_segment_align: 8
    .kernarg_segment_size: 56
    .language:       OpenCL C
    .language_version:
      - 2
      - 0
    .max_flat_workgroup_size: 128
    .name:           _ZN7rocprim17ROCPRIM_400000_NS6detail17trampoline_kernelINS0_14default_configENS1_29binary_search_config_selectorIsbEEZNS1_14transform_implILb0ES3_S5_N6thrust23THRUST_200600_302600_NS6detail15normal_iteratorINS8_10device_ptrIsEEEENSA_INSB_IbEEEEZNS1_13binary_searchIS3_S5_SD_SD_SF_NS1_16binary_search_opENS9_16wrapped_functionINS0_4lessIvEEbEEEE10hipError_tPvRmT1_T2_T3_mmT4_T5_P12ihipStream_tbEUlRKsE_EESM_SQ_SR_mSS_SV_bEUlT_E_NS1_11comp_targetILNS1_3genE8ELNS1_11target_archE1030ELNS1_3gpuE2ELNS1_3repE0EEENS1_30default_config_static_selectorELNS0_4arch9wavefront6targetE0EEEvSP_
    .private_segment_fixed_size: 0
    .sgpr_count:     0
    .sgpr_spill_count: 0
    .symbol:         _ZN7rocprim17ROCPRIM_400000_NS6detail17trampoline_kernelINS0_14default_configENS1_29binary_search_config_selectorIsbEEZNS1_14transform_implILb0ES3_S5_N6thrust23THRUST_200600_302600_NS6detail15normal_iteratorINS8_10device_ptrIsEEEENSA_INSB_IbEEEEZNS1_13binary_searchIS3_S5_SD_SD_SF_NS1_16binary_search_opENS9_16wrapped_functionINS0_4lessIvEEbEEEE10hipError_tPvRmT1_T2_T3_mmT4_T5_P12ihipStream_tbEUlRKsE_EESM_SQ_SR_mSS_SV_bEUlT_E_NS1_11comp_targetILNS1_3genE8ELNS1_11target_archE1030ELNS1_3gpuE2ELNS1_3repE0EEENS1_30default_config_static_selectorELNS0_4arch9wavefront6targetE0EEEvSP_.kd
    .uniform_work_group_size: 1
    .uses_dynamic_stack: false
    .vgpr_count:     0
    .vgpr_spill_count: 0
    .wavefront_size: 32
    .workgroup_processor_mode: 1
  - .args:
      - .offset:         0
        .size:           56
        .value_kind:     by_value
    .group_segment_fixed_size: 0
    .kernarg_segment_align: 8
    .kernarg_segment_size: 56
    .language:       OpenCL C
    .language_version:
      - 2
      - 0
    .max_flat_workgroup_size: 128
    .name:           _ZN7rocprim17ROCPRIM_400000_NS6detail17trampoline_kernelINS0_14default_configENS1_29binary_search_config_selectorIsiEEZNS1_14transform_implILb0ES3_S5_N6thrust23THRUST_200600_302600_NS6detail15normal_iteratorINS8_10device_ptrIsEEEENSA_INSB_IiEEEEZNS1_13binary_searchIS3_S5_SD_SD_SF_NS1_16binary_search_opENS9_16wrapped_functionINS0_4lessIvEEbEEEE10hipError_tPvRmT1_T2_T3_mmT4_T5_P12ihipStream_tbEUlRKsE_EESM_SQ_SR_mSS_SV_bEUlT_E_NS1_11comp_targetILNS1_3genE0ELNS1_11target_archE4294967295ELNS1_3gpuE0ELNS1_3repE0EEENS1_30default_config_static_selectorELNS0_4arch9wavefront6targetE0EEEvSP_
    .private_segment_fixed_size: 0
    .sgpr_count:     0
    .sgpr_spill_count: 0
    .symbol:         _ZN7rocprim17ROCPRIM_400000_NS6detail17trampoline_kernelINS0_14default_configENS1_29binary_search_config_selectorIsiEEZNS1_14transform_implILb0ES3_S5_N6thrust23THRUST_200600_302600_NS6detail15normal_iteratorINS8_10device_ptrIsEEEENSA_INSB_IiEEEEZNS1_13binary_searchIS3_S5_SD_SD_SF_NS1_16binary_search_opENS9_16wrapped_functionINS0_4lessIvEEbEEEE10hipError_tPvRmT1_T2_T3_mmT4_T5_P12ihipStream_tbEUlRKsE_EESM_SQ_SR_mSS_SV_bEUlT_E_NS1_11comp_targetILNS1_3genE0ELNS1_11target_archE4294967295ELNS1_3gpuE0ELNS1_3repE0EEENS1_30default_config_static_selectorELNS0_4arch9wavefront6targetE0EEEvSP_.kd
    .uniform_work_group_size: 1
    .uses_dynamic_stack: false
    .vgpr_count:     0
    .vgpr_spill_count: 0
    .wavefront_size: 32
    .workgroup_processor_mode: 1
  - .args:
      - .offset:         0
        .size:           56
        .value_kind:     by_value
    .group_segment_fixed_size: 0
    .kernarg_segment_align: 8
    .kernarg_segment_size: 56
    .language:       OpenCL C
    .language_version:
      - 2
      - 0
    .max_flat_workgroup_size: 256
    .name:           _ZN7rocprim17ROCPRIM_400000_NS6detail17trampoline_kernelINS0_14default_configENS1_29binary_search_config_selectorIsiEEZNS1_14transform_implILb0ES3_S5_N6thrust23THRUST_200600_302600_NS6detail15normal_iteratorINS8_10device_ptrIsEEEENSA_INSB_IiEEEEZNS1_13binary_searchIS3_S5_SD_SD_SF_NS1_16binary_search_opENS9_16wrapped_functionINS0_4lessIvEEbEEEE10hipError_tPvRmT1_T2_T3_mmT4_T5_P12ihipStream_tbEUlRKsE_EESM_SQ_SR_mSS_SV_bEUlT_E_NS1_11comp_targetILNS1_3genE5ELNS1_11target_archE942ELNS1_3gpuE9ELNS1_3repE0EEENS1_30default_config_static_selectorELNS0_4arch9wavefront6targetE0EEEvSP_
    .private_segment_fixed_size: 0
    .sgpr_count:     0
    .sgpr_spill_count: 0
    .symbol:         _ZN7rocprim17ROCPRIM_400000_NS6detail17trampoline_kernelINS0_14default_configENS1_29binary_search_config_selectorIsiEEZNS1_14transform_implILb0ES3_S5_N6thrust23THRUST_200600_302600_NS6detail15normal_iteratorINS8_10device_ptrIsEEEENSA_INSB_IiEEEEZNS1_13binary_searchIS3_S5_SD_SD_SF_NS1_16binary_search_opENS9_16wrapped_functionINS0_4lessIvEEbEEEE10hipError_tPvRmT1_T2_T3_mmT4_T5_P12ihipStream_tbEUlRKsE_EESM_SQ_SR_mSS_SV_bEUlT_E_NS1_11comp_targetILNS1_3genE5ELNS1_11target_archE942ELNS1_3gpuE9ELNS1_3repE0EEENS1_30default_config_static_selectorELNS0_4arch9wavefront6targetE0EEEvSP_.kd
    .uniform_work_group_size: 1
    .uses_dynamic_stack: false
    .vgpr_count:     0
    .vgpr_spill_count: 0
    .wavefront_size: 32
    .workgroup_processor_mode: 1
  - .args:
      - .offset:         0
        .size:           56
        .value_kind:     by_value
    .group_segment_fixed_size: 0
    .kernarg_segment_align: 8
    .kernarg_segment_size: 56
    .language:       OpenCL C
    .language_version:
      - 2
      - 0
    .max_flat_workgroup_size: 256
    .name:           _ZN7rocprim17ROCPRIM_400000_NS6detail17trampoline_kernelINS0_14default_configENS1_29binary_search_config_selectorIsiEEZNS1_14transform_implILb0ES3_S5_N6thrust23THRUST_200600_302600_NS6detail15normal_iteratorINS8_10device_ptrIsEEEENSA_INSB_IiEEEEZNS1_13binary_searchIS3_S5_SD_SD_SF_NS1_16binary_search_opENS9_16wrapped_functionINS0_4lessIvEEbEEEE10hipError_tPvRmT1_T2_T3_mmT4_T5_P12ihipStream_tbEUlRKsE_EESM_SQ_SR_mSS_SV_bEUlT_E_NS1_11comp_targetILNS1_3genE4ELNS1_11target_archE910ELNS1_3gpuE8ELNS1_3repE0EEENS1_30default_config_static_selectorELNS0_4arch9wavefront6targetE0EEEvSP_
    .private_segment_fixed_size: 0
    .sgpr_count:     0
    .sgpr_spill_count: 0
    .symbol:         _ZN7rocprim17ROCPRIM_400000_NS6detail17trampoline_kernelINS0_14default_configENS1_29binary_search_config_selectorIsiEEZNS1_14transform_implILb0ES3_S5_N6thrust23THRUST_200600_302600_NS6detail15normal_iteratorINS8_10device_ptrIsEEEENSA_INSB_IiEEEEZNS1_13binary_searchIS3_S5_SD_SD_SF_NS1_16binary_search_opENS9_16wrapped_functionINS0_4lessIvEEbEEEE10hipError_tPvRmT1_T2_T3_mmT4_T5_P12ihipStream_tbEUlRKsE_EESM_SQ_SR_mSS_SV_bEUlT_E_NS1_11comp_targetILNS1_3genE4ELNS1_11target_archE910ELNS1_3gpuE8ELNS1_3repE0EEENS1_30default_config_static_selectorELNS0_4arch9wavefront6targetE0EEEvSP_.kd
    .uniform_work_group_size: 1
    .uses_dynamic_stack: false
    .vgpr_count:     0
    .vgpr_spill_count: 0
    .wavefront_size: 32
    .workgroup_processor_mode: 1
  - .args:
      - .offset:         0
        .size:           56
        .value_kind:     by_value
    .group_segment_fixed_size: 0
    .kernarg_segment_align: 8
    .kernarg_segment_size: 56
    .language:       OpenCL C
    .language_version:
      - 2
      - 0
    .max_flat_workgroup_size: 128
    .name:           _ZN7rocprim17ROCPRIM_400000_NS6detail17trampoline_kernelINS0_14default_configENS1_29binary_search_config_selectorIsiEEZNS1_14transform_implILb0ES3_S5_N6thrust23THRUST_200600_302600_NS6detail15normal_iteratorINS8_10device_ptrIsEEEENSA_INSB_IiEEEEZNS1_13binary_searchIS3_S5_SD_SD_SF_NS1_16binary_search_opENS9_16wrapped_functionINS0_4lessIvEEbEEEE10hipError_tPvRmT1_T2_T3_mmT4_T5_P12ihipStream_tbEUlRKsE_EESM_SQ_SR_mSS_SV_bEUlT_E_NS1_11comp_targetILNS1_3genE3ELNS1_11target_archE908ELNS1_3gpuE7ELNS1_3repE0EEENS1_30default_config_static_selectorELNS0_4arch9wavefront6targetE0EEEvSP_
    .private_segment_fixed_size: 0
    .sgpr_count:     0
    .sgpr_spill_count: 0
    .symbol:         _ZN7rocprim17ROCPRIM_400000_NS6detail17trampoline_kernelINS0_14default_configENS1_29binary_search_config_selectorIsiEEZNS1_14transform_implILb0ES3_S5_N6thrust23THRUST_200600_302600_NS6detail15normal_iteratorINS8_10device_ptrIsEEEENSA_INSB_IiEEEEZNS1_13binary_searchIS3_S5_SD_SD_SF_NS1_16binary_search_opENS9_16wrapped_functionINS0_4lessIvEEbEEEE10hipError_tPvRmT1_T2_T3_mmT4_T5_P12ihipStream_tbEUlRKsE_EESM_SQ_SR_mSS_SV_bEUlT_E_NS1_11comp_targetILNS1_3genE3ELNS1_11target_archE908ELNS1_3gpuE7ELNS1_3repE0EEENS1_30default_config_static_selectorELNS0_4arch9wavefront6targetE0EEEvSP_.kd
    .uniform_work_group_size: 1
    .uses_dynamic_stack: false
    .vgpr_count:     0
    .vgpr_spill_count: 0
    .wavefront_size: 32
    .workgroup_processor_mode: 1
  - .args:
      - .offset:         0
        .size:           56
        .value_kind:     by_value
    .group_segment_fixed_size: 0
    .kernarg_segment_align: 8
    .kernarg_segment_size: 56
    .language:       OpenCL C
    .language_version:
      - 2
      - 0
    .max_flat_workgroup_size: 256
    .name:           _ZN7rocprim17ROCPRIM_400000_NS6detail17trampoline_kernelINS0_14default_configENS1_29binary_search_config_selectorIsiEEZNS1_14transform_implILb0ES3_S5_N6thrust23THRUST_200600_302600_NS6detail15normal_iteratorINS8_10device_ptrIsEEEENSA_INSB_IiEEEEZNS1_13binary_searchIS3_S5_SD_SD_SF_NS1_16binary_search_opENS9_16wrapped_functionINS0_4lessIvEEbEEEE10hipError_tPvRmT1_T2_T3_mmT4_T5_P12ihipStream_tbEUlRKsE_EESM_SQ_SR_mSS_SV_bEUlT_E_NS1_11comp_targetILNS1_3genE2ELNS1_11target_archE906ELNS1_3gpuE6ELNS1_3repE0EEENS1_30default_config_static_selectorELNS0_4arch9wavefront6targetE0EEEvSP_
    .private_segment_fixed_size: 0
    .sgpr_count:     0
    .sgpr_spill_count: 0
    .symbol:         _ZN7rocprim17ROCPRIM_400000_NS6detail17trampoline_kernelINS0_14default_configENS1_29binary_search_config_selectorIsiEEZNS1_14transform_implILb0ES3_S5_N6thrust23THRUST_200600_302600_NS6detail15normal_iteratorINS8_10device_ptrIsEEEENSA_INSB_IiEEEEZNS1_13binary_searchIS3_S5_SD_SD_SF_NS1_16binary_search_opENS9_16wrapped_functionINS0_4lessIvEEbEEEE10hipError_tPvRmT1_T2_T3_mmT4_T5_P12ihipStream_tbEUlRKsE_EESM_SQ_SR_mSS_SV_bEUlT_E_NS1_11comp_targetILNS1_3genE2ELNS1_11target_archE906ELNS1_3gpuE6ELNS1_3repE0EEENS1_30default_config_static_selectorELNS0_4arch9wavefront6targetE0EEEvSP_.kd
    .uniform_work_group_size: 1
    .uses_dynamic_stack: false
    .vgpr_count:     0
    .vgpr_spill_count: 0
    .wavefront_size: 32
    .workgroup_processor_mode: 1
  - .args:
      - .offset:         0
        .size:           56
        .value_kind:     by_value
    .group_segment_fixed_size: 0
    .kernarg_segment_align: 8
    .kernarg_segment_size: 56
    .language:       OpenCL C
    .language_version:
      - 2
      - 0
    .max_flat_workgroup_size: 256
    .name:           _ZN7rocprim17ROCPRIM_400000_NS6detail17trampoline_kernelINS0_14default_configENS1_29binary_search_config_selectorIsiEEZNS1_14transform_implILb0ES3_S5_N6thrust23THRUST_200600_302600_NS6detail15normal_iteratorINS8_10device_ptrIsEEEENSA_INSB_IiEEEEZNS1_13binary_searchIS3_S5_SD_SD_SF_NS1_16binary_search_opENS9_16wrapped_functionINS0_4lessIvEEbEEEE10hipError_tPvRmT1_T2_T3_mmT4_T5_P12ihipStream_tbEUlRKsE_EESM_SQ_SR_mSS_SV_bEUlT_E_NS1_11comp_targetILNS1_3genE10ELNS1_11target_archE1201ELNS1_3gpuE5ELNS1_3repE0EEENS1_30default_config_static_selectorELNS0_4arch9wavefront6targetE0EEEvSP_
    .private_segment_fixed_size: 0
    .sgpr_count:     0
    .sgpr_spill_count: 0
    .symbol:         _ZN7rocprim17ROCPRIM_400000_NS6detail17trampoline_kernelINS0_14default_configENS1_29binary_search_config_selectorIsiEEZNS1_14transform_implILb0ES3_S5_N6thrust23THRUST_200600_302600_NS6detail15normal_iteratorINS8_10device_ptrIsEEEENSA_INSB_IiEEEEZNS1_13binary_searchIS3_S5_SD_SD_SF_NS1_16binary_search_opENS9_16wrapped_functionINS0_4lessIvEEbEEEE10hipError_tPvRmT1_T2_T3_mmT4_T5_P12ihipStream_tbEUlRKsE_EESM_SQ_SR_mSS_SV_bEUlT_E_NS1_11comp_targetILNS1_3genE10ELNS1_11target_archE1201ELNS1_3gpuE5ELNS1_3repE0EEENS1_30default_config_static_selectorELNS0_4arch9wavefront6targetE0EEEvSP_.kd
    .uniform_work_group_size: 1
    .uses_dynamic_stack: false
    .vgpr_count:     0
    .vgpr_spill_count: 0
    .wavefront_size: 32
    .workgroup_processor_mode: 1
  - .args:
      - .offset:         0
        .size:           56
        .value_kind:     by_value
    .group_segment_fixed_size: 0
    .kernarg_segment_align: 8
    .kernarg_segment_size: 56
    .language:       OpenCL C
    .language_version:
      - 2
      - 0
    .max_flat_workgroup_size: 256
    .name:           _ZN7rocprim17ROCPRIM_400000_NS6detail17trampoline_kernelINS0_14default_configENS1_29binary_search_config_selectorIsiEEZNS1_14transform_implILb0ES3_S5_N6thrust23THRUST_200600_302600_NS6detail15normal_iteratorINS8_10device_ptrIsEEEENSA_INSB_IiEEEEZNS1_13binary_searchIS3_S5_SD_SD_SF_NS1_16binary_search_opENS9_16wrapped_functionINS0_4lessIvEEbEEEE10hipError_tPvRmT1_T2_T3_mmT4_T5_P12ihipStream_tbEUlRKsE_EESM_SQ_SR_mSS_SV_bEUlT_E_NS1_11comp_targetILNS1_3genE10ELNS1_11target_archE1200ELNS1_3gpuE4ELNS1_3repE0EEENS1_30default_config_static_selectorELNS0_4arch9wavefront6targetE0EEEvSP_
    .private_segment_fixed_size: 0
    .sgpr_count:     0
    .sgpr_spill_count: 0
    .symbol:         _ZN7rocprim17ROCPRIM_400000_NS6detail17trampoline_kernelINS0_14default_configENS1_29binary_search_config_selectorIsiEEZNS1_14transform_implILb0ES3_S5_N6thrust23THRUST_200600_302600_NS6detail15normal_iteratorINS8_10device_ptrIsEEEENSA_INSB_IiEEEEZNS1_13binary_searchIS3_S5_SD_SD_SF_NS1_16binary_search_opENS9_16wrapped_functionINS0_4lessIvEEbEEEE10hipError_tPvRmT1_T2_T3_mmT4_T5_P12ihipStream_tbEUlRKsE_EESM_SQ_SR_mSS_SV_bEUlT_E_NS1_11comp_targetILNS1_3genE10ELNS1_11target_archE1200ELNS1_3gpuE4ELNS1_3repE0EEENS1_30default_config_static_selectorELNS0_4arch9wavefront6targetE0EEEvSP_.kd
    .uniform_work_group_size: 1
    .uses_dynamic_stack: false
    .vgpr_count:     0
    .vgpr_spill_count: 0
    .wavefront_size: 32
    .workgroup_processor_mode: 1
  - .args:
      - .offset:         0
        .size:           56
        .value_kind:     by_value
      - .offset:         56
        .size:           4
        .value_kind:     hidden_block_count_x
      - .offset:         60
        .size:           4
        .value_kind:     hidden_block_count_y
      - .offset:         64
        .size:           4
        .value_kind:     hidden_block_count_z
      - .offset:         68
        .size:           2
        .value_kind:     hidden_group_size_x
      - .offset:         70
        .size:           2
        .value_kind:     hidden_group_size_y
      - .offset:         72
        .size:           2
        .value_kind:     hidden_group_size_z
      - .offset:         74
        .size:           2
        .value_kind:     hidden_remainder_x
      - .offset:         76
        .size:           2
        .value_kind:     hidden_remainder_y
      - .offset:         78
        .size:           2
        .value_kind:     hidden_remainder_z
      - .offset:         96
        .size:           8
        .value_kind:     hidden_global_offset_x
      - .offset:         104
        .size:           8
        .value_kind:     hidden_global_offset_y
      - .offset:         112
        .size:           8
        .value_kind:     hidden_global_offset_z
      - .offset:         120
        .size:           2
        .value_kind:     hidden_grid_dims
    .group_segment_fixed_size: 0
    .kernarg_segment_align: 8
    .kernarg_segment_size: 312
    .language:       OpenCL C
    .language_version:
      - 2
      - 0
    .max_flat_workgroup_size: 64
    .name:           _ZN7rocprim17ROCPRIM_400000_NS6detail17trampoline_kernelINS0_14default_configENS1_29binary_search_config_selectorIsiEEZNS1_14transform_implILb0ES3_S5_N6thrust23THRUST_200600_302600_NS6detail15normal_iteratorINS8_10device_ptrIsEEEENSA_INSB_IiEEEEZNS1_13binary_searchIS3_S5_SD_SD_SF_NS1_16binary_search_opENS9_16wrapped_functionINS0_4lessIvEEbEEEE10hipError_tPvRmT1_T2_T3_mmT4_T5_P12ihipStream_tbEUlRKsE_EESM_SQ_SR_mSS_SV_bEUlT_E_NS1_11comp_targetILNS1_3genE9ELNS1_11target_archE1100ELNS1_3gpuE3ELNS1_3repE0EEENS1_30default_config_static_selectorELNS0_4arch9wavefront6targetE0EEEvSP_
    .private_segment_fixed_size: 0
    .sgpr_count:     22
    .sgpr_spill_count: 0
    .symbol:         _ZN7rocprim17ROCPRIM_400000_NS6detail17trampoline_kernelINS0_14default_configENS1_29binary_search_config_selectorIsiEEZNS1_14transform_implILb0ES3_S5_N6thrust23THRUST_200600_302600_NS6detail15normal_iteratorINS8_10device_ptrIsEEEENSA_INSB_IiEEEEZNS1_13binary_searchIS3_S5_SD_SD_SF_NS1_16binary_search_opENS9_16wrapped_functionINS0_4lessIvEEbEEEE10hipError_tPvRmT1_T2_T3_mmT4_T5_P12ihipStream_tbEUlRKsE_EESM_SQ_SR_mSS_SV_bEUlT_E_NS1_11comp_targetILNS1_3genE9ELNS1_11target_archE1100ELNS1_3gpuE3ELNS1_3repE0EEENS1_30default_config_static_selectorELNS0_4arch9wavefront6targetE0EEEvSP_.kd
    .uniform_work_group_size: 1
    .uses_dynamic_stack: false
    .vgpr_count:     19
    .vgpr_spill_count: 0
    .wavefront_size: 32
    .workgroup_processor_mode: 1
  - .args:
      - .offset:         0
        .size:           56
        .value_kind:     by_value
    .group_segment_fixed_size: 0
    .kernarg_segment_align: 8
    .kernarg_segment_size: 56
    .language:       OpenCL C
    .language_version:
      - 2
      - 0
    .max_flat_workgroup_size: 128
    .name:           _ZN7rocprim17ROCPRIM_400000_NS6detail17trampoline_kernelINS0_14default_configENS1_29binary_search_config_selectorIsiEEZNS1_14transform_implILb0ES3_S5_N6thrust23THRUST_200600_302600_NS6detail15normal_iteratorINS8_10device_ptrIsEEEENSA_INSB_IiEEEEZNS1_13binary_searchIS3_S5_SD_SD_SF_NS1_16binary_search_opENS9_16wrapped_functionINS0_4lessIvEEbEEEE10hipError_tPvRmT1_T2_T3_mmT4_T5_P12ihipStream_tbEUlRKsE_EESM_SQ_SR_mSS_SV_bEUlT_E_NS1_11comp_targetILNS1_3genE8ELNS1_11target_archE1030ELNS1_3gpuE2ELNS1_3repE0EEENS1_30default_config_static_selectorELNS0_4arch9wavefront6targetE0EEEvSP_
    .private_segment_fixed_size: 0
    .sgpr_count:     0
    .sgpr_spill_count: 0
    .symbol:         _ZN7rocprim17ROCPRIM_400000_NS6detail17trampoline_kernelINS0_14default_configENS1_29binary_search_config_selectorIsiEEZNS1_14transform_implILb0ES3_S5_N6thrust23THRUST_200600_302600_NS6detail15normal_iteratorINS8_10device_ptrIsEEEENSA_INSB_IiEEEEZNS1_13binary_searchIS3_S5_SD_SD_SF_NS1_16binary_search_opENS9_16wrapped_functionINS0_4lessIvEEbEEEE10hipError_tPvRmT1_T2_T3_mmT4_T5_P12ihipStream_tbEUlRKsE_EESM_SQ_SR_mSS_SV_bEUlT_E_NS1_11comp_targetILNS1_3genE8ELNS1_11target_archE1030ELNS1_3gpuE2ELNS1_3repE0EEENS1_30default_config_static_selectorELNS0_4arch9wavefront6targetE0EEEvSP_.kd
    .uniform_work_group_size: 1
    .uses_dynamic_stack: false
    .vgpr_count:     0
    .vgpr_spill_count: 0
    .wavefront_size: 32
    .workgroup_processor_mode: 1
  - .args:
      - .offset:         0
        .size:           64
        .value_kind:     by_value
    .group_segment_fixed_size: 0
    .kernarg_segment_align: 8
    .kernarg_segment_size: 64
    .language:       OpenCL C
    .language_version:
      - 2
      - 0
    .max_flat_workgroup_size: 256
    .name:           _ZN7rocprim17ROCPRIM_400000_NS6detail17trampoline_kernelINS0_14default_configENS1_27lower_bound_config_selectorIxN6thrust23THRUST_200600_302600_NS6detail10any_assignEEEZNS1_14transform_implILb0ES3_S9_NS7_15normal_iteratorINS6_10device_ptrIxEEEENS6_16discard_iteratorINS6_11use_defaultEEEZNS1_13binary_searchIS3_S9_SE_SE_SH_NS1_21lower_bound_search_opENS7_16wrapped_functionINS0_4lessIvEEbEEEE10hipError_tPvRmT1_T2_T3_mmT4_T5_P12ihipStream_tbEUlRKxE_EESO_SS_ST_mSU_SX_bEUlT_E_NS1_11comp_targetILNS1_3genE0ELNS1_11target_archE4294967295ELNS1_3gpuE0ELNS1_3repE0EEENS1_30default_config_static_selectorELNS0_4arch9wavefront6targetE0EEEvSR_
    .private_segment_fixed_size: 0
    .sgpr_count:     0
    .sgpr_spill_count: 0
    .symbol:         _ZN7rocprim17ROCPRIM_400000_NS6detail17trampoline_kernelINS0_14default_configENS1_27lower_bound_config_selectorIxN6thrust23THRUST_200600_302600_NS6detail10any_assignEEEZNS1_14transform_implILb0ES3_S9_NS7_15normal_iteratorINS6_10device_ptrIxEEEENS6_16discard_iteratorINS6_11use_defaultEEEZNS1_13binary_searchIS3_S9_SE_SE_SH_NS1_21lower_bound_search_opENS7_16wrapped_functionINS0_4lessIvEEbEEEE10hipError_tPvRmT1_T2_T3_mmT4_T5_P12ihipStream_tbEUlRKxE_EESO_SS_ST_mSU_SX_bEUlT_E_NS1_11comp_targetILNS1_3genE0ELNS1_11target_archE4294967295ELNS1_3gpuE0ELNS1_3repE0EEENS1_30default_config_static_selectorELNS0_4arch9wavefront6targetE0EEEvSR_.kd
    .uniform_work_group_size: 1
    .uses_dynamic_stack: false
    .vgpr_count:     0
    .vgpr_spill_count: 0
    .wavefront_size: 32
    .workgroup_processor_mode: 1
  - .args:
      - .offset:         0
        .size:           64
        .value_kind:     by_value
    .group_segment_fixed_size: 0
    .kernarg_segment_align: 8
    .kernarg_segment_size: 64
    .language:       OpenCL C
    .language_version:
      - 2
      - 0
    .max_flat_workgroup_size: 64
    .name:           _ZN7rocprim17ROCPRIM_400000_NS6detail17trampoline_kernelINS0_14default_configENS1_27lower_bound_config_selectorIxN6thrust23THRUST_200600_302600_NS6detail10any_assignEEEZNS1_14transform_implILb0ES3_S9_NS7_15normal_iteratorINS6_10device_ptrIxEEEENS6_16discard_iteratorINS6_11use_defaultEEEZNS1_13binary_searchIS3_S9_SE_SE_SH_NS1_21lower_bound_search_opENS7_16wrapped_functionINS0_4lessIvEEbEEEE10hipError_tPvRmT1_T2_T3_mmT4_T5_P12ihipStream_tbEUlRKxE_EESO_SS_ST_mSU_SX_bEUlT_E_NS1_11comp_targetILNS1_3genE5ELNS1_11target_archE942ELNS1_3gpuE9ELNS1_3repE0EEENS1_30default_config_static_selectorELNS0_4arch9wavefront6targetE0EEEvSR_
    .private_segment_fixed_size: 0
    .sgpr_count:     0
    .sgpr_spill_count: 0
    .symbol:         _ZN7rocprim17ROCPRIM_400000_NS6detail17trampoline_kernelINS0_14default_configENS1_27lower_bound_config_selectorIxN6thrust23THRUST_200600_302600_NS6detail10any_assignEEEZNS1_14transform_implILb0ES3_S9_NS7_15normal_iteratorINS6_10device_ptrIxEEEENS6_16discard_iteratorINS6_11use_defaultEEEZNS1_13binary_searchIS3_S9_SE_SE_SH_NS1_21lower_bound_search_opENS7_16wrapped_functionINS0_4lessIvEEbEEEE10hipError_tPvRmT1_T2_T3_mmT4_T5_P12ihipStream_tbEUlRKxE_EESO_SS_ST_mSU_SX_bEUlT_E_NS1_11comp_targetILNS1_3genE5ELNS1_11target_archE942ELNS1_3gpuE9ELNS1_3repE0EEENS1_30default_config_static_selectorELNS0_4arch9wavefront6targetE0EEEvSR_.kd
    .uniform_work_group_size: 1
    .uses_dynamic_stack: false
    .vgpr_count:     0
    .vgpr_spill_count: 0
    .wavefront_size: 32
    .workgroup_processor_mode: 1
  - .args:
      - .offset:         0
        .size:           64
        .value_kind:     by_value
    .group_segment_fixed_size: 0
    .kernarg_segment_align: 8
    .kernarg_segment_size: 64
    .language:       OpenCL C
    .language_version:
      - 2
      - 0
    .max_flat_workgroup_size: 64
    .name:           _ZN7rocprim17ROCPRIM_400000_NS6detail17trampoline_kernelINS0_14default_configENS1_27lower_bound_config_selectorIxN6thrust23THRUST_200600_302600_NS6detail10any_assignEEEZNS1_14transform_implILb0ES3_S9_NS7_15normal_iteratorINS6_10device_ptrIxEEEENS6_16discard_iteratorINS6_11use_defaultEEEZNS1_13binary_searchIS3_S9_SE_SE_SH_NS1_21lower_bound_search_opENS7_16wrapped_functionINS0_4lessIvEEbEEEE10hipError_tPvRmT1_T2_T3_mmT4_T5_P12ihipStream_tbEUlRKxE_EESO_SS_ST_mSU_SX_bEUlT_E_NS1_11comp_targetILNS1_3genE4ELNS1_11target_archE910ELNS1_3gpuE8ELNS1_3repE0EEENS1_30default_config_static_selectorELNS0_4arch9wavefront6targetE0EEEvSR_
    .private_segment_fixed_size: 0
    .sgpr_count:     0
    .sgpr_spill_count: 0
    .symbol:         _ZN7rocprim17ROCPRIM_400000_NS6detail17trampoline_kernelINS0_14default_configENS1_27lower_bound_config_selectorIxN6thrust23THRUST_200600_302600_NS6detail10any_assignEEEZNS1_14transform_implILb0ES3_S9_NS7_15normal_iteratorINS6_10device_ptrIxEEEENS6_16discard_iteratorINS6_11use_defaultEEEZNS1_13binary_searchIS3_S9_SE_SE_SH_NS1_21lower_bound_search_opENS7_16wrapped_functionINS0_4lessIvEEbEEEE10hipError_tPvRmT1_T2_T3_mmT4_T5_P12ihipStream_tbEUlRKxE_EESO_SS_ST_mSU_SX_bEUlT_E_NS1_11comp_targetILNS1_3genE4ELNS1_11target_archE910ELNS1_3gpuE8ELNS1_3repE0EEENS1_30default_config_static_selectorELNS0_4arch9wavefront6targetE0EEEvSR_.kd
    .uniform_work_group_size: 1
    .uses_dynamic_stack: false
    .vgpr_count:     0
    .vgpr_spill_count: 0
    .wavefront_size: 32
    .workgroup_processor_mode: 1
  - .args:
      - .offset:         0
        .size:           64
        .value_kind:     by_value
    .group_segment_fixed_size: 0
    .kernarg_segment_align: 8
    .kernarg_segment_size: 64
    .language:       OpenCL C
    .language_version:
      - 2
      - 0
    .max_flat_workgroup_size: 256
    .name:           _ZN7rocprim17ROCPRIM_400000_NS6detail17trampoline_kernelINS0_14default_configENS1_27lower_bound_config_selectorIxN6thrust23THRUST_200600_302600_NS6detail10any_assignEEEZNS1_14transform_implILb0ES3_S9_NS7_15normal_iteratorINS6_10device_ptrIxEEEENS6_16discard_iteratorINS6_11use_defaultEEEZNS1_13binary_searchIS3_S9_SE_SE_SH_NS1_21lower_bound_search_opENS7_16wrapped_functionINS0_4lessIvEEbEEEE10hipError_tPvRmT1_T2_T3_mmT4_T5_P12ihipStream_tbEUlRKxE_EESO_SS_ST_mSU_SX_bEUlT_E_NS1_11comp_targetILNS1_3genE3ELNS1_11target_archE908ELNS1_3gpuE7ELNS1_3repE0EEENS1_30default_config_static_selectorELNS0_4arch9wavefront6targetE0EEEvSR_
    .private_segment_fixed_size: 0
    .sgpr_count:     0
    .sgpr_spill_count: 0
    .symbol:         _ZN7rocprim17ROCPRIM_400000_NS6detail17trampoline_kernelINS0_14default_configENS1_27lower_bound_config_selectorIxN6thrust23THRUST_200600_302600_NS6detail10any_assignEEEZNS1_14transform_implILb0ES3_S9_NS7_15normal_iteratorINS6_10device_ptrIxEEEENS6_16discard_iteratorINS6_11use_defaultEEEZNS1_13binary_searchIS3_S9_SE_SE_SH_NS1_21lower_bound_search_opENS7_16wrapped_functionINS0_4lessIvEEbEEEE10hipError_tPvRmT1_T2_T3_mmT4_T5_P12ihipStream_tbEUlRKxE_EESO_SS_ST_mSU_SX_bEUlT_E_NS1_11comp_targetILNS1_3genE3ELNS1_11target_archE908ELNS1_3gpuE7ELNS1_3repE0EEENS1_30default_config_static_selectorELNS0_4arch9wavefront6targetE0EEEvSR_.kd
    .uniform_work_group_size: 1
    .uses_dynamic_stack: false
    .vgpr_count:     0
    .vgpr_spill_count: 0
    .wavefront_size: 32
    .workgroup_processor_mode: 1
  - .args:
      - .offset:         0
        .size:           64
        .value_kind:     by_value
    .group_segment_fixed_size: 0
    .kernarg_segment_align: 8
    .kernarg_segment_size: 64
    .language:       OpenCL C
    .language_version:
      - 2
      - 0
    .max_flat_workgroup_size: 256
    .name:           _ZN7rocprim17ROCPRIM_400000_NS6detail17trampoline_kernelINS0_14default_configENS1_27lower_bound_config_selectorIxN6thrust23THRUST_200600_302600_NS6detail10any_assignEEEZNS1_14transform_implILb0ES3_S9_NS7_15normal_iteratorINS6_10device_ptrIxEEEENS6_16discard_iteratorINS6_11use_defaultEEEZNS1_13binary_searchIS3_S9_SE_SE_SH_NS1_21lower_bound_search_opENS7_16wrapped_functionINS0_4lessIvEEbEEEE10hipError_tPvRmT1_T2_T3_mmT4_T5_P12ihipStream_tbEUlRKxE_EESO_SS_ST_mSU_SX_bEUlT_E_NS1_11comp_targetILNS1_3genE2ELNS1_11target_archE906ELNS1_3gpuE6ELNS1_3repE0EEENS1_30default_config_static_selectorELNS0_4arch9wavefront6targetE0EEEvSR_
    .private_segment_fixed_size: 0
    .sgpr_count:     0
    .sgpr_spill_count: 0
    .symbol:         _ZN7rocprim17ROCPRIM_400000_NS6detail17trampoline_kernelINS0_14default_configENS1_27lower_bound_config_selectorIxN6thrust23THRUST_200600_302600_NS6detail10any_assignEEEZNS1_14transform_implILb0ES3_S9_NS7_15normal_iteratorINS6_10device_ptrIxEEEENS6_16discard_iteratorINS6_11use_defaultEEEZNS1_13binary_searchIS3_S9_SE_SE_SH_NS1_21lower_bound_search_opENS7_16wrapped_functionINS0_4lessIvEEbEEEE10hipError_tPvRmT1_T2_T3_mmT4_T5_P12ihipStream_tbEUlRKxE_EESO_SS_ST_mSU_SX_bEUlT_E_NS1_11comp_targetILNS1_3genE2ELNS1_11target_archE906ELNS1_3gpuE6ELNS1_3repE0EEENS1_30default_config_static_selectorELNS0_4arch9wavefront6targetE0EEEvSR_.kd
    .uniform_work_group_size: 1
    .uses_dynamic_stack: false
    .vgpr_count:     0
    .vgpr_spill_count: 0
    .wavefront_size: 32
    .workgroup_processor_mode: 1
  - .args:
      - .offset:         0
        .size:           64
        .value_kind:     by_value
    .group_segment_fixed_size: 0
    .kernarg_segment_align: 8
    .kernarg_segment_size: 64
    .language:       OpenCL C
    .language_version:
      - 2
      - 0
    .max_flat_workgroup_size: 256
    .name:           _ZN7rocprim17ROCPRIM_400000_NS6detail17trampoline_kernelINS0_14default_configENS1_27lower_bound_config_selectorIxN6thrust23THRUST_200600_302600_NS6detail10any_assignEEEZNS1_14transform_implILb0ES3_S9_NS7_15normal_iteratorINS6_10device_ptrIxEEEENS6_16discard_iteratorINS6_11use_defaultEEEZNS1_13binary_searchIS3_S9_SE_SE_SH_NS1_21lower_bound_search_opENS7_16wrapped_functionINS0_4lessIvEEbEEEE10hipError_tPvRmT1_T2_T3_mmT4_T5_P12ihipStream_tbEUlRKxE_EESO_SS_ST_mSU_SX_bEUlT_E_NS1_11comp_targetILNS1_3genE10ELNS1_11target_archE1201ELNS1_3gpuE5ELNS1_3repE0EEENS1_30default_config_static_selectorELNS0_4arch9wavefront6targetE0EEEvSR_
    .private_segment_fixed_size: 0
    .sgpr_count:     0
    .sgpr_spill_count: 0
    .symbol:         _ZN7rocprim17ROCPRIM_400000_NS6detail17trampoline_kernelINS0_14default_configENS1_27lower_bound_config_selectorIxN6thrust23THRUST_200600_302600_NS6detail10any_assignEEEZNS1_14transform_implILb0ES3_S9_NS7_15normal_iteratorINS6_10device_ptrIxEEEENS6_16discard_iteratorINS6_11use_defaultEEEZNS1_13binary_searchIS3_S9_SE_SE_SH_NS1_21lower_bound_search_opENS7_16wrapped_functionINS0_4lessIvEEbEEEE10hipError_tPvRmT1_T2_T3_mmT4_T5_P12ihipStream_tbEUlRKxE_EESO_SS_ST_mSU_SX_bEUlT_E_NS1_11comp_targetILNS1_3genE10ELNS1_11target_archE1201ELNS1_3gpuE5ELNS1_3repE0EEENS1_30default_config_static_selectorELNS0_4arch9wavefront6targetE0EEEvSR_.kd
    .uniform_work_group_size: 1
    .uses_dynamic_stack: false
    .vgpr_count:     0
    .vgpr_spill_count: 0
    .wavefront_size: 32
    .workgroup_processor_mode: 1
  - .args:
      - .offset:         0
        .size:           64
        .value_kind:     by_value
    .group_segment_fixed_size: 0
    .kernarg_segment_align: 8
    .kernarg_segment_size: 64
    .language:       OpenCL C
    .language_version:
      - 2
      - 0
    .max_flat_workgroup_size: 128
    .name:           _ZN7rocprim17ROCPRIM_400000_NS6detail17trampoline_kernelINS0_14default_configENS1_27lower_bound_config_selectorIxN6thrust23THRUST_200600_302600_NS6detail10any_assignEEEZNS1_14transform_implILb0ES3_S9_NS7_15normal_iteratorINS6_10device_ptrIxEEEENS6_16discard_iteratorINS6_11use_defaultEEEZNS1_13binary_searchIS3_S9_SE_SE_SH_NS1_21lower_bound_search_opENS7_16wrapped_functionINS0_4lessIvEEbEEEE10hipError_tPvRmT1_T2_T3_mmT4_T5_P12ihipStream_tbEUlRKxE_EESO_SS_ST_mSU_SX_bEUlT_E_NS1_11comp_targetILNS1_3genE10ELNS1_11target_archE1200ELNS1_3gpuE4ELNS1_3repE0EEENS1_30default_config_static_selectorELNS0_4arch9wavefront6targetE0EEEvSR_
    .private_segment_fixed_size: 0
    .sgpr_count:     0
    .sgpr_spill_count: 0
    .symbol:         _ZN7rocprim17ROCPRIM_400000_NS6detail17trampoline_kernelINS0_14default_configENS1_27lower_bound_config_selectorIxN6thrust23THRUST_200600_302600_NS6detail10any_assignEEEZNS1_14transform_implILb0ES3_S9_NS7_15normal_iteratorINS6_10device_ptrIxEEEENS6_16discard_iteratorINS6_11use_defaultEEEZNS1_13binary_searchIS3_S9_SE_SE_SH_NS1_21lower_bound_search_opENS7_16wrapped_functionINS0_4lessIvEEbEEEE10hipError_tPvRmT1_T2_T3_mmT4_T5_P12ihipStream_tbEUlRKxE_EESO_SS_ST_mSU_SX_bEUlT_E_NS1_11comp_targetILNS1_3genE10ELNS1_11target_archE1200ELNS1_3gpuE4ELNS1_3repE0EEENS1_30default_config_static_selectorELNS0_4arch9wavefront6targetE0EEEvSR_.kd
    .uniform_work_group_size: 1
    .uses_dynamic_stack: false
    .vgpr_count:     0
    .vgpr_spill_count: 0
    .wavefront_size: 32
    .workgroup_processor_mode: 1
  - .args:
      - .offset:         0
        .size:           64
        .value_kind:     by_value
    .group_segment_fixed_size: 0
    .kernarg_segment_align: 8
    .kernarg_segment_size: 64
    .language:       OpenCL C
    .language_version:
      - 2
      - 0
    .max_flat_workgroup_size: 64
    .name:           _ZN7rocprim17ROCPRIM_400000_NS6detail17trampoline_kernelINS0_14default_configENS1_27lower_bound_config_selectorIxN6thrust23THRUST_200600_302600_NS6detail10any_assignEEEZNS1_14transform_implILb0ES3_S9_NS7_15normal_iteratorINS6_10device_ptrIxEEEENS6_16discard_iteratorINS6_11use_defaultEEEZNS1_13binary_searchIS3_S9_SE_SE_SH_NS1_21lower_bound_search_opENS7_16wrapped_functionINS0_4lessIvEEbEEEE10hipError_tPvRmT1_T2_T3_mmT4_T5_P12ihipStream_tbEUlRKxE_EESO_SS_ST_mSU_SX_bEUlT_E_NS1_11comp_targetILNS1_3genE9ELNS1_11target_archE1100ELNS1_3gpuE3ELNS1_3repE0EEENS1_30default_config_static_selectorELNS0_4arch9wavefront6targetE0EEEvSR_
    .private_segment_fixed_size: 0
    .sgpr_count:     0
    .sgpr_spill_count: 0
    .symbol:         _ZN7rocprim17ROCPRIM_400000_NS6detail17trampoline_kernelINS0_14default_configENS1_27lower_bound_config_selectorIxN6thrust23THRUST_200600_302600_NS6detail10any_assignEEEZNS1_14transform_implILb0ES3_S9_NS7_15normal_iteratorINS6_10device_ptrIxEEEENS6_16discard_iteratorINS6_11use_defaultEEEZNS1_13binary_searchIS3_S9_SE_SE_SH_NS1_21lower_bound_search_opENS7_16wrapped_functionINS0_4lessIvEEbEEEE10hipError_tPvRmT1_T2_T3_mmT4_T5_P12ihipStream_tbEUlRKxE_EESO_SS_ST_mSU_SX_bEUlT_E_NS1_11comp_targetILNS1_3genE9ELNS1_11target_archE1100ELNS1_3gpuE3ELNS1_3repE0EEENS1_30default_config_static_selectorELNS0_4arch9wavefront6targetE0EEEvSR_.kd
    .uniform_work_group_size: 1
    .uses_dynamic_stack: false
    .vgpr_count:     0
    .vgpr_spill_count: 0
    .wavefront_size: 32
    .workgroup_processor_mode: 1
  - .args:
      - .offset:         0
        .size:           64
        .value_kind:     by_value
    .group_segment_fixed_size: 0
    .kernarg_segment_align: 8
    .kernarg_segment_size: 64
    .language:       OpenCL C
    .language_version:
      - 2
      - 0
    .max_flat_workgroup_size: 256
    .name:           _ZN7rocprim17ROCPRIM_400000_NS6detail17trampoline_kernelINS0_14default_configENS1_27lower_bound_config_selectorIxN6thrust23THRUST_200600_302600_NS6detail10any_assignEEEZNS1_14transform_implILb0ES3_S9_NS7_15normal_iteratorINS6_10device_ptrIxEEEENS6_16discard_iteratorINS6_11use_defaultEEEZNS1_13binary_searchIS3_S9_SE_SE_SH_NS1_21lower_bound_search_opENS7_16wrapped_functionINS0_4lessIvEEbEEEE10hipError_tPvRmT1_T2_T3_mmT4_T5_P12ihipStream_tbEUlRKxE_EESO_SS_ST_mSU_SX_bEUlT_E_NS1_11comp_targetILNS1_3genE8ELNS1_11target_archE1030ELNS1_3gpuE2ELNS1_3repE0EEENS1_30default_config_static_selectorELNS0_4arch9wavefront6targetE0EEEvSR_
    .private_segment_fixed_size: 0
    .sgpr_count:     0
    .sgpr_spill_count: 0
    .symbol:         _ZN7rocprim17ROCPRIM_400000_NS6detail17trampoline_kernelINS0_14default_configENS1_27lower_bound_config_selectorIxN6thrust23THRUST_200600_302600_NS6detail10any_assignEEEZNS1_14transform_implILb0ES3_S9_NS7_15normal_iteratorINS6_10device_ptrIxEEEENS6_16discard_iteratorINS6_11use_defaultEEEZNS1_13binary_searchIS3_S9_SE_SE_SH_NS1_21lower_bound_search_opENS7_16wrapped_functionINS0_4lessIvEEbEEEE10hipError_tPvRmT1_T2_T3_mmT4_T5_P12ihipStream_tbEUlRKxE_EESO_SS_ST_mSU_SX_bEUlT_E_NS1_11comp_targetILNS1_3genE8ELNS1_11target_archE1030ELNS1_3gpuE2ELNS1_3repE0EEENS1_30default_config_static_selectorELNS0_4arch9wavefront6targetE0EEEvSR_.kd
    .uniform_work_group_size: 1
    .uses_dynamic_stack: false
    .vgpr_count:     0
    .vgpr_spill_count: 0
    .wavefront_size: 32
    .workgroup_processor_mode: 1
  - .args:
      - .offset:         0
        .size:           64
        .value_kind:     by_value
    .group_segment_fixed_size: 0
    .kernarg_segment_align: 8
    .kernarg_segment_size: 64
    .language:       OpenCL C
    .language_version:
      - 2
      - 0
    .max_flat_workgroup_size: 256
    .name:           _ZN7rocprim17ROCPRIM_400000_NS6detail17trampoline_kernelINS0_14default_configENS1_27lower_bound_config_selectorIiN6thrust23THRUST_200600_302600_NS6detail10any_assignEEEZNS1_14transform_implILb0ES3_S9_NS7_15normal_iteratorINS6_10device_ptrIiEEEENS6_16discard_iteratorINS6_11use_defaultEEEZNS1_13binary_searchIS3_S9_SE_SE_SH_NS1_21lower_bound_search_opENS7_16wrapped_functionINS0_4lessIvEEbEEEE10hipError_tPvRmT1_T2_T3_mmT4_T5_P12ihipStream_tbEUlRKiE_EESO_SS_ST_mSU_SX_bEUlT_E_NS1_11comp_targetILNS1_3genE0ELNS1_11target_archE4294967295ELNS1_3gpuE0ELNS1_3repE0EEENS1_30default_config_static_selectorELNS0_4arch9wavefront6targetE0EEEvSR_
    .private_segment_fixed_size: 0
    .sgpr_count:     0
    .sgpr_spill_count: 0
    .symbol:         _ZN7rocprim17ROCPRIM_400000_NS6detail17trampoline_kernelINS0_14default_configENS1_27lower_bound_config_selectorIiN6thrust23THRUST_200600_302600_NS6detail10any_assignEEEZNS1_14transform_implILb0ES3_S9_NS7_15normal_iteratorINS6_10device_ptrIiEEEENS6_16discard_iteratorINS6_11use_defaultEEEZNS1_13binary_searchIS3_S9_SE_SE_SH_NS1_21lower_bound_search_opENS7_16wrapped_functionINS0_4lessIvEEbEEEE10hipError_tPvRmT1_T2_T3_mmT4_T5_P12ihipStream_tbEUlRKiE_EESO_SS_ST_mSU_SX_bEUlT_E_NS1_11comp_targetILNS1_3genE0ELNS1_11target_archE4294967295ELNS1_3gpuE0ELNS1_3repE0EEENS1_30default_config_static_selectorELNS0_4arch9wavefront6targetE0EEEvSR_.kd
    .uniform_work_group_size: 1
    .uses_dynamic_stack: false
    .vgpr_count:     0
    .vgpr_spill_count: 0
    .wavefront_size: 32
    .workgroup_processor_mode: 1
  - .args:
      - .offset:         0
        .size:           64
        .value_kind:     by_value
    .group_segment_fixed_size: 0
    .kernarg_segment_align: 8
    .kernarg_segment_size: 64
    .language:       OpenCL C
    .language_version:
      - 2
      - 0
    .max_flat_workgroup_size: 128
    .name:           _ZN7rocprim17ROCPRIM_400000_NS6detail17trampoline_kernelINS0_14default_configENS1_27lower_bound_config_selectorIiN6thrust23THRUST_200600_302600_NS6detail10any_assignEEEZNS1_14transform_implILb0ES3_S9_NS7_15normal_iteratorINS6_10device_ptrIiEEEENS6_16discard_iteratorINS6_11use_defaultEEEZNS1_13binary_searchIS3_S9_SE_SE_SH_NS1_21lower_bound_search_opENS7_16wrapped_functionINS0_4lessIvEEbEEEE10hipError_tPvRmT1_T2_T3_mmT4_T5_P12ihipStream_tbEUlRKiE_EESO_SS_ST_mSU_SX_bEUlT_E_NS1_11comp_targetILNS1_3genE5ELNS1_11target_archE942ELNS1_3gpuE9ELNS1_3repE0EEENS1_30default_config_static_selectorELNS0_4arch9wavefront6targetE0EEEvSR_
    .private_segment_fixed_size: 0
    .sgpr_count:     0
    .sgpr_spill_count: 0
    .symbol:         _ZN7rocprim17ROCPRIM_400000_NS6detail17trampoline_kernelINS0_14default_configENS1_27lower_bound_config_selectorIiN6thrust23THRUST_200600_302600_NS6detail10any_assignEEEZNS1_14transform_implILb0ES3_S9_NS7_15normal_iteratorINS6_10device_ptrIiEEEENS6_16discard_iteratorINS6_11use_defaultEEEZNS1_13binary_searchIS3_S9_SE_SE_SH_NS1_21lower_bound_search_opENS7_16wrapped_functionINS0_4lessIvEEbEEEE10hipError_tPvRmT1_T2_T3_mmT4_T5_P12ihipStream_tbEUlRKiE_EESO_SS_ST_mSU_SX_bEUlT_E_NS1_11comp_targetILNS1_3genE5ELNS1_11target_archE942ELNS1_3gpuE9ELNS1_3repE0EEENS1_30default_config_static_selectorELNS0_4arch9wavefront6targetE0EEEvSR_.kd
    .uniform_work_group_size: 1
    .uses_dynamic_stack: false
    .vgpr_count:     0
    .vgpr_spill_count: 0
    .wavefront_size: 32
    .workgroup_processor_mode: 1
  - .args:
      - .offset:         0
        .size:           64
        .value_kind:     by_value
    .group_segment_fixed_size: 0
    .kernarg_segment_align: 8
    .kernarg_segment_size: 64
    .language:       OpenCL C
    .language_version:
      - 2
      - 0
    .max_flat_workgroup_size: 256
    .name:           _ZN7rocprim17ROCPRIM_400000_NS6detail17trampoline_kernelINS0_14default_configENS1_27lower_bound_config_selectorIiN6thrust23THRUST_200600_302600_NS6detail10any_assignEEEZNS1_14transform_implILb0ES3_S9_NS7_15normal_iteratorINS6_10device_ptrIiEEEENS6_16discard_iteratorINS6_11use_defaultEEEZNS1_13binary_searchIS3_S9_SE_SE_SH_NS1_21lower_bound_search_opENS7_16wrapped_functionINS0_4lessIvEEbEEEE10hipError_tPvRmT1_T2_T3_mmT4_T5_P12ihipStream_tbEUlRKiE_EESO_SS_ST_mSU_SX_bEUlT_E_NS1_11comp_targetILNS1_3genE4ELNS1_11target_archE910ELNS1_3gpuE8ELNS1_3repE0EEENS1_30default_config_static_selectorELNS0_4arch9wavefront6targetE0EEEvSR_
    .private_segment_fixed_size: 0
    .sgpr_count:     0
    .sgpr_spill_count: 0
    .symbol:         _ZN7rocprim17ROCPRIM_400000_NS6detail17trampoline_kernelINS0_14default_configENS1_27lower_bound_config_selectorIiN6thrust23THRUST_200600_302600_NS6detail10any_assignEEEZNS1_14transform_implILb0ES3_S9_NS7_15normal_iteratorINS6_10device_ptrIiEEEENS6_16discard_iteratorINS6_11use_defaultEEEZNS1_13binary_searchIS3_S9_SE_SE_SH_NS1_21lower_bound_search_opENS7_16wrapped_functionINS0_4lessIvEEbEEEE10hipError_tPvRmT1_T2_T3_mmT4_T5_P12ihipStream_tbEUlRKiE_EESO_SS_ST_mSU_SX_bEUlT_E_NS1_11comp_targetILNS1_3genE4ELNS1_11target_archE910ELNS1_3gpuE8ELNS1_3repE0EEENS1_30default_config_static_selectorELNS0_4arch9wavefront6targetE0EEEvSR_.kd
    .uniform_work_group_size: 1
    .uses_dynamic_stack: false
    .vgpr_count:     0
    .vgpr_spill_count: 0
    .wavefront_size: 32
    .workgroup_processor_mode: 1
  - .args:
      - .offset:         0
        .size:           64
        .value_kind:     by_value
    .group_segment_fixed_size: 0
    .kernarg_segment_align: 8
    .kernarg_segment_size: 64
    .language:       OpenCL C
    .language_version:
      - 2
      - 0
    .max_flat_workgroup_size: 256
    .name:           _ZN7rocprim17ROCPRIM_400000_NS6detail17trampoline_kernelINS0_14default_configENS1_27lower_bound_config_selectorIiN6thrust23THRUST_200600_302600_NS6detail10any_assignEEEZNS1_14transform_implILb0ES3_S9_NS7_15normal_iteratorINS6_10device_ptrIiEEEENS6_16discard_iteratorINS6_11use_defaultEEEZNS1_13binary_searchIS3_S9_SE_SE_SH_NS1_21lower_bound_search_opENS7_16wrapped_functionINS0_4lessIvEEbEEEE10hipError_tPvRmT1_T2_T3_mmT4_T5_P12ihipStream_tbEUlRKiE_EESO_SS_ST_mSU_SX_bEUlT_E_NS1_11comp_targetILNS1_3genE3ELNS1_11target_archE908ELNS1_3gpuE7ELNS1_3repE0EEENS1_30default_config_static_selectorELNS0_4arch9wavefront6targetE0EEEvSR_
    .private_segment_fixed_size: 0
    .sgpr_count:     0
    .sgpr_spill_count: 0
    .symbol:         _ZN7rocprim17ROCPRIM_400000_NS6detail17trampoline_kernelINS0_14default_configENS1_27lower_bound_config_selectorIiN6thrust23THRUST_200600_302600_NS6detail10any_assignEEEZNS1_14transform_implILb0ES3_S9_NS7_15normal_iteratorINS6_10device_ptrIiEEEENS6_16discard_iteratorINS6_11use_defaultEEEZNS1_13binary_searchIS3_S9_SE_SE_SH_NS1_21lower_bound_search_opENS7_16wrapped_functionINS0_4lessIvEEbEEEE10hipError_tPvRmT1_T2_T3_mmT4_T5_P12ihipStream_tbEUlRKiE_EESO_SS_ST_mSU_SX_bEUlT_E_NS1_11comp_targetILNS1_3genE3ELNS1_11target_archE908ELNS1_3gpuE7ELNS1_3repE0EEENS1_30default_config_static_selectorELNS0_4arch9wavefront6targetE0EEEvSR_.kd
    .uniform_work_group_size: 1
    .uses_dynamic_stack: false
    .vgpr_count:     0
    .vgpr_spill_count: 0
    .wavefront_size: 32
    .workgroup_processor_mode: 1
  - .args:
      - .offset:         0
        .size:           64
        .value_kind:     by_value
    .group_segment_fixed_size: 0
    .kernarg_segment_align: 8
    .kernarg_segment_size: 64
    .language:       OpenCL C
    .language_version:
      - 2
      - 0
    .max_flat_workgroup_size: 256
    .name:           _ZN7rocprim17ROCPRIM_400000_NS6detail17trampoline_kernelINS0_14default_configENS1_27lower_bound_config_selectorIiN6thrust23THRUST_200600_302600_NS6detail10any_assignEEEZNS1_14transform_implILb0ES3_S9_NS7_15normal_iteratorINS6_10device_ptrIiEEEENS6_16discard_iteratorINS6_11use_defaultEEEZNS1_13binary_searchIS3_S9_SE_SE_SH_NS1_21lower_bound_search_opENS7_16wrapped_functionINS0_4lessIvEEbEEEE10hipError_tPvRmT1_T2_T3_mmT4_T5_P12ihipStream_tbEUlRKiE_EESO_SS_ST_mSU_SX_bEUlT_E_NS1_11comp_targetILNS1_3genE2ELNS1_11target_archE906ELNS1_3gpuE6ELNS1_3repE0EEENS1_30default_config_static_selectorELNS0_4arch9wavefront6targetE0EEEvSR_
    .private_segment_fixed_size: 0
    .sgpr_count:     0
    .sgpr_spill_count: 0
    .symbol:         _ZN7rocprim17ROCPRIM_400000_NS6detail17trampoline_kernelINS0_14default_configENS1_27lower_bound_config_selectorIiN6thrust23THRUST_200600_302600_NS6detail10any_assignEEEZNS1_14transform_implILb0ES3_S9_NS7_15normal_iteratorINS6_10device_ptrIiEEEENS6_16discard_iteratorINS6_11use_defaultEEEZNS1_13binary_searchIS3_S9_SE_SE_SH_NS1_21lower_bound_search_opENS7_16wrapped_functionINS0_4lessIvEEbEEEE10hipError_tPvRmT1_T2_T3_mmT4_T5_P12ihipStream_tbEUlRKiE_EESO_SS_ST_mSU_SX_bEUlT_E_NS1_11comp_targetILNS1_3genE2ELNS1_11target_archE906ELNS1_3gpuE6ELNS1_3repE0EEENS1_30default_config_static_selectorELNS0_4arch9wavefront6targetE0EEEvSR_.kd
    .uniform_work_group_size: 1
    .uses_dynamic_stack: false
    .vgpr_count:     0
    .vgpr_spill_count: 0
    .wavefront_size: 32
    .workgroup_processor_mode: 1
  - .args:
      - .offset:         0
        .size:           64
        .value_kind:     by_value
    .group_segment_fixed_size: 0
    .kernarg_segment_align: 8
    .kernarg_segment_size: 64
    .language:       OpenCL C
    .language_version:
      - 2
      - 0
    .max_flat_workgroup_size: 128
    .name:           _ZN7rocprim17ROCPRIM_400000_NS6detail17trampoline_kernelINS0_14default_configENS1_27lower_bound_config_selectorIiN6thrust23THRUST_200600_302600_NS6detail10any_assignEEEZNS1_14transform_implILb0ES3_S9_NS7_15normal_iteratorINS6_10device_ptrIiEEEENS6_16discard_iteratorINS6_11use_defaultEEEZNS1_13binary_searchIS3_S9_SE_SE_SH_NS1_21lower_bound_search_opENS7_16wrapped_functionINS0_4lessIvEEbEEEE10hipError_tPvRmT1_T2_T3_mmT4_T5_P12ihipStream_tbEUlRKiE_EESO_SS_ST_mSU_SX_bEUlT_E_NS1_11comp_targetILNS1_3genE10ELNS1_11target_archE1201ELNS1_3gpuE5ELNS1_3repE0EEENS1_30default_config_static_selectorELNS0_4arch9wavefront6targetE0EEEvSR_
    .private_segment_fixed_size: 0
    .sgpr_count:     0
    .sgpr_spill_count: 0
    .symbol:         _ZN7rocprim17ROCPRIM_400000_NS6detail17trampoline_kernelINS0_14default_configENS1_27lower_bound_config_selectorIiN6thrust23THRUST_200600_302600_NS6detail10any_assignEEEZNS1_14transform_implILb0ES3_S9_NS7_15normal_iteratorINS6_10device_ptrIiEEEENS6_16discard_iteratorINS6_11use_defaultEEEZNS1_13binary_searchIS3_S9_SE_SE_SH_NS1_21lower_bound_search_opENS7_16wrapped_functionINS0_4lessIvEEbEEEE10hipError_tPvRmT1_T2_T3_mmT4_T5_P12ihipStream_tbEUlRKiE_EESO_SS_ST_mSU_SX_bEUlT_E_NS1_11comp_targetILNS1_3genE10ELNS1_11target_archE1201ELNS1_3gpuE5ELNS1_3repE0EEENS1_30default_config_static_selectorELNS0_4arch9wavefront6targetE0EEEvSR_.kd
    .uniform_work_group_size: 1
    .uses_dynamic_stack: false
    .vgpr_count:     0
    .vgpr_spill_count: 0
    .wavefront_size: 32
    .workgroup_processor_mode: 1
  - .args:
      - .offset:         0
        .size:           64
        .value_kind:     by_value
    .group_segment_fixed_size: 0
    .kernarg_segment_align: 8
    .kernarg_segment_size: 64
    .language:       OpenCL C
    .language_version:
      - 2
      - 0
    .max_flat_workgroup_size: 128
    .name:           _ZN7rocprim17ROCPRIM_400000_NS6detail17trampoline_kernelINS0_14default_configENS1_27lower_bound_config_selectorIiN6thrust23THRUST_200600_302600_NS6detail10any_assignEEEZNS1_14transform_implILb0ES3_S9_NS7_15normal_iteratorINS6_10device_ptrIiEEEENS6_16discard_iteratorINS6_11use_defaultEEEZNS1_13binary_searchIS3_S9_SE_SE_SH_NS1_21lower_bound_search_opENS7_16wrapped_functionINS0_4lessIvEEbEEEE10hipError_tPvRmT1_T2_T3_mmT4_T5_P12ihipStream_tbEUlRKiE_EESO_SS_ST_mSU_SX_bEUlT_E_NS1_11comp_targetILNS1_3genE10ELNS1_11target_archE1200ELNS1_3gpuE4ELNS1_3repE0EEENS1_30default_config_static_selectorELNS0_4arch9wavefront6targetE0EEEvSR_
    .private_segment_fixed_size: 0
    .sgpr_count:     0
    .sgpr_spill_count: 0
    .symbol:         _ZN7rocprim17ROCPRIM_400000_NS6detail17trampoline_kernelINS0_14default_configENS1_27lower_bound_config_selectorIiN6thrust23THRUST_200600_302600_NS6detail10any_assignEEEZNS1_14transform_implILb0ES3_S9_NS7_15normal_iteratorINS6_10device_ptrIiEEEENS6_16discard_iteratorINS6_11use_defaultEEEZNS1_13binary_searchIS3_S9_SE_SE_SH_NS1_21lower_bound_search_opENS7_16wrapped_functionINS0_4lessIvEEbEEEE10hipError_tPvRmT1_T2_T3_mmT4_T5_P12ihipStream_tbEUlRKiE_EESO_SS_ST_mSU_SX_bEUlT_E_NS1_11comp_targetILNS1_3genE10ELNS1_11target_archE1200ELNS1_3gpuE4ELNS1_3repE0EEENS1_30default_config_static_selectorELNS0_4arch9wavefront6targetE0EEEvSR_.kd
    .uniform_work_group_size: 1
    .uses_dynamic_stack: false
    .vgpr_count:     0
    .vgpr_spill_count: 0
    .wavefront_size: 32
    .workgroup_processor_mode: 1
  - .args:
      - .offset:         0
        .size:           64
        .value_kind:     by_value
    .group_segment_fixed_size: 0
    .kernarg_segment_align: 8
    .kernarg_segment_size: 64
    .language:       OpenCL C
    .language_version:
      - 2
      - 0
    .max_flat_workgroup_size: 128
    .name:           _ZN7rocprim17ROCPRIM_400000_NS6detail17trampoline_kernelINS0_14default_configENS1_27lower_bound_config_selectorIiN6thrust23THRUST_200600_302600_NS6detail10any_assignEEEZNS1_14transform_implILb0ES3_S9_NS7_15normal_iteratorINS6_10device_ptrIiEEEENS6_16discard_iteratorINS6_11use_defaultEEEZNS1_13binary_searchIS3_S9_SE_SE_SH_NS1_21lower_bound_search_opENS7_16wrapped_functionINS0_4lessIvEEbEEEE10hipError_tPvRmT1_T2_T3_mmT4_T5_P12ihipStream_tbEUlRKiE_EESO_SS_ST_mSU_SX_bEUlT_E_NS1_11comp_targetILNS1_3genE9ELNS1_11target_archE1100ELNS1_3gpuE3ELNS1_3repE0EEENS1_30default_config_static_selectorELNS0_4arch9wavefront6targetE0EEEvSR_
    .private_segment_fixed_size: 0
    .sgpr_count:     0
    .sgpr_spill_count: 0
    .symbol:         _ZN7rocprim17ROCPRIM_400000_NS6detail17trampoline_kernelINS0_14default_configENS1_27lower_bound_config_selectorIiN6thrust23THRUST_200600_302600_NS6detail10any_assignEEEZNS1_14transform_implILb0ES3_S9_NS7_15normal_iteratorINS6_10device_ptrIiEEEENS6_16discard_iteratorINS6_11use_defaultEEEZNS1_13binary_searchIS3_S9_SE_SE_SH_NS1_21lower_bound_search_opENS7_16wrapped_functionINS0_4lessIvEEbEEEE10hipError_tPvRmT1_T2_T3_mmT4_T5_P12ihipStream_tbEUlRKiE_EESO_SS_ST_mSU_SX_bEUlT_E_NS1_11comp_targetILNS1_3genE9ELNS1_11target_archE1100ELNS1_3gpuE3ELNS1_3repE0EEENS1_30default_config_static_selectorELNS0_4arch9wavefront6targetE0EEEvSR_.kd
    .uniform_work_group_size: 1
    .uses_dynamic_stack: false
    .vgpr_count:     0
    .vgpr_spill_count: 0
    .wavefront_size: 32
    .workgroup_processor_mode: 1
  - .args:
      - .offset:         0
        .size:           64
        .value_kind:     by_value
    .group_segment_fixed_size: 0
    .kernarg_segment_align: 8
    .kernarg_segment_size: 64
    .language:       OpenCL C
    .language_version:
      - 2
      - 0
    .max_flat_workgroup_size: 256
    .name:           _ZN7rocprim17ROCPRIM_400000_NS6detail17trampoline_kernelINS0_14default_configENS1_27lower_bound_config_selectorIiN6thrust23THRUST_200600_302600_NS6detail10any_assignEEEZNS1_14transform_implILb0ES3_S9_NS7_15normal_iteratorINS6_10device_ptrIiEEEENS6_16discard_iteratorINS6_11use_defaultEEEZNS1_13binary_searchIS3_S9_SE_SE_SH_NS1_21lower_bound_search_opENS7_16wrapped_functionINS0_4lessIvEEbEEEE10hipError_tPvRmT1_T2_T3_mmT4_T5_P12ihipStream_tbEUlRKiE_EESO_SS_ST_mSU_SX_bEUlT_E_NS1_11comp_targetILNS1_3genE8ELNS1_11target_archE1030ELNS1_3gpuE2ELNS1_3repE0EEENS1_30default_config_static_selectorELNS0_4arch9wavefront6targetE0EEEvSR_
    .private_segment_fixed_size: 0
    .sgpr_count:     0
    .sgpr_spill_count: 0
    .symbol:         _ZN7rocprim17ROCPRIM_400000_NS6detail17trampoline_kernelINS0_14default_configENS1_27lower_bound_config_selectorIiN6thrust23THRUST_200600_302600_NS6detail10any_assignEEEZNS1_14transform_implILb0ES3_S9_NS7_15normal_iteratorINS6_10device_ptrIiEEEENS6_16discard_iteratorINS6_11use_defaultEEEZNS1_13binary_searchIS3_S9_SE_SE_SH_NS1_21lower_bound_search_opENS7_16wrapped_functionINS0_4lessIvEEbEEEE10hipError_tPvRmT1_T2_T3_mmT4_T5_P12ihipStream_tbEUlRKiE_EESO_SS_ST_mSU_SX_bEUlT_E_NS1_11comp_targetILNS1_3genE8ELNS1_11target_archE1030ELNS1_3gpuE2ELNS1_3repE0EEENS1_30default_config_static_selectorELNS0_4arch9wavefront6targetE0EEEvSR_.kd
    .uniform_work_group_size: 1
    .uses_dynamic_stack: false
    .vgpr_count:     0
    .vgpr_spill_count: 0
    .wavefront_size: 32
    .workgroup_processor_mode: 1
  - .args:
      - .offset:         0
        .size:           64
        .value_kind:     by_value
    .group_segment_fixed_size: 0
    .kernarg_segment_align: 8
    .kernarg_segment_size: 64
    .language:       OpenCL C
    .language_version:
      - 2
      - 0
    .max_flat_workgroup_size: 256
    .name:           _ZN7rocprim17ROCPRIM_400000_NS6detail17trampoline_kernelINS0_14default_configENS1_27lower_bound_config_selectorIsN6thrust23THRUST_200600_302600_NS6detail10any_assignEEEZNS1_14transform_implILb0ES3_S9_NS7_15normal_iteratorINS6_10device_ptrIsEEEENS6_16discard_iteratorINS6_11use_defaultEEEZNS1_13binary_searchIS3_S9_SE_SE_SH_NS1_21lower_bound_search_opENS7_16wrapped_functionINS0_4lessIvEEbEEEE10hipError_tPvRmT1_T2_T3_mmT4_T5_P12ihipStream_tbEUlRKsE_EESO_SS_ST_mSU_SX_bEUlT_E_NS1_11comp_targetILNS1_3genE0ELNS1_11target_archE4294967295ELNS1_3gpuE0ELNS1_3repE0EEENS1_30default_config_static_selectorELNS0_4arch9wavefront6targetE0EEEvSR_
    .private_segment_fixed_size: 0
    .sgpr_count:     0
    .sgpr_spill_count: 0
    .symbol:         _ZN7rocprim17ROCPRIM_400000_NS6detail17trampoline_kernelINS0_14default_configENS1_27lower_bound_config_selectorIsN6thrust23THRUST_200600_302600_NS6detail10any_assignEEEZNS1_14transform_implILb0ES3_S9_NS7_15normal_iteratorINS6_10device_ptrIsEEEENS6_16discard_iteratorINS6_11use_defaultEEEZNS1_13binary_searchIS3_S9_SE_SE_SH_NS1_21lower_bound_search_opENS7_16wrapped_functionINS0_4lessIvEEbEEEE10hipError_tPvRmT1_T2_T3_mmT4_T5_P12ihipStream_tbEUlRKsE_EESO_SS_ST_mSU_SX_bEUlT_E_NS1_11comp_targetILNS1_3genE0ELNS1_11target_archE4294967295ELNS1_3gpuE0ELNS1_3repE0EEENS1_30default_config_static_selectorELNS0_4arch9wavefront6targetE0EEEvSR_.kd
    .uniform_work_group_size: 1
    .uses_dynamic_stack: false
    .vgpr_count:     0
    .vgpr_spill_count: 0
    .wavefront_size: 32
    .workgroup_processor_mode: 1
  - .args:
      - .offset:         0
        .size:           64
        .value_kind:     by_value
    .group_segment_fixed_size: 0
    .kernarg_segment_align: 8
    .kernarg_segment_size: 64
    .language:       OpenCL C
    .language_version:
      - 2
      - 0
    .max_flat_workgroup_size: 256
    .name:           _ZN7rocprim17ROCPRIM_400000_NS6detail17trampoline_kernelINS0_14default_configENS1_27lower_bound_config_selectorIsN6thrust23THRUST_200600_302600_NS6detail10any_assignEEEZNS1_14transform_implILb0ES3_S9_NS7_15normal_iteratorINS6_10device_ptrIsEEEENS6_16discard_iteratorINS6_11use_defaultEEEZNS1_13binary_searchIS3_S9_SE_SE_SH_NS1_21lower_bound_search_opENS7_16wrapped_functionINS0_4lessIvEEbEEEE10hipError_tPvRmT1_T2_T3_mmT4_T5_P12ihipStream_tbEUlRKsE_EESO_SS_ST_mSU_SX_bEUlT_E_NS1_11comp_targetILNS1_3genE5ELNS1_11target_archE942ELNS1_3gpuE9ELNS1_3repE0EEENS1_30default_config_static_selectorELNS0_4arch9wavefront6targetE0EEEvSR_
    .private_segment_fixed_size: 0
    .sgpr_count:     0
    .sgpr_spill_count: 0
    .symbol:         _ZN7rocprim17ROCPRIM_400000_NS6detail17trampoline_kernelINS0_14default_configENS1_27lower_bound_config_selectorIsN6thrust23THRUST_200600_302600_NS6detail10any_assignEEEZNS1_14transform_implILb0ES3_S9_NS7_15normal_iteratorINS6_10device_ptrIsEEEENS6_16discard_iteratorINS6_11use_defaultEEEZNS1_13binary_searchIS3_S9_SE_SE_SH_NS1_21lower_bound_search_opENS7_16wrapped_functionINS0_4lessIvEEbEEEE10hipError_tPvRmT1_T2_T3_mmT4_T5_P12ihipStream_tbEUlRKsE_EESO_SS_ST_mSU_SX_bEUlT_E_NS1_11comp_targetILNS1_3genE5ELNS1_11target_archE942ELNS1_3gpuE9ELNS1_3repE0EEENS1_30default_config_static_selectorELNS0_4arch9wavefront6targetE0EEEvSR_.kd
    .uniform_work_group_size: 1
    .uses_dynamic_stack: false
    .vgpr_count:     0
    .vgpr_spill_count: 0
    .wavefront_size: 32
    .workgroup_processor_mode: 1
  - .args:
      - .offset:         0
        .size:           64
        .value_kind:     by_value
    .group_segment_fixed_size: 0
    .kernarg_segment_align: 8
    .kernarg_segment_size: 64
    .language:       OpenCL C
    .language_version:
      - 2
      - 0
    .max_flat_workgroup_size: 256
    .name:           _ZN7rocprim17ROCPRIM_400000_NS6detail17trampoline_kernelINS0_14default_configENS1_27lower_bound_config_selectorIsN6thrust23THRUST_200600_302600_NS6detail10any_assignEEEZNS1_14transform_implILb0ES3_S9_NS7_15normal_iteratorINS6_10device_ptrIsEEEENS6_16discard_iteratorINS6_11use_defaultEEEZNS1_13binary_searchIS3_S9_SE_SE_SH_NS1_21lower_bound_search_opENS7_16wrapped_functionINS0_4lessIvEEbEEEE10hipError_tPvRmT1_T2_T3_mmT4_T5_P12ihipStream_tbEUlRKsE_EESO_SS_ST_mSU_SX_bEUlT_E_NS1_11comp_targetILNS1_3genE4ELNS1_11target_archE910ELNS1_3gpuE8ELNS1_3repE0EEENS1_30default_config_static_selectorELNS0_4arch9wavefront6targetE0EEEvSR_
    .private_segment_fixed_size: 0
    .sgpr_count:     0
    .sgpr_spill_count: 0
    .symbol:         _ZN7rocprim17ROCPRIM_400000_NS6detail17trampoline_kernelINS0_14default_configENS1_27lower_bound_config_selectorIsN6thrust23THRUST_200600_302600_NS6detail10any_assignEEEZNS1_14transform_implILb0ES3_S9_NS7_15normal_iteratorINS6_10device_ptrIsEEEENS6_16discard_iteratorINS6_11use_defaultEEEZNS1_13binary_searchIS3_S9_SE_SE_SH_NS1_21lower_bound_search_opENS7_16wrapped_functionINS0_4lessIvEEbEEEE10hipError_tPvRmT1_T2_T3_mmT4_T5_P12ihipStream_tbEUlRKsE_EESO_SS_ST_mSU_SX_bEUlT_E_NS1_11comp_targetILNS1_3genE4ELNS1_11target_archE910ELNS1_3gpuE8ELNS1_3repE0EEENS1_30default_config_static_selectorELNS0_4arch9wavefront6targetE0EEEvSR_.kd
    .uniform_work_group_size: 1
    .uses_dynamic_stack: false
    .vgpr_count:     0
    .vgpr_spill_count: 0
    .wavefront_size: 32
    .workgroup_processor_mode: 1
  - .args:
      - .offset:         0
        .size:           64
        .value_kind:     by_value
    .group_segment_fixed_size: 0
    .kernarg_segment_align: 8
    .kernarg_segment_size: 64
    .language:       OpenCL C
    .language_version:
      - 2
      - 0
    .max_flat_workgroup_size: 256
    .name:           _ZN7rocprim17ROCPRIM_400000_NS6detail17trampoline_kernelINS0_14default_configENS1_27lower_bound_config_selectorIsN6thrust23THRUST_200600_302600_NS6detail10any_assignEEEZNS1_14transform_implILb0ES3_S9_NS7_15normal_iteratorINS6_10device_ptrIsEEEENS6_16discard_iteratorINS6_11use_defaultEEEZNS1_13binary_searchIS3_S9_SE_SE_SH_NS1_21lower_bound_search_opENS7_16wrapped_functionINS0_4lessIvEEbEEEE10hipError_tPvRmT1_T2_T3_mmT4_T5_P12ihipStream_tbEUlRKsE_EESO_SS_ST_mSU_SX_bEUlT_E_NS1_11comp_targetILNS1_3genE3ELNS1_11target_archE908ELNS1_3gpuE7ELNS1_3repE0EEENS1_30default_config_static_selectorELNS0_4arch9wavefront6targetE0EEEvSR_
    .private_segment_fixed_size: 0
    .sgpr_count:     0
    .sgpr_spill_count: 0
    .symbol:         _ZN7rocprim17ROCPRIM_400000_NS6detail17trampoline_kernelINS0_14default_configENS1_27lower_bound_config_selectorIsN6thrust23THRUST_200600_302600_NS6detail10any_assignEEEZNS1_14transform_implILb0ES3_S9_NS7_15normal_iteratorINS6_10device_ptrIsEEEENS6_16discard_iteratorINS6_11use_defaultEEEZNS1_13binary_searchIS3_S9_SE_SE_SH_NS1_21lower_bound_search_opENS7_16wrapped_functionINS0_4lessIvEEbEEEE10hipError_tPvRmT1_T2_T3_mmT4_T5_P12ihipStream_tbEUlRKsE_EESO_SS_ST_mSU_SX_bEUlT_E_NS1_11comp_targetILNS1_3genE3ELNS1_11target_archE908ELNS1_3gpuE7ELNS1_3repE0EEENS1_30default_config_static_selectorELNS0_4arch9wavefront6targetE0EEEvSR_.kd
    .uniform_work_group_size: 1
    .uses_dynamic_stack: false
    .vgpr_count:     0
    .vgpr_spill_count: 0
    .wavefront_size: 32
    .workgroup_processor_mode: 1
  - .args:
      - .offset:         0
        .size:           64
        .value_kind:     by_value
    .group_segment_fixed_size: 0
    .kernarg_segment_align: 8
    .kernarg_segment_size: 64
    .language:       OpenCL C
    .language_version:
      - 2
      - 0
    .max_flat_workgroup_size: 256
    .name:           _ZN7rocprim17ROCPRIM_400000_NS6detail17trampoline_kernelINS0_14default_configENS1_27lower_bound_config_selectorIsN6thrust23THRUST_200600_302600_NS6detail10any_assignEEEZNS1_14transform_implILb0ES3_S9_NS7_15normal_iteratorINS6_10device_ptrIsEEEENS6_16discard_iteratorINS6_11use_defaultEEEZNS1_13binary_searchIS3_S9_SE_SE_SH_NS1_21lower_bound_search_opENS7_16wrapped_functionINS0_4lessIvEEbEEEE10hipError_tPvRmT1_T2_T3_mmT4_T5_P12ihipStream_tbEUlRKsE_EESO_SS_ST_mSU_SX_bEUlT_E_NS1_11comp_targetILNS1_3genE2ELNS1_11target_archE906ELNS1_3gpuE6ELNS1_3repE0EEENS1_30default_config_static_selectorELNS0_4arch9wavefront6targetE0EEEvSR_
    .private_segment_fixed_size: 0
    .sgpr_count:     0
    .sgpr_spill_count: 0
    .symbol:         _ZN7rocprim17ROCPRIM_400000_NS6detail17trampoline_kernelINS0_14default_configENS1_27lower_bound_config_selectorIsN6thrust23THRUST_200600_302600_NS6detail10any_assignEEEZNS1_14transform_implILb0ES3_S9_NS7_15normal_iteratorINS6_10device_ptrIsEEEENS6_16discard_iteratorINS6_11use_defaultEEEZNS1_13binary_searchIS3_S9_SE_SE_SH_NS1_21lower_bound_search_opENS7_16wrapped_functionINS0_4lessIvEEbEEEE10hipError_tPvRmT1_T2_T3_mmT4_T5_P12ihipStream_tbEUlRKsE_EESO_SS_ST_mSU_SX_bEUlT_E_NS1_11comp_targetILNS1_3genE2ELNS1_11target_archE906ELNS1_3gpuE6ELNS1_3repE0EEENS1_30default_config_static_selectorELNS0_4arch9wavefront6targetE0EEEvSR_.kd
    .uniform_work_group_size: 1
    .uses_dynamic_stack: false
    .vgpr_count:     0
    .vgpr_spill_count: 0
    .wavefront_size: 32
    .workgroup_processor_mode: 1
  - .args:
      - .offset:         0
        .size:           64
        .value_kind:     by_value
    .group_segment_fixed_size: 0
    .kernarg_segment_align: 8
    .kernarg_segment_size: 64
    .language:       OpenCL C
    .language_version:
      - 2
      - 0
    .max_flat_workgroup_size: 256
    .name:           _ZN7rocprim17ROCPRIM_400000_NS6detail17trampoline_kernelINS0_14default_configENS1_27lower_bound_config_selectorIsN6thrust23THRUST_200600_302600_NS6detail10any_assignEEEZNS1_14transform_implILb0ES3_S9_NS7_15normal_iteratorINS6_10device_ptrIsEEEENS6_16discard_iteratorINS6_11use_defaultEEEZNS1_13binary_searchIS3_S9_SE_SE_SH_NS1_21lower_bound_search_opENS7_16wrapped_functionINS0_4lessIvEEbEEEE10hipError_tPvRmT1_T2_T3_mmT4_T5_P12ihipStream_tbEUlRKsE_EESO_SS_ST_mSU_SX_bEUlT_E_NS1_11comp_targetILNS1_3genE10ELNS1_11target_archE1201ELNS1_3gpuE5ELNS1_3repE0EEENS1_30default_config_static_selectorELNS0_4arch9wavefront6targetE0EEEvSR_
    .private_segment_fixed_size: 0
    .sgpr_count:     0
    .sgpr_spill_count: 0
    .symbol:         _ZN7rocprim17ROCPRIM_400000_NS6detail17trampoline_kernelINS0_14default_configENS1_27lower_bound_config_selectorIsN6thrust23THRUST_200600_302600_NS6detail10any_assignEEEZNS1_14transform_implILb0ES3_S9_NS7_15normal_iteratorINS6_10device_ptrIsEEEENS6_16discard_iteratorINS6_11use_defaultEEEZNS1_13binary_searchIS3_S9_SE_SE_SH_NS1_21lower_bound_search_opENS7_16wrapped_functionINS0_4lessIvEEbEEEE10hipError_tPvRmT1_T2_T3_mmT4_T5_P12ihipStream_tbEUlRKsE_EESO_SS_ST_mSU_SX_bEUlT_E_NS1_11comp_targetILNS1_3genE10ELNS1_11target_archE1201ELNS1_3gpuE5ELNS1_3repE0EEENS1_30default_config_static_selectorELNS0_4arch9wavefront6targetE0EEEvSR_.kd
    .uniform_work_group_size: 1
    .uses_dynamic_stack: false
    .vgpr_count:     0
    .vgpr_spill_count: 0
    .wavefront_size: 32
    .workgroup_processor_mode: 1
  - .args:
      - .offset:         0
        .size:           64
        .value_kind:     by_value
    .group_segment_fixed_size: 0
    .kernarg_segment_align: 8
    .kernarg_segment_size: 64
    .language:       OpenCL C
    .language_version:
      - 2
      - 0
    .max_flat_workgroup_size: 256
    .name:           _ZN7rocprim17ROCPRIM_400000_NS6detail17trampoline_kernelINS0_14default_configENS1_27lower_bound_config_selectorIsN6thrust23THRUST_200600_302600_NS6detail10any_assignEEEZNS1_14transform_implILb0ES3_S9_NS7_15normal_iteratorINS6_10device_ptrIsEEEENS6_16discard_iteratorINS6_11use_defaultEEEZNS1_13binary_searchIS3_S9_SE_SE_SH_NS1_21lower_bound_search_opENS7_16wrapped_functionINS0_4lessIvEEbEEEE10hipError_tPvRmT1_T2_T3_mmT4_T5_P12ihipStream_tbEUlRKsE_EESO_SS_ST_mSU_SX_bEUlT_E_NS1_11comp_targetILNS1_3genE10ELNS1_11target_archE1200ELNS1_3gpuE4ELNS1_3repE0EEENS1_30default_config_static_selectorELNS0_4arch9wavefront6targetE0EEEvSR_
    .private_segment_fixed_size: 0
    .sgpr_count:     0
    .sgpr_spill_count: 0
    .symbol:         _ZN7rocprim17ROCPRIM_400000_NS6detail17trampoline_kernelINS0_14default_configENS1_27lower_bound_config_selectorIsN6thrust23THRUST_200600_302600_NS6detail10any_assignEEEZNS1_14transform_implILb0ES3_S9_NS7_15normal_iteratorINS6_10device_ptrIsEEEENS6_16discard_iteratorINS6_11use_defaultEEEZNS1_13binary_searchIS3_S9_SE_SE_SH_NS1_21lower_bound_search_opENS7_16wrapped_functionINS0_4lessIvEEbEEEE10hipError_tPvRmT1_T2_T3_mmT4_T5_P12ihipStream_tbEUlRKsE_EESO_SS_ST_mSU_SX_bEUlT_E_NS1_11comp_targetILNS1_3genE10ELNS1_11target_archE1200ELNS1_3gpuE4ELNS1_3repE0EEENS1_30default_config_static_selectorELNS0_4arch9wavefront6targetE0EEEvSR_.kd
    .uniform_work_group_size: 1
    .uses_dynamic_stack: false
    .vgpr_count:     0
    .vgpr_spill_count: 0
    .wavefront_size: 32
    .workgroup_processor_mode: 1
  - .args:
      - .offset:         0
        .size:           64
        .value_kind:     by_value
    .group_segment_fixed_size: 0
    .kernarg_segment_align: 8
    .kernarg_segment_size: 64
    .language:       OpenCL C
    .language_version:
      - 2
      - 0
    .max_flat_workgroup_size: 64
    .name:           _ZN7rocprim17ROCPRIM_400000_NS6detail17trampoline_kernelINS0_14default_configENS1_27lower_bound_config_selectorIsN6thrust23THRUST_200600_302600_NS6detail10any_assignEEEZNS1_14transform_implILb0ES3_S9_NS7_15normal_iteratorINS6_10device_ptrIsEEEENS6_16discard_iteratorINS6_11use_defaultEEEZNS1_13binary_searchIS3_S9_SE_SE_SH_NS1_21lower_bound_search_opENS7_16wrapped_functionINS0_4lessIvEEbEEEE10hipError_tPvRmT1_T2_T3_mmT4_T5_P12ihipStream_tbEUlRKsE_EESO_SS_ST_mSU_SX_bEUlT_E_NS1_11comp_targetILNS1_3genE9ELNS1_11target_archE1100ELNS1_3gpuE3ELNS1_3repE0EEENS1_30default_config_static_selectorELNS0_4arch9wavefront6targetE0EEEvSR_
    .private_segment_fixed_size: 0
    .sgpr_count:     0
    .sgpr_spill_count: 0
    .symbol:         _ZN7rocprim17ROCPRIM_400000_NS6detail17trampoline_kernelINS0_14default_configENS1_27lower_bound_config_selectorIsN6thrust23THRUST_200600_302600_NS6detail10any_assignEEEZNS1_14transform_implILb0ES3_S9_NS7_15normal_iteratorINS6_10device_ptrIsEEEENS6_16discard_iteratorINS6_11use_defaultEEEZNS1_13binary_searchIS3_S9_SE_SE_SH_NS1_21lower_bound_search_opENS7_16wrapped_functionINS0_4lessIvEEbEEEE10hipError_tPvRmT1_T2_T3_mmT4_T5_P12ihipStream_tbEUlRKsE_EESO_SS_ST_mSU_SX_bEUlT_E_NS1_11comp_targetILNS1_3genE9ELNS1_11target_archE1100ELNS1_3gpuE3ELNS1_3repE0EEENS1_30default_config_static_selectorELNS0_4arch9wavefront6targetE0EEEvSR_.kd
    .uniform_work_group_size: 1
    .uses_dynamic_stack: false
    .vgpr_count:     0
    .vgpr_spill_count: 0
    .wavefront_size: 32
    .workgroup_processor_mode: 1
  - .args:
      - .offset:         0
        .size:           64
        .value_kind:     by_value
    .group_segment_fixed_size: 0
    .kernarg_segment_align: 8
    .kernarg_segment_size: 64
    .language:       OpenCL C
    .language_version:
      - 2
      - 0
    .max_flat_workgroup_size: 128
    .name:           _ZN7rocprim17ROCPRIM_400000_NS6detail17trampoline_kernelINS0_14default_configENS1_27lower_bound_config_selectorIsN6thrust23THRUST_200600_302600_NS6detail10any_assignEEEZNS1_14transform_implILb0ES3_S9_NS7_15normal_iteratorINS6_10device_ptrIsEEEENS6_16discard_iteratorINS6_11use_defaultEEEZNS1_13binary_searchIS3_S9_SE_SE_SH_NS1_21lower_bound_search_opENS7_16wrapped_functionINS0_4lessIvEEbEEEE10hipError_tPvRmT1_T2_T3_mmT4_T5_P12ihipStream_tbEUlRKsE_EESO_SS_ST_mSU_SX_bEUlT_E_NS1_11comp_targetILNS1_3genE8ELNS1_11target_archE1030ELNS1_3gpuE2ELNS1_3repE0EEENS1_30default_config_static_selectorELNS0_4arch9wavefront6targetE0EEEvSR_
    .private_segment_fixed_size: 0
    .sgpr_count:     0
    .sgpr_spill_count: 0
    .symbol:         _ZN7rocprim17ROCPRIM_400000_NS6detail17trampoline_kernelINS0_14default_configENS1_27lower_bound_config_selectorIsN6thrust23THRUST_200600_302600_NS6detail10any_assignEEEZNS1_14transform_implILb0ES3_S9_NS7_15normal_iteratorINS6_10device_ptrIsEEEENS6_16discard_iteratorINS6_11use_defaultEEEZNS1_13binary_searchIS3_S9_SE_SE_SH_NS1_21lower_bound_search_opENS7_16wrapped_functionINS0_4lessIvEEbEEEE10hipError_tPvRmT1_T2_T3_mmT4_T5_P12ihipStream_tbEUlRKsE_EESO_SS_ST_mSU_SX_bEUlT_E_NS1_11comp_targetILNS1_3genE8ELNS1_11target_archE1030ELNS1_3gpuE2ELNS1_3repE0EEENS1_30default_config_static_selectorELNS0_4arch9wavefront6targetE0EEEvSR_.kd
    .uniform_work_group_size: 1
    .uses_dynamic_stack: false
    .vgpr_count:     0
    .vgpr_spill_count: 0
    .wavefront_size: 32
    .workgroup_processor_mode: 1
  - .args:
      - .offset:         0
        .size:           64
        .value_kind:     by_value
    .group_segment_fixed_size: 0
    .kernarg_segment_align: 8
    .kernarg_segment_size: 64
    .language:       OpenCL C
    .language_version:
      - 2
      - 0
    .max_flat_workgroup_size: 256
    .name:           _ZN7rocprim17ROCPRIM_400000_NS6detail17trampoline_kernelINS0_14default_configENS1_27upper_bound_config_selectorIxN6thrust23THRUST_200600_302600_NS6detail10any_assignEEEZNS1_14transform_implILb0ES3_S9_NS7_15normal_iteratorINS6_10device_ptrIxEEEENS6_16discard_iteratorINS6_11use_defaultEEEZNS1_13binary_searchIS3_S9_SE_SE_SH_NS1_21upper_bound_search_opENS7_16wrapped_functionINS0_4lessIvEEbEEEE10hipError_tPvRmT1_T2_T3_mmT4_T5_P12ihipStream_tbEUlRKxE_EESO_SS_ST_mSU_SX_bEUlT_E_NS1_11comp_targetILNS1_3genE0ELNS1_11target_archE4294967295ELNS1_3gpuE0ELNS1_3repE0EEENS1_30default_config_static_selectorELNS0_4arch9wavefront6targetE0EEEvSR_
    .private_segment_fixed_size: 0
    .sgpr_count:     0
    .sgpr_spill_count: 0
    .symbol:         _ZN7rocprim17ROCPRIM_400000_NS6detail17trampoline_kernelINS0_14default_configENS1_27upper_bound_config_selectorIxN6thrust23THRUST_200600_302600_NS6detail10any_assignEEEZNS1_14transform_implILb0ES3_S9_NS7_15normal_iteratorINS6_10device_ptrIxEEEENS6_16discard_iteratorINS6_11use_defaultEEEZNS1_13binary_searchIS3_S9_SE_SE_SH_NS1_21upper_bound_search_opENS7_16wrapped_functionINS0_4lessIvEEbEEEE10hipError_tPvRmT1_T2_T3_mmT4_T5_P12ihipStream_tbEUlRKxE_EESO_SS_ST_mSU_SX_bEUlT_E_NS1_11comp_targetILNS1_3genE0ELNS1_11target_archE4294967295ELNS1_3gpuE0ELNS1_3repE0EEENS1_30default_config_static_selectorELNS0_4arch9wavefront6targetE0EEEvSR_.kd
    .uniform_work_group_size: 1
    .uses_dynamic_stack: false
    .vgpr_count:     0
    .vgpr_spill_count: 0
    .wavefront_size: 32
    .workgroup_processor_mode: 1
  - .args:
      - .offset:         0
        .size:           64
        .value_kind:     by_value
    .group_segment_fixed_size: 0
    .kernarg_segment_align: 8
    .kernarg_segment_size: 64
    .language:       OpenCL C
    .language_version:
      - 2
      - 0
    .max_flat_workgroup_size: 64
    .name:           _ZN7rocprim17ROCPRIM_400000_NS6detail17trampoline_kernelINS0_14default_configENS1_27upper_bound_config_selectorIxN6thrust23THRUST_200600_302600_NS6detail10any_assignEEEZNS1_14transform_implILb0ES3_S9_NS7_15normal_iteratorINS6_10device_ptrIxEEEENS6_16discard_iteratorINS6_11use_defaultEEEZNS1_13binary_searchIS3_S9_SE_SE_SH_NS1_21upper_bound_search_opENS7_16wrapped_functionINS0_4lessIvEEbEEEE10hipError_tPvRmT1_T2_T3_mmT4_T5_P12ihipStream_tbEUlRKxE_EESO_SS_ST_mSU_SX_bEUlT_E_NS1_11comp_targetILNS1_3genE5ELNS1_11target_archE942ELNS1_3gpuE9ELNS1_3repE0EEENS1_30default_config_static_selectorELNS0_4arch9wavefront6targetE0EEEvSR_
    .private_segment_fixed_size: 0
    .sgpr_count:     0
    .sgpr_spill_count: 0
    .symbol:         _ZN7rocprim17ROCPRIM_400000_NS6detail17trampoline_kernelINS0_14default_configENS1_27upper_bound_config_selectorIxN6thrust23THRUST_200600_302600_NS6detail10any_assignEEEZNS1_14transform_implILb0ES3_S9_NS7_15normal_iteratorINS6_10device_ptrIxEEEENS6_16discard_iteratorINS6_11use_defaultEEEZNS1_13binary_searchIS3_S9_SE_SE_SH_NS1_21upper_bound_search_opENS7_16wrapped_functionINS0_4lessIvEEbEEEE10hipError_tPvRmT1_T2_T3_mmT4_T5_P12ihipStream_tbEUlRKxE_EESO_SS_ST_mSU_SX_bEUlT_E_NS1_11comp_targetILNS1_3genE5ELNS1_11target_archE942ELNS1_3gpuE9ELNS1_3repE0EEENS1_30default_config_static_selectorELNS0_4arch9wavefront6targetE0EEEvSR_.kd
    .uniform_work_group_size: 1
    .uses_dynamic_stack: false
    .vgpr_count:     0
    .vgpr_spill_count: 0
    .wavefront_size: 32
    .workgroup_processor_mode: 1
  - .args:
      - .offset:         0
        .size:           64
        .value_kind:     by_value
    .group_segment_fixed_size: 0
    .kernarg_segment_align: 8
    .kernarg_segment_size: 64
    .language:       OpenCL C
    .language_version:
      - 2
      - 0
    .max_flat_workgroup_size: 64
    .name:           _ZN7rocprim17ROCPRIM_400000_NS6detail17trampoline_kernelINS0_14default_configENS1_27upper_bound_config_selectorIxN6thrust23THRUST_200600_302600_NS6detail10any_assignEEEZNS1_14transform_implILb0ES3_S9_NS7_15normal_iteratorINS6_10device_ptrIxEEEENS6_16discard_iteratorINS6_11use_defaultEEEZNS1_13binary_searchIS3_S9_SE_SE_SH_NS1_21upper_bound_search_opENS7_16wrapped_functionINS0_4lessIvEEbEEEE10hipError_tPvRmT1_T2_T3_mmT4_T5_P12ihipStream_tbEUlRKxE_EESO_SS_ST_mSU_SX_bEUlT_E_NS1_11comp_targetILNS1_3genE4ELNS1_11target_archE910ELNS1_3gpuE8ELNS1_3repE0EEENS1_30default_config_static_selectorELNS0_4arch9wavefront6targetE0EEEvSR_
    .private_segment_fixed_size: 0
    .sgpr_count:     0
    .sgpr_spill_count: 0
    .symbol:         _ZN7rocprim17ROCPRIM_400000_NS6detail17trampoline_kernelINS0_14default_configENS1_27upper_bound_config_selectorIxN6thrust23THRUST_200600_302600_NS6detail10any_assignEEEZNS1_14transform_implILb0ES3_S9_NS7_15normal_iteratorINS6_10device_ptrIxEEEENS6_16discard_iteratorINS6_11use_defaultEEEZNS1_13binary_searchIS3_S9_SE_SE_SH_NS1_21upper_bound_search_opENS7_16wrapped_functionINS0_4lessIvEEbEEEE10hipError_tPvRmT1_T2_T3_mmT4_T5_P12ihipStream_tbEUlRKxE_EESO_SS_ST_mSU_SX_bEUlT_E_NS1_11comp_targetILNS1_3genE4ELNS1_11target_archE910ELNS1_3gpuE8ELNS1_3repE0EEENS1_30default_config_static_selectorELNS0_4arch9wavefront6targetE0EEEvSR_.kd
    .uniform_work_group_size: 1
    .uses_dynamic_stack: false
    .vgpr_count:     0
    .vgpr_spill_count: 0
    .wavefront_size: 32
    .workgroup_processor_mode: 1
  - .args:
      - .offset:         0
        .size:           64
        .value_kind:     by_value
    .group_segment_fixed_size: 0
    .kernarg_segment_align: 8
    .kernarg_segment_size: 64
    .language:       OpenCL C
    .language_version:
      - 2
      - 0
    .max_flat_workgroup_size: 256
    .name:           _ZN7rocprim17ROCPRIM_400000_NS6detail17trampoline_kernelINS0_14default_configENS1_27upper_bound_config_selectorIxN6thrust23THRUST_200600_302600_NS6detail10any_assignEEEZNS1_14transform_implILb0ES3_S9_NS7_15normal_iteratorINS6_10device_ptrIxEEEENS6_16discard_iteratorINS6_11use_defaultEEEZNS1_13binary_searchIS3_S9_SE_SE_SH_NS1_21upper_bound_search_opENS7_16wrapped_functionINS0_4lessIvEEbEEEE10hipError_tPvRmT1_T2_T3_mmT4_T5_P12ihipStream_tbEUlRKxE_EESO_SS_ST_mSU_SX_bEUlT_E_NS1_11comp_targetILNS1_3genE3ELNS1_11target_archE908ELNS1_3gpuE7ELNS1_3repE0EEENS1_30default_config_static_selectorELNS0_4arch9wavefront6targetE0EEEvSR_
    .private_segment_fixed_size: 0
    .sgpr_count:     0
    .sgpr_spill_count: 0
    .symbol:         _ZN7rocprim17ROCPRIM_400000_NS6detail17trampoline_kernelINS0_14default_configENS1_27upper_bound_config_selectorIxN6thrust23THRUST_200600_302600_NS6detail10any_assignEEEZNS1_14transform_implILb0ES3_S9_NS7_15normal_iteratorINS6_10device_ptrIxEEEENS6_16discard_iteratorINS6_11use_defaultEEEZNS1_13binary_searchIS3_S9_SE_SE_SH_NS1_21upper_bound_search_opENS7_16wrapped_functionINS0_4lessIvEEbEEEE10hipError_tPvRmT1_T2_T3_mmT4_T5_P12ihipStream_tbEUlRKxE_EESO_SS_ST_mSU_SX_bEUlT_E_NS1_11comp_targetILNS1_3genE3ELNS1_11target_archE908ELNS1_3gpuE7ELNS1_3repE0EEENS1_30default_config_static_selectorELNS0_4arch9wavefront6targetE0EEEvSR_.kd
    .uniform_work_group_size: 1
    .uses_dynamic_stack: false
    .vgpr_count:     0
    .vgpr_spill_count: 0
    .wavefront_size: 32
    .workgroup_processor_mode: 1
  - .args:
      - .offset:         0
        .size:           64
        .value_kind:     by_value
    .group_segment_fixed_size: 0
    .kernarg_segment_align: 8
    .kernarg_segment_size: 64
    .language:       OpenCL C
    .language_version:
      - 2
      - 0
    .max_flat_workgroup_size: 256
    .name:           _ZN7rocprim17ROCPRIM_400000_NS6detail17trampoline_kernelINS0_14default_configENS1_27upper_bound_config_selectorIxN6thrust23THRUST_200600_302600_NS6detail10any_assignEEEZNS1_14transform_implILb0ES3_S9_NS7_15normal_iteratorINS6_10device_ptrIxEEEENS6_16discard_iteratorINS6_11use_defaultEEEZNS1_13binary_searchIS3_S9_SE_SE_SH_NS1_21upper_bound_search_opENS7_16wrapped_functionINS0_4lessIvEEbEEEE10hipError_tPvRmT1_T2_T3_mmT4_T5_P12ihipStream_tbEUlRKxE_EESO_SS_ST_mSU_SX_bEUlT_E_NS1_11comp_targetILNS1_3genE2ELNS1_11target_archE906ELNS1_3gpuE6ELNS1_3repE0EEENS1_30default_config_static_selectorELNS0_4arch9wavefront6targetE0EEEvSR_
    .private_segment_fixed_size: 0
    .sgpr_count:     0
    .sgpr_spill_count: 0
    .symbol:         _ZN7rocprim17ROCPRIM_400000_NS6detail17trampoline_kernelINS0_14default_configENS1_27upper_bound_config_selectorIxN6thrust23THRUST_200600_302600_NS6detail10any_assignEEEZNS1_14transform_implILb0ES3_S9_NS7_15normal_iteratorINS6_10device_ptrIxEEEENS6_16discard_iteratorINS6_11use_defaultEEEZNS1_13binary_searchIS3_S9_SE_SE_SH_NS1_21upper_bound_search_opENS7_16wrapped_functionINS0_4lessIvEEbEEEE10hipError_tPvRmT1_T2_T3_mmT4_T5_P12ihipStream_tbEUlRKxE_EESO_SS_ST_mSU_SX_bEUlT_E_NS1_11comp_targetILNS1_3genE2ELNS1_11target_archE906ELNS1_3gpuE6ELNS1_3repE0EEENS1_30default_config_static_selectorELNS0_4arch9wavefront6targetE0EEEvSR_.kd
    .uniform_work_group_size: 1
    .uses_dynamic_stack: false
    .vgpr_count:     0
    .vgpr_spill_count: 0
    .wavefront_size: 32
    .workgroup_processor_mode: 1
  - .args:
      - .offset:         0
        .size:           64
        .value_kind:     by_value
    .group_segment_fixed_size: 0
    .kernarg_segment_align: 8
    .kernarg_segment_size: 64
    .language:       OpenCL C
    .language_version:
      - 2
      - 0
    .max_flat_workgroup_size: 128
    .name:           _ZN7rocprim17ROCPRIM_400000_NS6detail17trampoline_kernelINS0_14default_configENS1_27upper_bound_config_selectorIxN6thrust23THRUST_200600_302600_NS6detail10any_assignEEEZNS1_14transform_implILb0ES3_S9_NS7_15normal_iteratorINS6_10device_ptrIxEEEENS6_16discard_iteratorINS6_11use_defaultEEEZNS1_13binary_searchIS3_S9_SE_SE_SH_NS1_21upper_bound_search_opENS7_16wrapped_functionINS0_4lessIvEEbEEEE10hipError_tPvRmT1_T2_T3_mmT4_T5_P12ihipStream_tbEUlRKxE_EESO_SS_ST_mSU_SX_bEUlT_E_NS1_11comp_targetILNS1_3genE10ELNS1_11target_archE1201ELNS1_3gpuE5ELNS1_3repE0EEENS1_30default_config_static_selectorELNS0_4arch9wavefront6targetE0EEEvSR_
    .private_segment_fixed_size: 0
    .sgpr_count:     0
    .sgpr_spill_count: 0
    .symbol:         _ZN7rocprim17ROCPRIM_400000_NS6detail17trampoline_kernelINS0_14default_configENS1_27upper_bound_config_selectorIxN6thrust23THRUST_200600_302600_NS6detail10any_assignEEEZNS1_14transform_implILb0ES3_S9_NS7_15normal_iteratorINS6_10device_ptrIxEEEENS6_16discard_iteratorINS6_11use_defaultEEEZNS1_13binary_searchIS3_S9_SE_SE_SH_NS1_21upper_bound_search_opENS7_16wrapped_functionINS0_4lessIvEEbEEEE10hipError_tPvRmT1_T2_T3_mmT4_T5_P12ihipStream_tbEUlRKxE_EESO_SS_ST_mSU_SX_bEUlT_E_NS1_11comp_targetILNS1_3genE10ELNS1_11target_archE1201ELNS1_3gpuE5ELNS1_3repE0EEENS1_30default_config_static_selectorELNS0_4arch9wavefront6targetE0EEEvSR_.kd
    .uniform_work_group_size: 1
    .uses_dynamic_stack: false
    .vgpr_count:     0
    .vgpr_spill_count: 0
    .wavefront_size: 32
    .workgroup_processor_mode: 1
  - .args:
      - .offset:         0
        .size:           64
        .value_kind:     by_value
    .group_segment_fixed_size: 0
    .kernarg_segment_align: 8
    .kernarg_segment_size: 64
    .language:       OpenCL C
    .language_version:
      - 2
      - 0
    .max_flat_workgroup_size: 128
    .name:           _ZN7rocprim17ROCPRIM_400000_NS6detail17trampoline_kernelINS0_14default_configENS1_27upper_bound_config_selectorIxN6thrust23THRUST_200600_302600_NS6detail10any_assignEEEZNS1_14transform_implILb0ES3_S9_NS7_15normal_iteratorINS6_10device_ptrIxEEEENS6_16discard_iteratorINS6_11use_defaultEEEZNS1_13binary_searchIS3_S9_SE_SE_SH_NS1_21upper_bound_search_opENS7_16wrapped_functionINS0_4lessIvEEbEEEE10hipError_tPvRmT1_T2_T3_mmT4_T5_P12ihipStream_tbEUlRKxE_EESO_SS_ST_mSU_SX_bEUlT_E_NS1_11comp_targetILNS1_3genE10ELNS1_11target_archE1200ELNS1_3gpuE4ELNS1_3repE0EEENS1_30default_config_static_selectorELNS0_4arch9wavefront6targetE0EEEvSR_
    .private_segment_fixed_size: 0
    .sgpr_count:     0
    .sgpr_spill_count: 0
    .symbol:         _ZN7rocprim17ROCPRIM_400000_NS6detail17trampoline_kernelINS0_14default_configENS1_27upper_bound_config_selectorIxN6thrust23THRUST_200600_302600_NS6detail10any_assignEEEZNS1_14transform_implILb0ES3_S9_NS7_15normal_iteratorINS6_10device_ptrIxEEEENS6_16discard_iteratorINS6_11use_defaultEEEZNS1_13binary_searchIS3_S9_SE_SE_SH_NS1_21upper_bound_search_opENS7_16wrapped_functionINS0_4lessIvEEbEEEE10hipError_tPvRmT1_T2_T3_mmT4_T5_P12ihipStream_tbEUlRKxE_EESO_SS_ST_mSU_SX_bEUlT_E_NS1_11comp_targetILNS1_3genE10ELNS1_11target_archE1200ELNS1_3gpuE4ELNS1_3repE0EEENS1_30default_config_static_selectorELNS0_4arch9wavefront6targetE0EEEvSR_.kd
    .uniform_work_group_size: 1
    .uses_dynamic_stack: false
    .vgpr_count:     0
    .vgpr_spill_count: 0
    .wavefront_size: 32
    .workgroup_processor_mode: 1
  - .args:
      - .offset:         0
        .size:           64
        .value_kind:     by_value
    .group_segment_fixed_size: 0
    .kernarg_segment_align: 8
    .kernarg_segment_size: 64
    .language:       OpenCL C
    .language_version:
      - 2
      - 0
    .max_flat_workgroup_size: 64
    .name:           _ZN7rocprim17ROCPRIM_400000_NS6detail17trampoline_kernelINS0_14default_configENS1_27upper_bound_config_selectorIxN6thrust23THRUST_200600_302600_NS6detail10any_assignEEEZNS1_14transform_implILb0ES3_S9_NS7_15normal_iteratorINS6_10device_ptrIxEEEENS6_16discard_iteratorINS6_11use_defaultEEEZNS1_13binary_searchIS3_S9_SE_SE_SH_NS1_21upper_bound_search_opENS7_16wrapped_functionINS0_4lessIvEEbEEEE10hipError_tPvRmT1_T2_T3_mmT4_T5_P12ihipStream_tbEUlRKxE_EESO_SS_ST_mSU_SX_bEUlT_E_NS1_11comp_targetILNS1_3genE9ELNS1_11target_archE1100ELNS1_3gpuE3ELNS1_3repE0EEENS1_30default_config_static_selectorELNS0_4arch9wavefront6targetE0EEEvSR_
    .private_segment_fixed_size: 0
    .sgpr_count:     0
    .sgpr_spill_count: 0
    .symbol:         _ZN7rocprim17ROCPRIM_400000_NS6detail17trampoline_kernelINS0_14default_configENS1_27upper_bound_config_selectorIxN6thrust23THRUST_200600_302600_NS6detail10any_assignEEEZNS1_14transform_implILb0ES3_S9_NS7_15normal_iteratorINS6_10device_ptrIxEEEENS6_16discard_iteratorINS6_11use_defaultEEEZNS1_13binary_searchIS3_S9_SE_SE_SH_NS1_21upper_bound_search_opENS7_16wrapped_functionINS0_4lessIvEEbEEEE10hipError_tPvRmT1_T2_T3_mmT4_T5_P12ihipStream_tbEUlRKxE_EESO_SS_ST_mSU_SX_bEUlT_E_NS1_11comp_targetILNS1_3genE9ELNS1_11target_archE1100ELNS1_3gpuE3ELNS1_3repE0EEENS1_30default_config_static_selectorELNS0_4arch9wavefront6targetE0EEEvSR_.kd
    .uniform_work_group_size: 1
    .uses_dynamic_stack: false
    .vgpr_count:     0
    .vgpr_spill_count: 0
    .wavefront_size: 32
    .workgroup_processor_mode: 1
  - .args:
      - .offset:         0
        .size:           64
        .value_kind:     by_value
    .group_segment_fixed_size: 0
    .kernarg_segment_align: 8
    .kernarg_segment_size: 64
    .language:       OpenCL C
    .language_version:
      - 2
      - 0
    .max_flat_workgroup_size: 256
    .name:           _ZN7rocprim17ROCPRIM_400000_NS6detail17trampoline_kernelINS0_14default_configENS1_27upper_bound_config_selectorIxN6thrust23THRUST_200600_302600_NS6detail10any_assignEEEZNS1_14transform_implILb0ES3_S9_NS7_15normal_iteratorINS6_10device_ptrIxEEEENS6_16discard_iteratorINS6_11use_defaultEEEZNS1_13binary_searchIS3_S9_SE_SE_SH_NS1_21upper_bound_search_opENS7_16wrapped_functionINS0_4lessIvEEbEEEE10hipError_tPvRmT1_T2_T3_mmT4_T5_P12ihipStream_tbEUlRKxE_EESO_SS_ST_mSU_SX_bEUlT_E_NS1_11comp_targetILNS1_3genE8ELNS1_11target_archE1030ELNS1_3gpuE2ELNS1_3repE0EEENS1_30default_config_static_selectorELNS0_4arch9wavefront6targetE0EEEvSR_
    .private_segment_fixed_size: 0
    .sgpr_count:     0
    .sgpr_spill_count: 0
    .symbol:         _ZN7rocprim17ROCPRIM_400000_NS6detail17trampoline_kernelINS0_14default_configENS1_27upper_bound_config_selectorIxN6thrust23THRUST_200600_302600_NS6detail10any_assignEEEZNS1_14transform_implILb0ES3_S9_NS7_15normal_iteratorINS6_10device_ptrIxEEEENS6_16discard_iteratorINS6_11use_defaultEEEZNS1_13binary_searchIS3_S9_SE_SE_SH_NS1_21upper_bound_search_opENS7_16wrapped_functionINS0_4lessIvEEbEEEE10hipError_tPvRmT1_T2_T3_mmT4_T5_P12ihipStream_tbEUlRKxE_EESO_SS_ST_mSU_SX_bEUlT_E_NS1_11comp_targetILNS1_3genE8ELNS1_11target_archE1030ELNS1_3gpuE2ELNS1_3repE0EEENS1_30default_config_static_selectorELNS0_4arch9wavefront6targetE0EEEvSR_.kd
    .uniform_work_group_size: 1
    .uses_dynamic_stack: false
    .vgpr_count:     0
    .vgpr_spill_count: 0
    .wavefront_size: 32
    .workgroup_processor_mode: 1
  - .args:
      - .offset:         0
        .size:           64
        .value_kind:     by_value
    .group_segment_fixed_size: 0
    .kernarg_segment_align: 8
    .kernarg_segment_size: 64
    .language:       OpenCL C
    .language_version:
      - 2
      - 0
    .max_flat_workgroup_size: 128
    .name:           _ZN7rocprim17ROCPRIM_400000_NS6detail17trampoline_kernelINS0_14default_configENS1_27upper_bound_config_selectorIiN6thrust23THRUST_200600_302600_NS6detail10any_assignEEEZNS1_14transform_implILb0ES3_S9_NS7_15normal_iteratorINS6_10device_ptrIiEEEENS6_16discard_iteratorINS6_11use_defaultEEEZNS1_13binary_searchIS3_S9_SE_SE_SH_NS1_21upper_bound_search_opENS7_16wrapped_functionINS0_4lessIvEEbEEEE10hipError_tPvRmT1_T2_T3_mmT4_T5_P12ihipStream_tbEUlRKiE_EESO_SS_ST_mSU_SX_bEUlT_E_NS1_11comp_targetILNS1_3genE0ELNS1_11target_archE4294967295ELNS1_3gpuE0ELNS1_3repE0EEENS1_30default_config_static_selectorELNS0_4arch9wavefront6targetE0EEEvSR_
    .private_segment_fixed_size: 0
    .sgpr_count:     0
    .sgpr_spill_count: 0
    .symbol:         _ZN7rocprim17ROCPRIM_400000_NS6detail17trampoline_kernelINS0_14default_configENS1_27upper_bound_config_selectorIiN6thrust23THRUST_200600_302600_NS6detail10any_assignEEEZNS1_14transform_implILb0ES3_S9_NS7_15normal_iteratorINS6_10device_ptrIiEEEENS6_16discard_iteratorINS6_11use_defaultEEEZNS1_13binary_searchIS3_S9_SE_SE_SH_NS1_21upper_bound_search_opENS7_16wrapped_functionINS0_4lessIvEEbEEEE10hipError_tPvRmT1_T2_T3_mmT4_T5_P12ihipStream_tbEUlRKiE_EESO_SS_ST_mSU_SX_bEUlT_E_NS1_11comp_targetILNS1_3genE0ELNS1_11target_archE4294967295ELNS1_3gpuE0ELNS1_3repE0EEENS1_30default_config_static_selectorELNS0_4arch9wavefront6targetE0EEEvSR_.kd
    .uniform_work_group_size: 1
    .uses_dynamic_stack: false
    .vgpr_count:     0
    .vgpr_spill_count: 0
    .wavefront_size: 32
    .workgroup_processor_mode: 1
  - .args:
      - .offset:         0
        .size:           64
        .value_kind:     by_value
    .group_segment_fixed_size: 0
    .kernarg_segment_align: 8
    .kernarg_segment_size: 64
    .language:       OpenCL C
    .language_version:
      - 2
      - 0
    .max_flat_workgroup_size: 256
    .name:           _ZN7rocprim17ROCPRIM_400000_NS6detail17trampoline_kernelINS0_14default_configENS1_27upper_bound_config_selectorIiN6thrust23THRUST_200600_302600_NS6detail10any_assignEEEZNS1_14transform_implILb0ES3_S9_NS7_15normal_iteratorINS6_10device_ptrIiEEEENS6_16discard_iteratorINS6_11use_defaultEEEZNS1_13binary_searchIS3_S9_SE_SE_SH_NS1_21upper_bound_search_opENS7_16wrapped_functionINS0_4lessIvEEbEEEE10hipError_tPvRmT1_T2_T3_mmT4_T5_P12ihipStream_tbEUlRKiE_EESO_SS_ST_mSU_SX_bEUlT_E_NS1_11comp_targetILNS1_3genE5ELNS1_11target_archE942ELNS1_3gpuE9ELNS1_3repE0EEENS1_30default_config_static_selectorELNS0_4arch9wavefront6targetE0EEEvSR_
    .private_segment_fixed_size: 0
    .sgpr_count:     0
    .sgpr_spill_count: 0
    .symbol:         _ZN7rocprim17ROCPRIM_400000_NS6detail17trampoline_kernelINS0_14default_configENS1_27upper_bound_config_selectorIiN6thrust23THRUST_200600_302600_NS6detail10any_assignEEEZNS1_14transform_implILb0ES3_S9_NS7_15normal_iteratorINS6_10device_ptrIiEEEENS6_16discard_iteratorINS6_11use_defaultEEEZNS1_13binary_searchIS3_S9_SE_SE_SH_NS1_21upper_bound_search_opENS7_16wrapped_functionINS0_4lessIvEEbEEEE10hipError_tPvRmT1_T2_T3_mmT4_T5_P12ihipStream_tbEUlRKiE_EESO_SS_ST_mSU_SX_bEUlT_E_NS1_11comp_targetILNS1_3genE5ELNS1_11target_archE942ELNS1_3gpuE9ELNS1_3repE0EEENS1_30default_config_static_selectorELNS0_4arch9wavefront6targetE0EEEvSR_.kd
    .uniform_work_group_size: 1
    .uses_dynamic_stack: false
    .vgpr_count:     0
    .vgpr_spill_count: 0
    .wavefront_size: 32
    .workgroup_processor_mode: 1
  - .args:
      - .offset:         0
        .size:           64
        .value_kind:     by_value
    .group_segment_fixed_size: 0
    .kernarg_segment_align: 8
    .kernarg_segment_size: 64
    .language:       OpenCL C
    .language_version:
      - 2
      - 0
    .max_flat_workgroup_size: 256
    .name:           _ZN7rocprim17ROCPRIM_400000_NS6detail17trampoline_kernelINS0_14default_configENS1_27upper_bound_config_selectorIiN6thrust23THRUST_200600_302600_NS6detail10any_assignEEEZNS1_14transform_implILb0ES3_S9_NS7_15normal_iteratorINS6_10device_ptrIiEEEENS6_16discard_iteratorINS6_11use_defaultEEEZNS1_13binary_searchIS3_S9_SE_SE_SH_NS1_21upper_bound_search_opENS7_16wrapped_functionINS0_4lessIvEEbEEEE10hipError_tPvRmT1_T2_T3_mmT4_T5_P12ihipStream_tbEUlRKiE_EESO_SS_ST_mSU_SX_bEUlT_E_NS1_11comp_targetILNS1_3genE4ELNS1_11target_archE910ELNS1_3gpuE8ELNS1_3repE0EEENS1_30default_config_static_selectorELNS0_4arch9wavefront6targetE0EEEvSR_
    .private_segment_fixed_size: 0
    .sgpr_count:     0
    .sgpr_spill_count: 0
    .symbol:         _ZN7rocprim17ROCPRIM_400000_NS6detail17trampoline_kernelINS0_14default_configENS1_27upper_bound_config_selectorIiN6thrust23THRUST_200600_302600_NS6detail10any_assignEEEZNS1_14transform_implILb0ES3_S9_NS7_15normal_iteratorINS6_10device_ptrIiEEEENS6_16discard_iteratorINS6_11use_defaultEEEZNS1_13binary_searchIS3_S9_SE_SE_SH_NS1_21upper_bound_search_opENS7_16wrapped_functionINS0_4lessIvEEbEEEE10hipError_tPvRmT1_T2_T3_mmT4_T5_P12ihipStream_tbEUlRKiE_EESO_SS_ST_mSU_SX_bEUlT_E_NS1_11comp_targetILNS1_3genE4ELNS1_11target_archE910ELNS1_3gpuE8ELNS1_3repE0EEENS1_30default_config_static_selectorELNS0_4arch9wavefront6targetE0EEEvSR_.kd
    .uniform_work_group_size: 1
    .uses_dynamic_stack: false
    .vgpr_count:     0
    .vgpr_spill_count: 0
    .wavefront_size: 32
    .workgroup_processor_mode: 1
  - .args:
      - .offset:         0
        .size:           64
        .value_kind:     by_value
    .group_segment_fixed_size: 0
    .kernarg_segment_align: 8
    .kernarg_segment_size: 64
    .language:       OpenCL C
    .language_version:
      - 2
      - 0
    .max_flat_workgroup_size: 128
    .name:           _ZN7rocprim17ROCPRIM_400000_NS6detail17trampoline_kernelINS0_14default_configENS1_27upper_bound_config_selectorIiN6thrust23THRUST_200600_302600_NS6detail10any_assignEEEZNS1_14transform_implILb0ES3_S9_NS7_15normal_iteratorINS6_10device_ptrIiEEEENS6_16discard_iteratorINS6_11use_defaultEEEZNS1_13binary_searchIS3_S9_SE_SE_SH_NS1_21upper_bound_search_opENS7_16wrapped_functionINS0_4lessIvEEbEEEE10hipError_tPvRmT1_T2_T3_mmT4_T5_P12ihipStream_tbEUlRKiE_EESO_SS_ST_mSU_SX_bEUlT_E_NS1_11comp_targetILNS1_3genE3ELNS1_11target_archE908ELNS1_3gpuE7ELNS1_3repE0EEENS1_30default_config_static_selectorELNS0_4arch9wavefront6targetE0EEEvSR_
    .private_segment_fixed_size: 0
    .sgpr_count:     0
    .sgpr_spill_count: 0
    .symbol:         _ZN7rocprim17ROCPRIM_400000_NS6detail17trampoline_kernelINS0_14default_configENS1_27upper_bound_config_selectorIiN6thrust23THRUST_200600_302600_NS6detail10any_assignEEEZNS1_14transform_implILb0ES3_S9_NS7_15normal_iteratorINS6_10device_ptrIiEEEENS6_16discard_iteratorINS6_11use_defaultEEEZNS1_13binary_searchIS3_S9_SE_SE_SH_NS1_21upper_bound_search_opENS7_16wrapped_functionINS0_4lessIvEEbEEEE10hipError_tPvRmT1_T2_T3_mmT4_T5_P12ihipStream_tbEUlRKiE_EESO_SS_ST_mSU_SX_bEUlT_E_NS1_11comp_targetILNS1_3genE3ELNS1_11target_archE908ELNS1_3gpuE7ELNS1_3repE0EEENS1_30default_config_static_selectorELNS0_4arch9wavefront6targetE0EEEvSR_.kd
    .uniform_work_group_size: 1
    .uses_dynamic_stack: false
    .vgpr_count:     0
    .vgpr_spill_count: 0
    .wavefront_size: 32
    .workgroup_processor_mode: 1
  - .args:
      - .offset:         0
        .size:           64
        .value_kind:     by_value
    .group_segment_fixed_size: 0
    .kernarg_segment_align: 8
    .kernarg_segment_size: 64
    .language:       OpenCL C
    .language_version:
      - 2
      - 0
    .max_flat_workgroup_size: 256
    .name:           _ZN7rocprim17ROCPRIM_400000_NS6detail17trampoline_kernelINS0_14default_configENS1_27upper_bound_config_selectorIiN6thrust23THRUST_200600_302600_NS6detail10any_assignEEEZNS1_14transform_implILb0ES3_S9_NS7_15normal_iteratorINS6_10device_ptrIiEEEENS6_16discard_iteratorINS6_11use_defaultEEEZNS1_13binary_searchIS3_S9_SE_SE_SH_NS1_21upper_bound_search_opENS7_16wrapped_functionINS0_4lessIvEEbEEEE10hipError_tPvRmT1_T2_T3_mmT4_T5_P12ihipStream_tbEUlRKiE_EESO_SS_ST_mSU_SX_bEUlT_E_NS1_11comp_targetILNS1_3genE2ELNS1_11target_archE906ELNS1_3gpuE6ELNS1_3repE0EEENS1_30default_config_static_selectorELNS0_4arch9wavefront6targetE0EEEvSR_
    .private_segment_fixed_size: 0
    .sgpr_count:     0
    .sgpr_spill_count: 0
    .symbol:         _ZN7rocprim17ROCPRIM_400000_NS6detail17trampoline_kernelINS0_14default_configENS1_27upper_bound_config_selectorIiN6thrust23THRUST_200600_302600_NS6detail10any_assignEEEZNS1_14transform_implILb0ES3_S9_NS7_15normal_iteratorINS6_10device_ptrIiEEEENS6_16discard_iteratorINS6_11use_defaultEEEZNS1_13binary_searchIS3_S9_SE_SE_SH_NS1_21upper_bound_search_opENS7_16wrapped_functionINS0_4lessIvEEbEEEE10hipError_tPvRmT1_T2_T3_mmT4_T5_P12ihipStream_tbEUlRKiE_EESO_SS_ST_mSU_SX_bEUlT_E_NS1_11comp_targetILNS1_3genE2ELNS1_11target_archE906ELNS1_3gpuE6ELNS1_3repE0EEENS1_30default_config_static_selectorELNS0_4arch9wavefront6targetE0EEEvSR_.kd
    .uniform_work_group_size: 1
    .uses_dynamic_stack: false
    .vgpr_count:     0
    .vgpr_spill_count: 0
    .wavefront_size: 32
    .workgroup_processor_mode: 1
  - .args:
      - .offset:         0
        .size:           64
        .value_kind:     by_value
    .group_segment_fixed_size: 0
    .kernarg_segment_align: 8
    .kernarg_segment_size: 64
    .language:       OpenCL C
    .language_version:
      - 2
      - 0
    .max_flat_workgroup_size: 128
    .name:           _ZN7rocprim17ROCPRIM_400000_NS6detail17trampoline_kernelINS0_14default_configENS1_27upper_bound_config_selectorIiN6thrust23THRUST_200600_302600_NS6detail10any_assignEEEZNS1_14transform_implILb0ES3_S9_NS7_15normal_iteratorINS6_10device_ptrIiEEEENS6_16discard_iteratorINS6_11use_defaultEEEZNS1_13binary_searchIS3_S9_SE_SE_SH_NS1_21upper_bound_search_opENS7_16wrapped_functionINS0_4lessIvEEbEEEE10hipError_tPvRmT1_T2_T3_mmT4_T5_P12ihipStream_tbEUlRKiE_EESO_SS_ST_mSU_SX_bEUlT_E_NS1_11comp_targetILNS1_3genE10ELNS1_11target_archE1201ELNS1_3gpuE5ELNS1_3repE0EEENS1_30default_config_static_selectorELNS0_4arch9wavefront6targetE0EEEvSR_
    .private_segment_fixed_size: 0
    .sgpr_count:     0
    .sgpr_spill_count: 0
    .symbol:         _ZN7rocprim17ROCPRIM_400000_NS6detail17trampoline_kernelINS0_14default_configENS1_27upper_bound_config_selectorIiN6thrust23THRUST_200600_302600_NS6detail10any_assignEEEZNS1_14transform_implILb0ES3_S9_NS7_15normal_iteratorINS6_10device_ptrIiEEEENS6_16discard_iteratorINS6_11use_defaultEEEZNS1_13binary_searchIS3_S9_SE_SE_SH_NS1_21upper_bound_search_opENS7_16wrapped_functionINS0_4lessIvEEbEEEE10hipError_tPvRmT1_T2_T3_mmT4_T5_P12ihipStream_tbEUlRKiE_EESO_SS_ST_mSU_SX_bEUlT_E_NS1_11comp_targetILNS1_3genE10ELNS1_11target_archE1201ELNS1_3gpuE5ELNS1_3repE0EEENS1_30default_config_static_selectorELNS0_4arch9wavefront6targetE0EEEvSR_.kd
    .uniform_work_group_size: 1
    .uses_dynamic_stack: false
    .vgpr_count:     0
    .vgpr_spill_count: 0
    .wavefront_size: 32
    .workgroup_processor_mode: 1
  - .args:
      - .offset:         0
        .size:           64
        .value_kind:     by_value
    .group_segment_fixed_size: 0
    .kernarg_segment_align: 8
    .kernarg_segment_size: 64
    .language:       OpenCL C
    .language_version:
      - 2
      - 0
    .max_flat_workgroup_size: 128
    .name:           _ZN7rocprim17ROCPRIM_400000_NS6detail17trampoline_kernelINS0_14default_configENS1_27upper_bound_config_selectorIiN6thrust23THRUST_200600_302600_NS6detail10any_assignEEEZNS1_14transform_implILb0ES3_S9_NS7_15normal_iteratorINS6_10device_ptrIiEEEENS6_16discard_iteratorINS6_11use_defaultEEEZNS1_13binary_searchIS3_S9_SE_SE_SH_NS1_21upper_bound_search_opENS7_16wrapped_functionINS0_4lessIvEEbEEEE10hipError_tPvRmT1_T2_T3_mmT4_T5_P12ihipStream_tbEUlRKiE_EESO_SS_ST_mSU_SX_bEUlT_E_NS1_11comp_targetILNS1_3genE10ELNS1_11target_archE1200ELNS1_3gpuE4ELNS1_3repE0EEENS1_30default_config_static_selectorELNS0_4arch9wavefront6targetE0EEEvSR_
    .private_segment_fixed_size: 0
    .sgpr_count:     0
    .sgpr_spill_count: 0
    .symbol:         _ZN7rocprim17ROCPRIM_400000_NS6detail17trampoline_kernelINS0_14default_configENS1_27upper_bound_config_selectorIiN6thrust23THRUST_200600_302600_NS6detail10any_assignEEEZNS1_14transform_implILb0ES3_S9_NS7_15normal_iteratorINS6_10device_ptrIiEEEENS6_16discard_iteratorINS6_11use_defaultEEEZNS1_13binary_searchIS3_S9_SE_SE_SH_NS1_21upper_bound_search_opENS7_16wrapped_functionINS0_4lessIvEEbEEEE10hipError_tPvRmT1_T2_T3_mmT4_T5_P12ihipStream_tbEUlRKiE_EESO_SS_ST_mSU_SX_bEUlT_E_NS1_11comp_targetILNS1_3genE10ELNS1_11target_archE1200ELNS1_3gpuE4ELNS1_3repE0EEENS1_30default_config_static_selectorELNS0_4arch9wavefront6targetE0EEEvSR_.kd
    .uniform_work_group_size: 1
    .uses_dynamic_stack: false
    .vgpr_count:     0
    .vgpr_spill_count: 0
    .wavefront_size: 32
    .workgroup_processor_mode: 1
  - .args:
      - .offset:         0
        .size:           64
        .value_kind:     by_value
    .group_segment_fixed_size: 0
    .kernarg_segment_align: 8
    .kernarg_segment_size: 64
    .language:       OpenCL C
    .language_version:
      - 2
      - 0
    .max_flat_workgroup_size: 256
    .name:           _ZN7rocprim17ROCPRIM_400000_NS6detail17trampoline_kernelINS0_14default_configENS1_27upper_bound_config_selectorIiN6thrust23THRUST_200600_302600_NS6detail10any_assignEEEZNS1_14transform_implILb0ES3_S9_NS7_15normal_iteratorINS6_10device_ptrIiEEEENS6_16discard_iteratorINS6_11use_defaultEEEZNS1_13binary_searchIS3_S9_SE_SE_SH_NS1_21upper_bound_search_opENS7_16wrapped_functionINS0_4lessIvEEbEEEE10hipError_tPvRmT1_T2_T3_mmT4_T5_P12ihipStream_tbEUlRKiE_EESO_SS_ST_mSU_SX_bEUlT_E_NS1_11comp_targetILNS1_3genE9ELNS1_11target_archE1100ELNS1_3gpuE3ELNS1_3repE0EEENS1_30default_config_static_selectorELNS0_4arch9wavefront6targetE0EEEvSR_
    .private_segment_fixed_size: 0
    .sgpr_count:     0
    .sgpr_spill_count: 0
    .symbol:         _ZN7rocprim17ROCPRIM_400000_NS6detail17trampoline_kernelINS0_14default_configENS1_27upper_bound_config_selectorIiN6thrust23THRUST_200600_302600_NS6detail10any_assignEEEZNS1_14transform_implILb0ES3_S9_NS7_15normal_iteratorINS6_10device_ptrIiEEEENS6_16discard_iteratorINS6_11use_defaultEEEZNS1_13binary_searchIS3_S9_SE_SE_SH_NS1_21upper_bound_search_opENS7_16wrapped_functionINS0_4lessIvEEbEEEE10hipError_tPvRmT1_T2_T3_mmT4_T5_P12ihipStream_tbEUlRKiE_EESO_SS_ST_mSU_SX_bEUlT_E_NS1_11comp_targetILNS1_3genE9ELNS1_11target_archE1100ELNS1_3gpuE3ELNS1_3repE0EEENS1_30default_config_static_selectorELNS0_4arch9wavefront6targetE0EEEvSR_.kd
    .uniform_work_group_size: 1
    .uses_dynamic_stack: false
    .vgpr_count:     0
    .vgpr_spill_count: 0
    .wavefront_size: 32
    .workgroup_processor_mode: 1
  - .args:
      - .offset:         0
        .size:           64
        .value_kind:     by_value
    .group_segment_fixed_size: 0
    .kernarg_segment_align: 8
    .kernarg_segment_size: 64
    .language:       OpenCL C
    .language_version:
      - 2
      - 0
    .max_flat_workgroup_size: 256
    .name:           _ZN7rocprim17ROCPRIM_400000_NS6detail17trampoline_kernelINS0_14default_configENS1_27upper_bound_config_selectorIiN6thrust23THRUST_200600_302600_NS6detail10any_assignEEEZNS1_14transform_implILb0ES3_S9_NS7_15normal_iteratorINS6_10device_ptrIiEEEENS6_16discard_iteratorINS6_11use_defaultEEEZNS1_13binary_searchIS3_S9_SE_SE_SH_NS1_21upper_bound_search_opENS7_16wrapped_functionINS0_4lessIvEEbEEEE10hipError_tPvRmT1_T2_T3_mmT4_T5_P12ihipStream_tbEUlRKiE_EESO_SS_ST_mSU_SX_bEUlT_E_NS1_11comp_targetILNS1_3genE8ELNS1_11target_archE1030ELNS1_3gpuE2ELNS1_3repE0EEENS1_30default_config_static_selectorELNS0_4arch9wavefront6targetE0EEEvSR_
    .private_segment_fixed_size: 0
    .sgpr_count:     0
    .sgpr_spill_count: 0
    .symbol:         _ZN7rocprim17ROCPRIM_400000_NS6detail17trampoline_kernelINS0_14default_configENS1_27upper_bound_config_selectorIiN6thrust23THRUST_200600_302600_NS6detail10any_assignEEEZNS1_14transform_implILb0ES3_S9_NS7_15normal_iteratorINS6_10device_ptrIiEEEENS6_16discard_iteratorINS6_11use_defaultEEEZNS1_13binary_searchIS3_S9_SE_SE_SH_NS1_21upper_bound_search_opENS7_16wrapped_functionINS0_4lessIvEEbEEEE10hipError_tPvRmT1_T2_T3_mmT4_T5_P12ihipStream_tbEUlRKiE_EESO_SS_ST_mSU_SX_bEUlT_E_NS1_11comp_targetILNS1_3genE8ELNS1_11target_archE1030ELNS1_3gpuE2ELNS1_3repE0EEENS1_30default_config_static_selectorELNS0_4arch9wavefront6targetE0EEEvSR_.kd
    .uniform_work_group_size: 1
    .uses_dynamic_stack: false
    .vgpr_count:     0
    .vgpr_spill_count: 0
    .wavefront_size: 32
    .workgroup_processor_mode: 1
  - .args:
      - .offset:         0
        .size:           64
        .value_kind:     by_value
    .group_segment_fixed_size: 0
    .kernarg_segment_align: 8
    .kernarg_segment_size: 64
    .language:       OpenCL C
    .language_version:
      - 2
      - 0
    .max_flat_workgroup_size: 64
    .name:           _ZN7rocprim17ROCPRIM_400000_NS6detail17trampoline_kernelINS0_14default_configENS1_27upper_bound_config_selectorIsN6thrust23THRUST_200600_302600_NS6detail10any_assignEEEZNS1_14transform_implILb0ES3_S9_NS7_15normal_iteratorINS6_10device_ptrIsEEEENS6_16discard_iteratorINS6_11use_defaultEEEZNS1_13binary_searchIS3_S9_SE_SE_SH_NS1_21upper_bound_search_opENS7_16wrapped_functionINS0_4lessIvEEbEEEE10hipError_tPvRmT1_T2_T3_mmT4_T5_P12ihipStream_tbEUlRKsE_EESO_SS_ST_mSU_SX_bEUlT_E_NS1_11comp_targetILNS1_3genE0ELNS1_11target_archE4294967295ELNS1_3gpuE0ELNS1_3repE0EEENS1_30default_config_static_selectorELNS0_4arch9wavefront6targetE0EEEvSR_
    .private_segment_fixed_size: 0
    .sgpr_count:     0
    .sgpr_spill_count: 0
    .symbol:         _ZN7rocprim17ROCPRIM_400000_NS6detail17trampoline_kernelINS0_14default_configENS1_27upper_bound_config_selectorIsN6thrust23THRUST_200600_302600_NS6detail10any_assignEEEZNS1_14transform_implILb0ES3_S9_NS7_15normal_iteratorINS6_10device_ptrIsEEEENS6_16discard_iteratorINS6_11use_defaultEEEZNS1_13binary_searchIS3_S9_SE_SE_SH_NS1_21upper_bound_search_opENS7_16wrapped_functionINS0_4lessIvEEbEEEE10hipError_tPvRmT1_T2_T3_mmT4_T5_P12ihipStream_tbEUlRKsE_EESO_SS_ST_mSU_SX_bEUlT_E_NS1_11comp_targetILNS1_3genE0ELNS1_11target_archE4294967295ELNS1_3gpuE0ELNS1_3repE0EEENS1_30default_config_static_selectorELNS0_4arch9wavefront6targetE0EEEvSR_.kd
    .uniform_work_group_size: 1
    .uses_dynamic_stack: false
    .vgpr_count:     0
    .vgpr_spill_count: 0
    .wavefront_size: 32
    .workgroup_processor_mode: 1
  - .args:
      - .offset:         0
        .size:           64
        .value_kind:     by_value
    .group_segment_fixed_size: 0
    .kernarg_segment_align: 8
    .kernarg_segment_size: 64
    .language:       OpenCL C
    .language_version:
      - 2
      - 0
    .max_flat_workgroup_size: 256
    .name:           _ZN7rocprim17ROCPRIM_400000_NS6detail17trampoline_kernelINS0_14default_configENS1_27upper_bound_config_selectorIsN6thrust23THRUST_200600_302600_NS6detail10any_assignEEEZNS1_14transform_implILb0ES3_S9_NS7_15normal_iteratorINS6_10device_ptrIsEEEENS6_16discard_iteratorINS6_11use_defaultEEEZNS1_13binary_searchIS3_S9_SE_SE_SH_NS1_21upper_bound_search_opENS7_16wrapped_functionINS0_4lessIvEEbEEEE10hipError_tPvRmT1_T2_T3_mmT4_T5_P12ihipStream_tbEUlRKsE_EESO_SS_ST_mSU_SX_bEUlT_E_NS1_11comp_targetILNS1_3genE5ELNS1_11target_archE942ELNS1_3gpuE9ELNS1_3repE0EEENS1_30default_config_static_selectorELNS0_4arch9wavefront6targetE0EEEvSR_
    .private_segment_fixed_size: 0
    .sgpr_count:     0
    .sgpr_spill_count: 0
    .symbol:         _ZN7rocprim17ROCPRIM_400000_NS6detail17trampoline_kernelINS0_14default_configENS1_27upper_bound_config_selectorIsN6thrust23THRUST_200600_302600_NS6detail10any_assignEEEZNS1_14transform_implILb0ES3_S9_NS7_15normal_iteratorINS6_10device_ptrIsEEEENS6_16discard_iteratorINS6_11use_defaultEEEZNS1_13binary_searchIS3_S9_SE_SE_SH_NS1_21upper_bound_search_opENS7_16wrapped_functionINS0_4lessIvEEbEEEE10hipError_tPvRmT1_T2_T3_mmT4_T5_P12ihipStream_tbEUlRKsE_EESO_SS_ST_mSU_SX_bEUlT_E_NS1_11comp_targetILNS1_3genE5ELNS1_11target_archE942ELNS1_3gpuE9ELNS1_3repE0EEENS1_30default_config_static_selectorELNS0_4arch9wavefront6targetE0EEEvSR_.kd
    .uniform_work_group_size: 1
    .uses_dynamic_stack: false
    .vgpr_count:     0
    .vgpr_spill_count: 0
    .wavefront_size: 32
    .workgroup_processor_mode: 1
  - .args:
      - .offset:         0
        .size:           64
        .value_kind:     by_value
    .group_segment_fixed_size: 0
    .kernarg_segment_align: 8
    .kernarg_segment_size: 64
    .language:       OpenCL C
    .language_version:
      - 2
      - 0
    .max_flat_workgroup_size: 256
    .name:           _ZN7rocprim17ROCPRIM_400000_NS6detail17trampoline_kernelINS0_14default_configENS1_27upper_bound_config_selectorIsN6thrust23THRUST_200600_302600_NS6detail10any_assignEEEZNS1_14transform_implILb0ES3_S9_NS7_15normal_iteratorINS6_10device_ptrIsEEEENS6_16discard_iteratorINS6_11use_defaultEEEZNS1_13binary_searchIS3_S9_SE_SE_SH_NS1_21upper_bound_search_opENS7_16wrapped_functionINS0_4lessIvEEbEEEE10hipError_tPvRmT1_T2_T3_mmT4_T5_P12ihipStream_tbEUlRKsE_EESO_SS_ST_mSU_SX_bEUlT_E_NS1_11comp_targetILNS1_3genE4ELNS1_11target_archE910ELNS1_3gpuE8ELNS1_3repE0EEENS1_30default_config_static_selectorELNS0_4arch9wavefront6targetE0EEEvSR_
    .private_segment_fixed_size: 0
    .sgpr_count:     0
    .sgpr_spill_count: 0
    .symbol:         _ZN7rocprim17ROCPRIM_400000_NS6detail17trampoline_kernelINS0_14default_configENS1_27upper_bound_config_selectorIsN6thrust23THRUST_200600_302600_NS6detail10any_assignEEEZNS1_14transform_implILb0ES3_S9_NS7_15normal_iteratorINS6_10device_ptrIsEEEENS6_16discard_iteratorINS6_11use_defaultEEEZNS1_13binary_searchIS3_S9_SE_SE_SH_NS1_21upper_bound_search_opENS7_16wrapped_functionINS0_4lessIvEEbEEEE10hipError_tPvRmT1_T2_T3_mmT4_T5_P12ihipStream_tbEUlRKsE_EESO_SS_ST_mSU_SX_bEUlT_E_NS1_11comp_targetILNS1_3genE4ELNS1_11target_archE910ELNS1_3gpuE8ELNS1_3repE0EEENS1_30default_config_static_selectorELNS0_4arch9wavefront6targetE0EEEvSR_.kd
    .uniform_work_group_size: 1
    .uses_dynamic_stack: false
    .vgpr_count:     0
    .vgpr_spill_count: 0
    .wavefront_size: 32
    .workgroup_processor_mode: 1
  - .args:
      - .offset:         0
        .size:           64
        .value_kind:     by_value
    .group_segment_fixed_size: 0
    .kernarg_segment_align: 8
    .kernarg_segment_size: 64
    .language:       OpenCL C
    .language_version:
      - 2
      - 0
    .max_flat_workgroup_size: 64
    .name:           _ZN7rocprim17ROCPRIM_400000_NS6detail17trampoline_kernelINS0_14default_configENS1_27upper_bound_config_selectorIsN6thrust23THRUST_200600_302600_NS6detail10any_assignEEEZNS1_14transform_implILb0ES3_S9_NS7_15normal_iteratorINS6_10device_ptrIsEEEENS6_16discard_iteratorINS6_11use_defaultEEEZNS1_13binary_searchIS3_S9_SE_SE_SH_NS1_21upper_bound_search_opENS7_16wrapped_functionINS0_4lessIvEEbEEEE10hipError_tPvRmT1_T2_T3_mmT4_T5_P12ihipStream_tbEUlRKsE_EESO_SS_ST_mSU_SX_bEUlT_E_NS1_11comp_targetILNS1_3genE3ELNS1_11target_archE908ELNS1_3gpuE7ELNS1_3repE0EEENS1_30default_config_static_selectorELNS0_4arch9wavefront6targetE0EEEvSR_
    .private_segment_fixed_size: 0
    .sgpr_count:     0
    .sgpr_spill_count: 0
    .symbol:         _ZN7rocprim17ROCPRIM_400000_NS6detail17trampoline_kernelINS0_14default_configENS1_27upper_bound_config_selectorIsN6thrust23THRUST_200600_302600_NS6detail10any_assignEEEZNS1_14transform_implILb0ES3_S9_NS7_15normal_iteratorINS6_10device_ptrIsEEEENS6_16discard_iteratorINS6_11use_defaultEEEZNS1_13binary_searchIS3_S9_SE_SE_SH_NS1_21upper_bound_search_opENS7_16wrapped_functionINS0_4lessIvEEbEEEE10hipError_tPvRmT1_T2_T3_mmT4_T5_P12ihipStream_tbEUlRKsE_EESO_SS_ST_mSU_SX_bEUlT_E_NS1_11comp_targetILNS1_3genE3ELNS1_11target_archE908ELNS1_3gpuE7ELNS1_3repE0EEENS1_30default_config_static_selectorELNS0_4arch9wavefront6targetE0EEEvSR_.kd
    .uniform_work_group_size: 1
    .uses_dynamic_stack: false
    .vgpr_count:     0
    .vgpr_spill_count: 0
    .wavefront_size: 32
    .workgroup_processor_mode: 1
  - .args:
      - .offset:         0
        .size:           64
        .value_kind:     by_value
    .group_segment_fixed_size: 0
    .kernarg_segment_align: 8
    .kernarg_segment_size: 64
    .language:       OpenCL C
    .language_version:
      - 2
      - 0
    .max_flat_workgroup_size: 256
    .name:           _ZN7rocprim17ROCPRIM_400000_NS6detail17trampoline_kernelINS0_14default_configENS1_27upper_bound_config_selectorIsN6thrust23THRUST_200600_302600_NS6detail10any_assignEEEZNS1_14transform_implILb0ES3_S9_NS7_15normal_iteratorINS6_10device_ptrIsEEEENS6_16discard_iteratorINS6_11use_defaultEEEZNS1_13binary_searchIS3_S9_SE_SE_SH_NS1_21upper_bound_search_opENS7_16wrapped_functionINS0_4lessIvEEbEEEE10hipError_tPvRmT1_T2_T3_mmT4_T5_P12ihipStream_tbEUlRKsE_EESO_SS_ST_mSU_SX_bEUlT_E_NS1_11comp_targetILNS1_3genE2ELNS1_11target_archE906ELNS1_3gpuE6ELNS1_3repE0EEENS1_30default_config_static_selectorELNS0_4arch9wavefront6targetE0EEEvSR_
    .private_segment_fixed_size: 0
    .sgpr_count:     0
    .sgpr_spill_count: 0
    .symbol:         _ZN7rocprim17ROCPRIM_400000_NS6detail17trampoline_kernelINS0_14default_configENS1_27upper_bound_config_selectorIsN6thrust23THRUST_200600_302600_NS6detail10any_assignEEEZNS1_14transform_implILb0ES3_S9_NS7_15normal_iteratorINS6_10device_ptrIsEEEENS6_16discard_iteratorINS6_11use_defaultEEEZNS1_13binary_searchIS3_S9_SE_SE_SH_NS1_21upper_bound_search_opENS7_16wrapped_functionINS0_4lessIvEEbEEEE10hipError_tPvRmT1_T2_T3_mmT4_T5_P12ihipStream_tbEUlRKsE_EESO_SS_ST_mSU_SX_bEUlT_E_NS1_11comp_targetILNS1_3genE2ELNS1_11target_archE906ELNS1_3gpuE6ELNS1_3repE0EEENS1_30default_config_static_selectorELNS0_4arch9wavefront6targetE0EEEvSR_.kd
    .uniform_work_group_size: 1
    .uses_dynamic_stack: false
    .vgpr_count:     0
    .vgpr_spill_count: 0
    .wavefront_size: 32
    .workgroup_processor_mode: 1
  - .args:
      - .offset:         0
        .size:           64
        .value_kind:     by_value
    .group_segment_fixed_size: 0
    .kernarg_segment_align: 8
    .kernarg_segment_size: 64
    .language:       OpenCL C
    .language_version:
      - 2
      - 0
    .max_flat_workgroup_size: 256
    .name:           _ZN7rocprim17ROCPRIM_400000_NS6detail17trampoline_kernelINS0_14default_configENS1_27upper_bound_config_selectorIsN6thrust23THRUST_200600_302600_NS6detail10any_assignEEEZNS1_14transform_implILb0ES3_S9_NS7_15normal_iteratorINS6_10device_ptrIsEEEENS6_16discard_iteratorINS6_11use_defaultEEEZNS1_13binary_searchIS3_S9_SE_SE_SH_NS1_21upper_bound_search_opENS7_16wrapped_functionINS0_4lessIvEEbEEEE10hipError_tPvRmT1_T2_T3_mmT4_T5_P12ihipStream_tbEUlRKsE_EESO_SS_ST_mSU_SX_bEUlT_E_NS1_11comp_targetILNS1_3genE10ELNS1_11target_archE1201ELNS1_3gpuE5ELNS1_3repE0EEENS1_30default_config_static_selectorELNS0_4arch9wavefront6targetE0EEEvSR_
    .private_segment_fixed_size: 0
    .sgpr_count:     0
    .sgpr_spill_count: 0
    .symbol:         _ZN7rocprim17ROCPRIM_400000_NS6detail17trampoline_kernelINS0_14default_configENS1_27upper_bound_config_selectorIsN6thrust23THRUST_200600_302600_NS6detail10any_assignEEEZNS1_14transform_implILb0ES3_S9_NS7_15normal_iteratorINS6_10device_ptrIsEEEENS6_16discard_iteratorINS6_11use_defaultEEEZNS1_13binary_searchIS3_S9_SE_SE_SH_NS1_21upper_bound_search_opENS7_16wrapped_functionINS0_4lessIvEEbEEEE10hipError_tPvRmT1_T2_T3_mmT4_T5_P12ihipStream_tbEUlRKsE_EESO_SS_ST_mSU_SX_bEUlT_E_NS1_11comp_targetILNS1_3genE10ELNS1_11target_archE1201ELNS1_3gpuE5ELNS1_3repE0EEENS1_30default_config_static_selectorELNS0_4arch9wavefront6targetE0EEEvSR_.kd
    .uniform_work_group_size: 1
    .uses_dynamic_stack: false
    .vgpr_count:     0
    .vgpr_spill_count: 0
    .wavefront_size: 32
    .workgroup_processor_mode: 1
  - .args:
      - .offset:         0
        .size:           64
        .value_kind:     by_value
    .group_segment_fixed_size: 0
    .kernarg_segment_align: 8
    .kernarg_segment_size: 64
    .language:       OpenCL C
    .language_version:
      - 2
      - 0
    .max_flat_workgroup_size: 256
    .name:           _ZN7rocprim17ROCPRIM_400000_NS6detail17trampoline_kernelINS0_14default_configENS1_27upper_bound_config_selectorIsN6thrust23THRUST_200600_302600_NS6detail10any_assignEEEZNS1_14transform_implILb0ES3_S9_NS7_15normal_iteratorINS6_10device_ptrIsEEEENS6_16discard_iteratorINS6_11use_defaultEEEZNS1_13binary_searchIS3_S9_SE_SE_SH_NS1_21upper_bound_search_opENS7_16wrapped_functionINS0_4lessIvEEbEEEE10hipError_tPvRmT1_T2_T3_mmT4_T5_P12ihipStream_tbEUlRKsE_EESO_SS_ST_mSU_SX_bEUlT_E_NS1_11comp_targetILNS1_3genE10ELNS1_11target_archE1200ELNS1_3gpuE4ELNS1_3repE0EEENS1_30default_config_static_selectorELNS0_4arch9wavefront6targetE0EEEvSR_
    .private_segment_fixed_size: 0
    .sgpr_count:     0
    .sgpr_spill_count: 0
    .symbol:         _ZN7rocprim17ROCPRIM_400000_NS6detail17trampoline_kernelINS0_14default_configENS1_27upper_bound_config_selectorIsN6thrust23THRUST_200600_302600_NS6detail10any_assignEEEZNS1_14transform_implILb0ES3_S9_NS7_15normal_iteratorINS6_10device_ptrIsEEEENS6_16discard_iteratorINS6_11use_defaultEEEZNS1_13binary_searchIS3_S9_SE_SE_SH_NS1_21upper_bound_search_opENS7_16wrapped_functionINS0_4lessIvEEbEEEE10hipError_tPvRmT1_T2_T3_mmT4_T5_P12ihipStream_tbEUlRKsE_EESO_SS_ST_mSU_SX_bEUlT_E_NS1_11comp_targetILNS1_3genE10ELNS1_11target_archE1200ELNS1_3gpuE4ELNS1_3repE0EEENS1_30default_config_static_selectorELNS0_4arch9wavefront6targetE0EEEvSR_.kd
    .uniform_work_group_size: 1
    .uses_dynamic_stack: false
    .vgpr_count:     0
    .vgpr_spill_count: 0
    .wavefront_size: 32
    .workgroup_processor_mode: 1
  - .args:
      - .offset:         0
        .size:           64
        .value_kind:     by_value
    .group_segment_fixed_size: 0
    .kernarg_segment_align: 8
    .kernarg_segment_size: 64
    .language:       OpenCL C
    .language_version:
      - 2
      - 0
    .max_flat_workgroup_size: 64
    .name:           _ZN7rocprim17ROCPRIM_400000_NS6detail17trampoline_kernelINS0_14default_configENS1_27upper_bound_config_selectorIsN6thrust23THRUST_200600_302600_NS6detail10any_assignEEEZNS1_14transform_implILb0ES3_S9_NS7_15normal_iteratorINS6_10device_ptrIsEEEENS6_16discard_iteratorINS6_11use_defaultEEEZNS1_13binary_searchIS3_S9_SE_SE_SH_NS1_21upper_bound_search_opENS7_16wrapped_functionINS0_4lessIvEEbEEEE10hipError_tPvRmT1_T2_T3_mmT4_T5_P12ihipStream_tbEUlRKsE_EESO_SS_ST_mSU_SX_bEUlT_E_NS1_11comp_targetILNS1_3genE9ELNS1_11target_archE1100ELNS1_3gpuE3ELNS1_3repE0EEENS1_30default_config_static_selectorELNS0_4arch9wavefront6targetE0EEEvSR_
    .private_segment_fixed_size: 0
    .sgpr_count:     0
    .sgpr_spill_count: 0
    .symbol:         _ZN7rocprim17ROCPRIM_400000_NS6detail17trampoline_kernelINS0_14default_configENS1_27upper_bound_config_selectorIsN6thrust23THRUST_200600_302600_NS6detail10any_assignEEEZNS1_14transform_implILb0ES3_S9_NS7_15normal_iteratorINS6_10device_ptrIsEEEENS6_16discard_iteratorINS6_11use_defaultEEEZNS1_13binary_searchIS3_S9_SE_SE_SH_NS1_21upper_bound_search_opENS7_16wrapped_functionINS0_4lessIvEEbEEEE10hipError_tPvRmT1_T2_T3_mmT4_T5_P12ihipStream_tbEUlRKsE_EESO_SS_ST_mSU_SX_bEUlT_E_NS1_11comp_targetILNS1_3genE9ELNS1_11target_archE1100ELNS1_3gpuE3ELNS1_3repE0EEENS1_30default_config_static_selectorELNS0_4arch9wavefront6targetE0EEEvSR_.kd
    .uniform_work_group_size: 1
    .uses_dynamic_stack: false
    .vgpr_count:     0
    .vgpr_spill_count: 0
    .wavefront_size: 32
    .workgroup_processor_mode: 1
  - .args:
      - .offset:         0
        .size:           64
        .value_kind:     by_value
    .group_segment_fixed_size: 0
    .kernarg_segment_align: 8
    .kernarg_segment_size: 64
    .language:       OpenCL C
    .language_version:
      - 2
      - 0
    .max_flat_workgroup_size: 128
    .name:           _ZN7rocprim17ROCPRIM_400000_NS6detail17trampoline_kernelINS0_14default_configENS1_27upper_bound_config_selectorIsN6thrust23THRUST_200600_302600_NS6detail10any_assignEEEZNS1_14transform_implILb0ES3_S9_NS7_15normal_iteratorINS6_10device_ptrIsEEEENS6_16discard_iteratorINS6_11use_defaultEEEZNS1_13binary_searchIS3_S9_SE_SE_SH_NS1_21upper_bound_search_opENS7_16wrapped_functionINS0_4lessIvEEbEEEE10hipError_tPvRmT1_T2_T3_mmT4_T5_P12ihipStream_tbEUlRKsE_EESO_SS_ST_mSU_SX_bEUlT_E_NS1_11comp_targetILNS1_3genE8ELNS1_11target_archE1030ELNS1_3gpuE2ELNS1_3repE0EEENS1_30default_config_static_selectorELNS0_4arch9wavefront6targetE0EEEvSR_
    .private_segment_fixed_size: 0
    .sgpr_count:     0
    .sgpr_spill_count: 0
    .symbol:         _ZN7rocprim17ROCPRIM_400000_NS6detail17trampoline_kernelINS0_14default_configENS1_27upper_bound_config_selectorIsN6thrust23THRUST_200600_302600_NS6detail10any_assignEEEZNS1_14transform_implILb0ES3_S9_NS7_15normal_iteratorINS6_10device_ptrIsEEEENS6_16discard_iteratorINS6_11use_defaultEEEZNS1_13binary_searchIS3_S9_SE_SE_SH_NS1_21upper_bound_search_opENS7_16wrapped_functionINS0_4lessIvEEbEEEE10hipError_tPvRmT1_T2_T3_mmT4_T5_P12ihipStream_tbEUlRKsE_EESO_SS_ST_mSU_SX_bEUlT_E_NS1_11comp_targetILNS1_3genE8ELNS1_11target_archE1030ELNS1_3gpuE2ELNS1_3repE0EEENS1_30default_config_static_selectorELNS0_4arch9wavefront6targetE0EEEvSR_.kd
    .uniform_work_group_size: 1
    .uses_dynamic_stack: false
    .vgpr_count:     0
    .vgpr_spill_count: 0
    .wavefront_size: 32
    .workgroup_processor_mode: 1
  - .args:
      - .offset:         0
        .size:           64
        .value_kind:     by_value
    .group_segment_fixed_size: 0
    .kernarg_segment_align: 8
    .kernarg_segment_size: 64
    .language:       OpenCL C
    .language_version:
      - 2
      - 0
    .max_flat_workgroup_size: 256
    .name:           _ZN7rocprim17ROCPRIM_400000_NS6detail17trampoline_kernelINS0_14default_configENS1_29binary_search_config_selectorIxN6thrust23THRUST_200600_302600_NS6detail10any_assignEEEZNS1_14transform_implILb0ES3_S9_NS7_15normal_iteratorINS6_10device_ptrIxEEEENS6_16discard_iteratorINS6_11use_defaultEEEZNS1_13binary_searchIS3_S9_SE_SE_SH_NS1_16binary_search_opENS7_16wrapped_functionINS0_4lessIvEEbEEEE10hipError_tPvRmT1_T2_T3_mmT4_T5_P12ihipStream_tbEUlRKxE_EESO_SS_ST_mSU_SX_bEUlT_E_NS1_11comp_targetILNS1_3genE0ELNS1_11target_archE4294967295ELNS1_3gpuE0ELNS1_3repE0EEENS1_30default_config_static_selectorELNS0_4arch9wavefront6targetE0EEEvSR_
    .private_segment_fixed_size: 0
    .sgpr_count:     0
    .sgpr_spill_count: 0
    .symbol:         _ZN7rocprim17ROCPRIM_400000_NS6detail17trampoline_kernelINS0_14default_configENS1_29binary_search_config_selectorIxN6thrust23THRUST_200600_302600_NS6detail10any_assignEEEZNS1_14transform_implILb0ES3_S9_NS7_15normal_iteratorINS6_10device_ptrIxEEEENS6_16discard_iteratorINS6_11use_defaultEEEZNS1_13binary_searchIS3_S9_SE_SE_SH_NS1_16binary_search_opENS7_16wrapped_functionINS0_4lessIvEEbEEEE10hipError_tPvRmT1_T2_T3_mmT4_T5_P12ihipStream_tbEUlRKxE_EESO_SS_ST_mSU_SX_bEUlT_E_NS1_11comp_targetILNS1_3genE0ELNS1_11target_archE4294967295ELNS1_3gpuE0ELNS1_3repE0EEENS1_30default_config_static_selectorELNS0_4arch9wavefront6targetE0EEEvSR_.kd
    .uniform_work_group_size: 1
    .uses_dynamic_stack: false
    .vgpr_count:     0
    .vgpr_spill_count: 0
    .wavefront_size: 32
    .workgroup_processor_mode: 1
  - .args:
      - .offset:         0
        .size:           64
        .value_kind:     by_value
    .group_segment_fixed_size: 0
    .kernarg_segment_align: 8
    .kernarg_segment_size: 64
    .language:       OpenCL C
    .language_version:
      - 2
      - 0
    .max_flat_workgroup_size: 64
    .name:           _ZN7rocprim17ROCPRIM_400000_NS6detail17trampoline_kernelINS0_14default_configENS1_29binary_search_config_selectorIxN6thrust23THRUST_200600_302600_NS6detail10any_assignEEEZNS1_14transform_implILb0ES3_S9_NS7_15normal_iteratorINS6_10device_ptrIxEEEENS6_16discard_iteratorINS6_11use_defaultEEEZNS1_13binary_searchIS3_S9_SE_SE_SH_NS1_16binary_search_opENS7_16wrapped_functionINS0_4lessIvEEbEEEE10hipError_tPvRmT1_T2_T3_mmT4_T5_P12ihipStream_tbEUlRKxE_EESO_SS_ST_mSU_SX_bEUlT_E_NS1_11comp_targetILNS1_3genE5ELNS1_11target_archE942ELNS1_3gpuE9ELNS1_3repE0EEENS1_30default_config_static_selectorELNS0_4arch9wavefront6targetE0EEEvSR_
    .private_segment_fixed_size: 0
    .sgpr_count:     0
    .sgpr_spill_count: 0
    .symbol:         _ZN7rocprim17ROCPRIM_400000_NS6detail17trampoline_kernelINS0_14default_configENS1_29binary_search_config_selectorIxN6thrust23THRUST_200600_302600_NS6detail10any_assignEEEZNS1_14transform_implILb0ES3_S9_NS7_15normal_iteratorINS6_10device_ptrIxEEEENS6_16discard_iteratorINS6_11use_defaultEEEZNS1_13binary_searchIS3_S9_SE_SE_SH_NS1_16binary_search_opENS7_16wrapped_functionINS0_4lessIvEEbEEEE10hipError_tPvRmT1_T2_T3_mmT4_T5_P12ihipStream_tbEUlRKxE_EESO_SS_ST_mSU_SX_bEUlT_E_NS1_11comp_targetILNS1_3genE5ELNS1_11target_archE942ELNS1_3gpuE9ELNS1_3repE0EEENS1_30default_config_static_selectorELNS0_4arch9wavefront6targetE0EEEvSR_.kd
    .uniform_work_group_size: 1
    .uses_dynamic_stack: false
    .vgpr_count:     0
    .vgpr_spill_count: 0
    .wavefront_size: 32
    .workgroup_processor_mode: 1
  - .args:
      - .offset:         0
        .size:           64
        .value_kind:     by_value
    .group_segment_fixed_size: 0
    .kernarg_segment_align: 8
    .kernarg_segment_size: 64
    .language:       OpenCL C
    .language_version:
      - 2
      - 0
    .max_flat_workgroup_size: 64
    .name:           _ZN7rocprim17ROCPRIM_400000_NS6detail17trampoline_kernelINS0_14default_configENS1_29binary_search_config_selectorIxN6thrust23THRUST_200600_302600_NS6detail10any_assignEEEZNS1_14transform_implILb0ES3_S9_NS7_15normal_iteratorINS6_10device_ptrIxEEEENS6_16discard_iteratorINS6_11use_defaultEEEZNS1_13binary_searchIS3_S9_SE_SE_SH_NS1_16binary_search_opENS7_16wrapped_functionINS0_4lessIvEEbEEEE10hipError_tPvRmT1_T2_T3_mmT4_T5_P12ihipStream_tbEUlRKxE_EESO_SS_ST_mSU_SX_bEUlT_E_NS1_11comp_targetILNS1_3genE4ELNS1_11target_archE910ELNS1_3gpuE8ELNS1_3repE0EEENS1_30default_config_static_selectorELNS0_4arch9wavefront6targetE0EEEvSR_
    .private_segment_fixed_size: 0
    .sgpr_count:     0
    .sgpr_spill_count: 0
    .symbol:         _ZN7rocprim17ROCPRIM_400000_NS6detail17trampoline_kernelINS0_14default_configENS1_29binary_search_config_selectorIxN6thrust23THRUST_200600_302600_NS6detail10any_assignEEEZNS1_14transform_implILb0ES3_S9_NS7_15normal_iteratorINS6_10device_ptrIxEEEENS6_16discard_iteratorINS6_11use_defaultEEEZNS1_13binary_searchIS3_S9_SE_SE_SH_NS1_16binary_search_opENS7_16wrapped_functionINS0_4lessIvEEbEEEE10hipError_tPvRmT1_T2_T3_mmT4_T5_P12ihipStream_tbEUlRKxE_EESO_SS_ST_mSU_SX_bEUlT_E_NS1_11comp_targetILNS1_3genE4ELNS1_11target_archE910ELNS1_3gpuE8ELNS1_3repE0EEENS1_30default_config_static_selectorELNS0_4arch9wavefront6targetE0EEEvSR_.kd
    .uniform_work_group_size: 1
    .uses_dynamic_stack: false
    .vgpr_count:     0
    .vgpr_spill_count: 0
    .wavefront_size: 32
    .workgroup_processor_mode: 1
  - .args:
      - .offset:         0
        .size:           64
        .value_kind:     by_value
    .group_segment_fixed_size: 0
    .kernarg_segment_align: 8
    .kernarg_segment_size: 64
    .language:       OpenCL C
    .language_version:
      - 2
      - 0
    .max_flat_workgroup_size: 256
    .name:           _ZN7rocprim17ROCPRIM_400000_NS6detail17trampoline_kernelINS0_14default_configENS1_29binary_search_config_selectorIxN6thrust23THRUST_200600_302600_NS6detail10any_assignEEEZNS1_14transform_implILb0ES3_S9_NS7_15normal_iteratorINS6_10device_ptrIxEEEENS6_16discard_iteratorINS6_11use_defaultEEEZNS1_13binary_searchIS3_S9_SE_SE_SH_NS1_16binary_search_opENS7_16wrapped_functionINS0_4lessIvEEbEEEE10hipError_tPvRmT1_T2_T3_mmT4_T5_P12ihipStream_tbEUlRKxE_EESO_SS_ST_mSU_SX_bEUlT_E_NS1_11comp_targetILNS1_3genE3ELNS1_11target_archE908ELNS1_3gpuE7ELNS1_3repE0EEENS1_30default_config_static_selectorELNS0_4arch9wavefront6targetE0EEEvSR_
    .private_segment_fixed_size: 0
    .sgpr_count:     0
    .sgpr_spill_count: 0
    .symbol:         _ZN7rocprim17ROCPRIM_400000_NS6detail17trampoline_kernelINS0_14default_configENS1_29binary_search_config_selectorIxN6thrust23THRUST_200600_302600_NS6detail10any_assignEEEZNS1_14transform_implILb0ES3_S9_NS7_15normal_iteratorINS6_10device_ptrIxEEEENS6_16discard_iteratorINS6_11use_defaultEEEZNS1_13binary_searchIS3_S9_SE_SE_SH_NS1_16binary_search_opENS7_16wrapped_functionINS0_4lessIvEEbEEEE10hipError_tPvRmT1_T2_T3_mmT4_T5_P12ihipStream_tbEUlRKxE_EESO_SS_ST_mSU_SX_bEUlT_E_NS1_11comp_targetILNS1_3genE3ELNS1_11target_archE908ELNS1_3gpuE7ELNS1_3repE0EEENS1_30default_config_static_selectorELNS0_4arch9wavefront6targetE0EEEvSR_.kd
    .uniform_work_group_size: 1
    .uses_dynamic_stack: false
    .vgpr_count:     0
    .vgpr_spill_count: 0
    .wavefront_size: 32
    .workgroup_processor_mode: 1
  - .args:
      - .offset:         0
        .size:           64
        .value_kind:     by_value
    .group_segment_fixed_size: 0
    .kernarg_segment_align: 8
    .kernarg_segment_size: 64
    .language:       OpenCL C
    .language_version:
      - 2
      - 0
    .max_flat_workgroup_size: 256
    .name:           _ZN7rocprim17ROCPRIM_400000_NS6detail17trampoline_kernelINS0_14default_configENS1_29binary_search_config_selectorIxN6thrust23THRUST_200600_302600_NS6detail10any_assignEEEZNS1_14transform_implILb0ES3_S9_NS7_15normal_iteratorINS6_10device_ptrIxEEEENS6_16discard_iteratorINS6_11use_defaultEEEZNS1_13binary_searchIS3_S9_SE_SE_SH_NS1_16binary_search_opENS7_16wrapped_functionINS0_4lessIvEEbEEEE10hipError_tPvRmT1_T2_T3_mmT4_T5_P12ihipStream_tbEUlRKxE_EESO_SS_ST_mSU_SX_bEUlT_E_NS1_11comp_targetILNS1_3genE2ELNS1_11target_archE906ELNS1_3gpuE6ELNS1_3repE0EEENS1_30default_config_static_selectorELNS0_4arch9wavefront6targetE0EEEvSR_
    .private_segment_fixed_size: 0
    .sgpr_count:     0
    .sgpr_spill_count: 0
    .symbol:         _ZN7rocprim17ROCPRIM_400000_NS6detail17trampoline_kernelINS0_14default_configENS1_29binary_search_config_selectorIxN6thrust23THRUST_200600_302600_NS6detail10any_assignEEEZNS1_14transform_implILb0ES3_S9_NS7_15normal_iteratorINS6_10device_ptrIxEEEENS6_16discard_iteratorINS6_11use_defaultEEEZNS1_13binary_searchIS3_S9_SE_SE_SH_NS1_16binary_search_opENS7_16wrapped_functionINS0_4lessIvEEbEEEE10hipError_tPvRmT1_T2_T3_mmT4_T5_P12ihipStream_tbEUlRKxE_EESO_SS_ST_mSU_SX_bEUlT_E_NS1_11comp_targetILNS1_3genE2ELNS1_11target_archE906ELNS1_3gpuE6ELNS1_3repE0EEENS1_30default_config_static_selectorELNS0_4arch9wavefront6targetE0EEEvSR_.kd
    .uniform_work_group_size: 1
    .uses_dynamic_stack: false
    .vgpr_count:     0
    .vgpr_spill_count: 0
    .wavefront_size: 32
    .workgroup_processor_mode: 1
  - .args:
      - .offset:         0
        .size:           64
        .value_kind:     by_value
    .group_segment_fixed_size: 0
    .kernarg_segment_align: 8
    .kernarg_segment_size: 64
    .language:       OpenCL C
    .language_version:
      - 2
      - 0
    .max_flat_workgroup_size: 256
    .name:           _ZN7rocprim17ROCPRIM_400000_NS6detail17trampoline_kernelINS0_14default_configENS1_29binary_search_config_selectorIxN6thrust23THRUST_200600_302600_NS6detail10any_assignEEEZNS1_14transform_implILb0ES3_S9_NS7_15normal_iteratorINS6_10device_ptrIxEEEENS6_16discard_iteratorINS6_11use_defaultEEEZNS1_13binary_searchIS3_S9_SE_SE_SH_NS1_16binary_search_opENS7_16wrapped_functionINS0_4lessIvEEbEEEE10hipError_tPvRmT1_T2_T3_mmT4_T5_P12ihipStream_tbEUlRKxE_EESO_SS_ST_mSU_SX_bEUlT_E_NS1_11comp_targetILNS1_3genE10ELNS1_11target_archE1201ELNS1_3gpuE5ELNS1_3repE0EEENS1_30default_config_static_selectorELNS0_4arch9wavefront6targetE0EEEvSR_
    .private_segment_fixed_size: 0
    .sgpr_count:     0
    .sgpr_spill_count: 0
    .symbol:         _ZN7rocprim17ROCPRIM_400000_NS6detail17trampoline_kernelINS0_14default_configENS1_29binary_search_config_selectorIxN6thrust23THRUST_200600_302600_NS6detail10any_assignEEEZNS1_14transform_implILb0ES3_S9_NS7_15normal_iteratorINS6_10device_ptrIxEEEENS6_16discard_iteratorINS6_11use_defaultEEEZNS1_13binary_searchIS3_S9_SE_SE_SH_NS1_16binary_search_opENS7_16wrapped_functionINS0_4lessIvEEbEEEE10hipError_tPvRmT1_T2_T3_mmT4_T5_P12ihipStream_tbEUlRKxE_EESO_SS_ST_mSU_SX_bEUlT_E_NS1_11comp_targetILNS1_3genE10ELNS1_11target_archE1201ELNS1_3gpuE5ELNS1_3repE0EEENS1_30default_config_static_selectorELNS0_4arch9wavefront6targetE0EEEvSR_.kd
    .uniform_work_group_size: 1
    .uses_dynamic_stack: false
    .vgpr_count:     0
    .vgpr_spill_count: 0
    .wavefront_size: 32
    .workgroup_processor_mode: 1
  - .args:
      - .offset:         0
        .size:           64
        .value_kind:     by_value
    .group_segment_fixed_size: 0
    .kernarg_segment_align: 8
    .kernarg_segment_size: 64
    .language:       OpenCL C
    .language_version:
      - 2
      - 0
    .max_flat_workgroup_size: 128
    .name:           _ZN7rocprim17ROCPRIM_400000_NS6detail17trampoline_kernelINS0_14default_configENS1_29binary_search_config_selectorIxN6thrust23THRUST_200600_302600_NS6detail10any_assignEEEZNS1_14transform_implILb0ES3_S9_NS7_15normal_iteratorINS6_10device_ptrIxEEEENS6_16discard_iteratorINS6_11use_defaultEEEZNS1_13binary_searchIS3_S9_SE_SE_SH_NS1_16binary_search_opENS7_16wrapped_functionINS0_4lessIvEEbEEEE10hipError_tPvRmT1_T2_T3_mmT4_T5_P12ihipStream_tbEUlRKxE_EESO_SS_ST_mSU_SX_bEUlT_E_NS1_11comp_targetILNS1_3genE10ELNS1_11target_archE1200ELNS1_3gpuE4ELNS1_3repE0EEENS1_30default_config_static_selectorELNS0_4arch9wavefront6targetE0EEEvSR_
    .private_segment_fixed_size: 0
    .sgpr_count:     0
    .sgpr_spill_count: 0
    .symbol:         _ZN7rocprim17ROCPRIM_400000_NS6detail17trampoline_kernelINS0_14default_configENS1_29binary_search_config_selectorIxN6thrust23THRUST_200600_302600_NS6detail10any_assignEEEZNS1_14transform_implILb0ES3_S9_NS7_15normal_iteratorINS6_10device_ptrIxEEEENS6_16discard_iteratorINS6_11use_defaultEEEZNS1_13binary_searchIS3_S9_SE_SE_SH_NS1_16binary_search_opENS7_16wrapped_functionINS0_4lessIvEEbEEEE10hipError_tPvRmT1_T2_T3_mmT4_T5_P12ihipStream_tbEUlRKxE_EESO_SS_ST_mSU_SX_bEUlT_E_NS1_11comp_targetILNS1_3genE10ELNS1_11target_archE1200ELNS1_3gpuE4ELNS1_3repE0EEENS1_30default_config_static_selectorELNS0_4arch9wavefront6targetE0EEEvSR_.kd
    .uniform_work_group_size: 1
    .uses_dynamic_stack: false
    .vgpr_count:     0
    .vgpr_spill_count: 0
    .wavefront_size: 32
    .workgroup_processor_mode: 1
  - .args:
      - .offset:         0
        .size:           64
        .value_kind:     by_value
    .group_segment_fixed_size: 0
    .kernarg_segment_align: 8
    .kernarg_segment_size: 64
    .language:       OpenCL C
    .language_version:
      - 2
      - 0
    .max_flat_workgroup_size: 64
    .name:           _ZN7rocprim17ROCPRIM_400000_NS6detail17trampoline_kernelINS0_14default_configENS1_29binary_search_config_selectorIxN6thrust23THRUST_200600_302600_NS6detail10any_assignEEEZNS1_14transform_implILb0ES3_S9_NS7_15normal_iteratorINS6_10device_ptrIxEEEENS6_16discard_iteratorINS6_11use_defaultEEEZNS1_13binary_searchIS3_S9_SE_SE_SH_NS1_16binary_search_opENS7_16wrapped_functionINS0_4lessIvEEbEEEE10hipError_tPvRmT1_T2_T3_mmT4_T5_P12ihipStream_tbEUlRKxE_EESO_SS_ST_mSU_SX_bEUlT_E_NS1_11comp_targetILNS1_3genE9ELNS1_11target_archE1100ELNS1_3gpuE3ELNS1_3repE0EEENS1_30default_config_static_selectorELNS0_4arch9wavefront6targetE0EEEvSR_
    .private_segment_fixed_size: 0
    .sgpr_count:     0
    .sgpr_spill_count: 0
    .symbol:         _ZN7rocprim17ROCPRIM_400000_NS6detail17trampoline_kernelINS0_14default_configENS1_29binary_search_config_selectorIxN6thrust23THRUST_200600_302600_NS6detail10any_assignEEEZNS1_14transform_implILb0ES3_S9_NS7_15normal_iteratorINS6_10device_ptrIxEEEENS6_16discard_iteratorINS6_11use_defaultEEEZNS1_13binary_searchIS3_S9_SE_SE_SH_NS1_16binary_search_opENS7_16wrapped_functionINS0_4lessIvEEbEEEE10hipError_tPvRmT1_T2_T3_mmT4_T5_P12ihipStream_tbEUlRKxE_EESO_SS_ST_mSU_SX_bEUlT_E_NS1_11comp_targetILNS1_3genE9ELNS1_11target_archE1100ELNS1_3gpuE3ELNS1_3repE0EEENS1_30default_config_static_selectorELNS0_4arch9wavefront6targetE0EEEvSR_.kd
    .uniform_work_group_size: 1
    .uses_dynamic_stack: false
    .vgpr_count:     0
    .vgpr_spill_count: 0
    .wavefront_size: 32
    .workgroup_processor_mode: 1
  - .args:
      - .offset:         0
        .size:           64
        .value_kind:     by_value
    .group_segment_fixed_size: 0
    .kernarg_segment_align: 8
    .kernarg_segment_size: 64
    .language:       OpenCL C
    .language_version:
      - 2
      - 0
    .max_flat_workgroup_size: 256
    .name:           _ZN7rocprim17ROCPRIM_400000_NS6detail17trampoline_kernelINS0_14default_configENS1_29binary_search_config_selectorIxN6thrust23THRUST_200600_302600_NS6detail10any_assignEEEZNS1_14transform_implILb0ES3_S9_NS7_15normal_iteratorINS6_10device_ptrIxEEEENS6_16discard_iteratorINS6_11use_defaultEEEZNS1_13binary_searchIS3_S9_SE_SE_SH_NS1_16binary_search_opENS7_16wrapped_functionINS0_4lessIvEEbEEEE10hipError_tPvRmT1_T2_T3_mmT4_T5_P12ihipStream_tbEUlRKxE_EESO_SS_ST_mSU_SX_bEUlT_E_NS1_11comp_targetILNS1_3genE8ELNS1_11target_archE1030ELNS1_3gpuE2ELNS1_3repE0EEENS1_30default_config_static_selectorELNS0_4arch9wavefront6targetE0EEEvSR_
    .private_segment_fixed_size: 0
    .sgpr_count:     0
    .sgpr_spill_count: 0
    .symbol:         _ZN7rocprim17ROCPRIM_400000_NS6detail17trampoline_kernelINS0_14default_configENS1_29binary_search_config_selectorIxN6thrust23THRUST_200600_302600_NS6detail10any_assignEEEZNS1_14transform_implILb0ES3_S9_NS7_15normal_iteratorINS6_10device_ptrIxEEEENS6_16discard_iteratorINS6_11use_defaultEEEZNS1_13binary_searchIS3_S9_SE_SE_SH_NS1_16binary_search_opENS7_16wrapped_functionINS0_4lessIvEEbEEEE10hipError_tPvRmT1_T2_T3_mmT4_T5_P12ihipStream_tbEUlRKxE_EESO_SS_ST_mSU_SX_bEUlT_E_NS1_11comp_targetILNS1_3genE8ELNS1_11target_archE1030ELNS1_3gpuE2ELNS1_3repE0EEENS1_30default_config_static_selectorELNS0_4arch9wavefront6targetE0EEEvSR_.kd
    .uniform_work_group_size: 1
    .uses_dynamic_stack: false
    .vgpr_count:     0
    .vgpr_spill_count: 0
    .wavefront_size: 32
    .workgroup_processor_mode: 1
  - .args:
      - .offset:         0
        .size:           64
        .value_kind:     by_value
    .group_segment_fixed_size: 0
    .kernarg_segment_align: 8
    .kernarg_segment_size: 64
    .language:       OpenCL C
    .language_version:
      - 2
      - 0
    .max_flat_workgroup_size: 256
    .name:           _ZN7rocprim17ROCPRIM_400000_NS6detail17trampoline_kernelINS0_14default_configENS1_29binary_search_config_selectorIiN6thrust23THRUST_200600_302600_NS6detail10any_assignEEEZNS1_14transform_implILb0ES3_S9_NS7_15normal_iteratorINS6_10device_ptrIiEEEENS6_16discard_iteratorINS6_11use_defaultEEEZNS1_13binary_searchIS3_S9_SE_SE_SH_NS1_16binary_search_opENS7_16wrapped_functionINS0_4lessIvEEbEEEE10hipError_tPvRmT1_T2_T3_mmT4_T5_P12ihipStream_tbEUlRKiE_EESO_SS_ST_mSU_SX_bEUlT_E_NS1_11comp_targetILNS1_3genE0ELNS1_11target_archE4294967295ELNS1_3gpuE0ELNS1_3repE0EEENS1_30default_config_static_selectorELNS0_4arch9wavefront6targetE0EEEvSR_
    .private_segment_fixed_size: 0
    .sgpr_count:     0
    .sgpr_spill_count: 0
    .symbol:         _ZN7rocprim17ROCPRIM_400000_NS6detail17trampoline_kernelINS0_14default_configENS1_29binary_search_config_selectorIiN6thrust23THRUST_200600_302600_NS6detail10any_assignEEEZNS1_14transform_implILb0ES3_S9_NS7_15normal_iteratorINS6_10device_ptrIiEEEENS6_16discard_iteratorINS6_11use_defaultEEEZNS1_13binary_searchIS3_S9_SE_SE_SH_NS1_16binary_search_opENS7_16wrapped_functionINS0_4lessIvEEbEEEE10hipError_tPvRmT1_T2_T3_mmT4_T5_P12ihipStream_tbEUlRKiE_EESO_SS_ST_mSU_SX_bEUlT_E_NS1_11comp_targetILNS1_3genE0ELNS1_11target_archE4294967295ELNS1_3gpuE0ELNS1_3repE0EEENS1_30default_config_static_selectorELNS0_4arch9wavefront6targetE0EEEvSR_.kd
    .uniform_work_group_size: 1
    .uses_dynamic_stack: false
    .vgpr_count:     0
    .vgpr_spill_count: 0
    .wavefront_size: 32
    .workgroup_processor_mode: 1
  - .args:
      - .offset:         0
        .size:           64
        .value_kind:     by_value
    .group_segment_fixed_size: 0
    .kernarg_segment_align: 8
    .kernarg_segment_size: 64
    .language:       OpenCL C
    .language_version:
      - 2
      - 0
    .max_flat_workgroup_size: 256
    .name:           _ZN7rocprim17ROCPRIM_400000_NS6detail17trampoline_kernelINS0_14default_configENS1_29binary_search_config_selectorIiN6thrust23THRUST_200600_302600_NS6detail10any_assignEEEZNS1_14transform_implILb0ES3_S9_NS7_15normal_iteratorINS6_10device_ptrIiEEEENS6_16discard_iteratorINS6_11use_defaultEEEZNS1_13binary_searchIS3_S9_SE_SE_SH_NS1_16binary_search_opENS7_16wrapped_functionINS0_4lessIvEEbEEEE10hipError_tPvRmT1_T2_T3_mmT4_T5_P12ihipStream_tbEUlRKiE_EESO_SS_ST_mSU_SX_bEUlT_E_NS1_11comp_targetILNS1_3genE5ELNS1_11target_archE942ELNS1_3gpuE9ELNS1_3repE0EEENS1_30default_config_static_selectorELNS0_4arch9wavefront6targetE0EEEvSR_
    .private_segment_fixed_size: 0
    .sgpr_count:     0
    .sgpr_spill_count: 0
    .symbol:         _ZN7rocprim17ROCPRIM_400000_NS6detail17trampoline_kernelINS0_14default_configENS1_29binary_search_config_selectorIiN6thrust23THRUST_200600_302600_NS6detail10any_assignEEEZNS1_14transform_implILb0ES3_S9_NS7_15normal_iteratorINS6_10device_ptrIiEEEENS6_16discard_iteratorINS6_11use_defaultEEEZNS1_13binary_searchIS3_S9_SE_SE_SH_NS1_16binary_search_opENS7_16wrapped_functionINS0_4lessIvEEbEEEE10hipError_tPvRmT1_T2_T3_mmT4_T5_P12ihipStream_tbEUlRKiE_EESO_SS_ST_mSU_SX_bEUlT_E_NS1_11comp_targetILNS1_3genE5ELNS1_11target_archE942ELNS1_3gpuE9ELNS1_3repE0EEENS1_30default_config_static_selectorELNS0_4arch9wavefront6targetE0EEEvSR_.kd
    .uniform_work_group_size: 1
    .uses_dynamic_stack: false
    .vgpr_count:     0
    .vgpr_spill_count: 0
    .wavefront_size: 32
    .workgroup_processor_mode: 1
  - .args:
      - .offset:         0
        .size:           64
        .value_kind:     by_value
    .group_segment_fixed_size: 0
    .kernarg_segment_align: 8
    .kernarg_segment_size: 64
    .language:       OpenCL C
    .language_version:
      - 2
      - 0
    .max_flat_workgroup_size: 256
    .name:           _ZN7rocprim17ROCPRIM_400000_NS6detail17trampoline_kernelINS0_14default_configENS1_29binary_search_config_selectorIiN6thrust23THRUST_200600_302600_NS6detail10any_assignEEEZNS1_14transform_implILb0ES3_S9_NS7_15normal_iteratorINS6_10device_ptrIiEEEENS6_16discard_iteratorINS6_11use_defaultEEEZNS1_13binary_searchIS3_S9_SE_SE_SH_NS1_16binary_search_opENS7_16wrapped_functionINS0_4lessIvEEbEEEE10hipError_tPvRmT1_T2_T3_mmT4_T5_P12ihipStream_tbEUlRKiE_EESO_SS_ST_mSU_SX_bEUlT_E_NS1_11comp_targetILNS1_3genE4ELNS1_11target_archE910ELNS1_3gpuE8ELNS1_3repE0EEENS1_30default_config_static_selectorELNS0_4arch9wavefront6targetE0EEEvSR_
    .private_segment_fixed_size: 0
    .sgpr_count:     0
    .sgpr_spill_count: 0
    .symbol:         _ZN7rocprim17ROCPRIM_400000_NS6detail17trampoline_kernelINS0_14default_configENS1_29binary_search_config_selectorIiN6thrust23THRUST_200600_302600_NS6detail10any_assignEEEZNS1_14transform_implILb0ES3_S9_NS7_15normal_iteratorINS6_10device_ptrIiEEEENS6_16discard_iteratorINS6_11use_defaultEEEZNS1_13binary_searchIS3_S9_SE_SE_SH_NS1_16binary_search_opENS7_16wrapped_functionINS0_4lessIvEEbEEEE10hipError_tPvRmT1_T2_T3_mmT4_T5_P12ihipStream_tbEUlRKiE_EESO_SS_ST_mSU_SX_bEUlT_E_NS1_11comp_targetILNS1_3genE4ELNS1_11target_archE910ELNS1_3gpuE8ELNS1_3repE0EEENS1_30default_config_static_selectorELNS0_4arch9wavefront6targetE0EEEvSR_.kd
    .uniform_work_group_size: 1
    .uses_dynamic_stack: false
    .vgpr_count:     0
    .vgpr_spill_count: 0
    .wavefront_size: 32
    .workgroup_processor_mode: 1
  - .args:
      - .offset:         0
        .size:           64
        .value_kind:     by_value
    .group_segment_fixed_size: 0
    .kernarg_segment_align: 8
    .kernarg_segment_size: 64
    .language:       OpenCL C
    .language_version:
      - 2
      - 0
    .max_flat_workgroup_size: 256
    .name:           _ZN7rocprim17ROCPRIM_400000_NS6detail17trampoline_kernelINS0_14default_configENS1_29binary_search_config_selectorIiN6thrust23THRUST_200600_302600_NS6detail10any_assignEEEZNS1_14transform_implILb0ES3_S9_NS7_15normal_iteratorINS6_10device_ptrIiEEEENS6_16discard_iteratorINS6_11use_defaultEEEZNS1_13binary_searchIS3_S9_SE_SE_SH_NS1_16binary_search_opENS7_16wrapped_functionINS0_4lessIvEEbEEEE10hipError_tPvRmT1_T2_T3_mmT4_T5_P12ihipStream_tbEUlRKiE_EESO_SS_ST_mSU_SX_bEUlT_E_NS1_11comp_targetILNS1_3genE3ELNS1_11target_archE908ELNS1_3gpuE7ELNS1_3repE0EEENS1_30default_config_static_selectorELNS0_4arch9wavefront6targetE0EEEvSR_
    .private_segment_fixed_size: 0
    .sgpr_count:     0
    .sgpr_spill_count: 0
    .symbol:         _ZN7rocprim17ROCPRIM_400000_NS6detail17trampoline_kernelINS0_14default_configENS1_29binary_search_config_selectorIiN6thrust23THRUST_200600_302600_NS6detail10any_assignEEEZNS1_14transform_implILb0ES3_S9_NS7_15normal_iteratorINS6_10device_ptrIiEEEENS6_16discard_iteratorINS6_11use_defaultEEEZNS1_13binary_searchIS3_S9_SE_SE_SH_NS1_16binary_search_opENS7_16wrapped_functionINS0_4lessIvEEbEEEE10hipError_tPvRmT1_T2_T3_mmT4_T5_P12ihipStream_tbEUlRKiE_EESO_SS_ST_mSU_SX_bEUlT_E_NS1_11comp_targetILNS1_3genE3ELNS1_11target_archE908ELNS1_3gpuE7ELNS1_3repE0EEENS1_30default_config_static_selectorELNS0_4arch9wavefront6targetE0EEEvSR_.kd
    .uniform_work_group_size: 1
    .uses_dynamic_stack: false
    .vgpr_count:     0
    .vgpr_spill_count: 0
    .wavefront_size: 32
    .workgroup_processor_mode: 1
  - .args:
      - .offset:         0
        .size:           64
        .value_kind:     by_value
    .group_segment_fixed_size: 0
    .kernarg_segment_align: 8
    .kernarg_segment_size: 64
    .language:       OpenCL C
    .language_version:
      - 2
      - 0
    .max_flat_workgroup_size: 256
    .name:           _ZN7rocprim17ROCPRIM_400000_NS6detail17trampoline_kernelINS0_14default_configENS1_29binary_search_config_selectorIiN6thrust23THRUST_200600_302600_NS6detail10any_assignEEEZNS1_14transform_implILb0ES3_S9_NS7_15normal_iteratorINS6_10device_ptrIiEEEENS6_16discard_iteratorINS6_11use_defaultEEEZNS1_13binary_searchIS3_S9_SE_SE_SH_NS1_16binary_search_opENS7_16wrapped_functionINS0_4lessIvEEbEEEE10hipError_tPvRmT1_T2_T3_mmT4_T5_P12ihipStream_tbEUlRKiE_EESO_SS_ST_mSU_SX_bEUlT_E_NS1_11comp_targetILNS1_3genE2ELNS1_11target_archE906ELNS1_3gpuE6ELNS1_3repE0EEENS1_30default_config_static_selectorELNS0_4arch9wavefront6targetE0EEEvSR_
    .private_segment_fixed_size: 0
    .sgpr_count:     0
    .sgpr_spill_count: 0
    .symbol:         _ZN7rocprim17ROCPRIM_400000_NS6detail17trampoline_kernelINS0_14default_configENS1_29binary_search_config_selectorIiN6thrust23THRUST_200600_302600_NS6detail10any_assignEEEZNS1_14transform_implILb0ES3_S9_NS7_15normal_iteratorINS6_10device_ptrIiEEEENS6_16discard_iteratorINS6_11use_defaultEEEZNS1_13binary_searchIS3_S9_SE_SE_SH_NS1_16binary_search_opENS7_16wrapped_functionINS0_4lessIvEEbEEEE10hipError_tPvRmT1_T2_T3_mmT4_T5_P12ihipStream_tbEUlRKiE_EESO_SS_ST_mSU_SX_bEUlT_E_NS1_11comp_targetILNS1_3genE2ELNS1_11target_archE906ELNS1_3gpuE6ELNS1_3repE0EEENS1_30default_config_static_selectorELNS0_4arch9wavefront6targetE0EEEvSR_.kd
    .uniform_work_group_size: 1
    .uses_dynamic_stack: false
    .vgpr_count:     0
    .vgpr_spill_count: 0
    .wavefront_size: 32
    .workgroup_processor_mode: 1
  - .args:
      - .offset:         0
        .size:           64
        .value_kind:     by_value
    .group_segment_fixed_size: 0
    .kernarg_segment_align: 8
    .kernarg_segment_size: 64
    .language:       OpenCL C
    .language_version:
      - 2
      - 0
    .max_flat_workgroup_size: 128
    .name:           _ZN7rocprim17ROCPRIM_400000_NS6detail17trampoline_kernelINS0_14default_configENS1_29binary_search_config_selectorIiN6thrust23THRUST_200600_302600_NS6detail10any_assignEEEZNS1_14transform_implILb0ES3_S9_NS7_15normal_iteratorINS6_10device_ptrIiEEEENS6_16discard_iteratorINS6_11use_defaultEEEZNS1_13binary_searchIS3_S9_SE_SE_SH_NS1_16binary_search_opENS7_16wrapped_functionINS0_4lessIvEEbEEEE10hipError_tPvRmT1_T2_T3_mmT4_T5_P12ihipStream_tbEUlRKiE_EESO_SS_ST_mSU_SX_bEUlT_E_NS1_11comp_targetILNS1_3genE10ELNS1_11target_archE1201ELNS1_3gpuE5ELNS1_3repE0EEENS1_30default_config_static_selectorELNS0_4arch9wavefront6targetE0EEEvSR_
    .private_segment_fixed_size: 0
    .sgpr_count:     0
    .sgpr_spill_count: 0
    .symbol:         _ZN7rocprim17ROCPRIM_400000_NS6detail17trampoline_kernelINS0_14default_configENS1_29binary_search_config_selectorIiN6thrust23THRUST_200600_302600_NS6detail10any_assignEEEZNS1_14transform_implILb0ES3_S9_NS7_15normal_iteratorINS6_10device_ptrIiEEEENS6_16discard_iteratorINS6_11use_defaultEEEZNS1_13binary_searchIS3_S9_SE_SE_SH_NS1_16binary_search_opENS7_16wrapped_functionINS0_4lessIvEEbEEEE10hipError_tPvRmT1_T2_T3_mmT4_T5_P12ihipStream_tbEUlRKiE_EESO_SS_ST_mSU_SX_bEUlT_E_NS1_11comp_targetILNS1_3genE10ELNS1_11target_archE1201ELNS1_3gpuE5ELNS1_3repE0EEENS1_30default_config_static_selectorELNS0_4arch9wavefront6targetE0EEEvSR_.kd
    .uniform_work_group_size: 1
    .uses_dynamic_stack: false
    .vgpr_count:     0
    .vgpr_spill_count: 0
    .wavefront_size: 32
    .workgroup_processor_mode: 1
  - .args:
      - .offset:         0
        .size:           64
        .value_kind:     by_value
    .group_segment_fixed_size: 0
    .kernarg_segment_align: 8
    .kernarg_segment_size: 64
    .language:       OpenCL C
    .language_version:
      - 2
      - 0
    .max_flat_workgroup_size: 128
    .name:           _ZN7rocprim17ROCPRIM_400000_NS6detail17trampoline_kernelINS0_14default_configENS1_29binary_search_config_selectorIiN6thrust23THRUST_200600_302600_NS6detail10any_assignEEEZNS1_14transform_implILb0ES3_S9_NS7_15normal_iteratorINS6_10device_ptrIiEEEENS6_16discard_iteratorINS6_11use_defaultEEEZNS1_13binary_searchIS3_S9_SE_SE_SH_NS1_16binary_search_opENS7_16wrapped_functionINS0_4lessIvEEbEEEE10hipError_tPvRmT1_T2_T3_mmT4_T5_P12ihipStream_tbEUlRKiE_EESO_SS_ST_mSU_SX_bEUlT_E_NS1_11comp_targetILNS1_3genE10ELNS1_11target_archE1200ELNS1_3gpuE4ELNS1_3repE0EEENS1_30default_config_static_selectorELNS0_4arch9wavefront6targetE0EEEvSR_
    .private_segment_fixed_size: 0
    .sgpr_count:     0
    .sgpr_spill_count: 0
    .symbol:         _ZN7rocprim17ROCPRIM_400000_NS6detail17trampoline_kernelINS0_14default_configENS1_29binary_search_config_selectorIiN6thrust23THRUST_200600_302600_NS6detail10any_assignEEEZNS1_14transform_implILb0ES3_S9_NS7_15normal_iteratorINS6_10device_ptrIiEEEENS6_16discard_iteratorINS6_11use_defaultEEEZNS1_13binary_searchIS3_S9_SE_SE_SH_NS1_16binary_search_opENS7_16wrapped_functionINS0_4lessIvEEbEEEE10hipError_tPvRmT1_T2_T3_mmT4_T5_P12ihipStream_tbEUlRKiE_EESO_SS_ST_mSU_SX_bEUlT_E_NS1_11comp_targetILNS1_3genE10ELNS1_11target_archE1200ELNS1_3gpuE4ELNS1_3repE0EEENS1_30default_config_static_selectorELNS0_4arch9wavefront6targetE0EEEvSR_.kd
    .uniform_work_group_size: 1
    .uses_dynamic_stack: false
    .vgpr_count:     0
    .vgpr_spill_count: 0
    .wavefront_size: 32
    .workgroup_processor_mode: 1
  - .args:
      - .offset:         0
        .size:           64
        .value_kind:     by_value
    .group_segment_fixed_size: 0
    .kernarg_segment_align: 8
    .kernarg_segment_size: 64
    .language:       OpenCL C
    .language_version:
      - 2
      - 0
    .max_flat_workgroup_size: 256
    .name:           _ZN7rocprim17ROCPRIM_400000_NS6detail17trampoline_kernelINS0_14default_configENS1_29binary_search_config_selectorIiN6thrust23THRUST_200600_302600_NS6detail10any_assignEEEZNS1_14transform_implILb0ES3_S9_NS7_15normal_iteratorINS6_10device_ptrIiEEEENS6_16discard_iteratorINS6_11use_defaultEEEZNS1_13binary_searchIS3_S9_SE_SE_SH_NS1_16binary_search_opENS7_16wrapped_functionINS0_4lessIvEEbEEEE10hipError_tPvRmT1_T2_T3_mmT4_T5_P12ihipStream_tbEUlRKiE_EESO_SS_ST_mSU_SX_bEUlT_E_NS1_11comp_targetILNS1_3genE9ELNS1_11target_archE1100ELNS1_3gpuE3ELNS1_3repE0EEENS1_30default_config_static_selectorELNS0_4arch9wavefront6targetE0EEEvSR_
    .private_segment_fixed_size: 0
    .sgpr_count:     0
    .sgpr_spill_count: 0
    .symbol:         _ZN7rocprim17ROCPRIM_400000_NS6detail17trampoline_kernelINS0_14default_configENS1_29binary_search_config_selectorIiN6thrust23THRUST_200600_302600_NS6detail10any_assignEEEZNS1_14transform_implILb0ES3_S9_NS7_15normal_iteratorINS6_10device_ptrIiEEEENS6_16discard_iteratorINS6_11use_defaultEEEZNS1_13binary_searchIS3_S9_SE_SE_SH_NS1_16binary_search_opENS7_16wrapped_functionINS0_4lessIvEEbEEEE10hipError_tPvRmT1_T2_T3_mmT4_T5_P12ihipStream_tbEUlRKiE_EESO_SS_ST_mSU_SX_bEUlT_E_NS1_11comp_targetILNS1_3genE9ELNS1_11target_archE1100ELNS1_3gpuE3ELNS1_3repE0EEENS1_30default_config_static_selectorELNS0_4arch9wavefront6targetE0EEEvSR_.kd
    .uniform_work_group_size: 1
    .uses_dynamic_stack: false
    .vgpr_count:     0
    .vgpr_spill_count: 0
    .wavefront_size: 32
    .workgroup_processor_mode: 1
  - .args:
      - .offset:         0
        .size:           64
        .value_kind:     by_value
    .group_segment_fixed_size: 0
    .kernarg_segment_align: 8
    .kernarg_segment_size: 64
    .language:       OpenCL C
    .language_version:
      - 2
      - 0
    .max_flat_workgroup_size: 256
    .name:           _ZN7rocprim17ROCPRIM_400000_NS6detail17trampoline_kernelINS0_14default_configENS1_29binary_search_config_selectorIiN6thrust23THRUST_200600_302600_NS6detail10any_assignEEEZNS1_14transform_implILb0ES3_S9_NS7_15normal_iteratorINS6_10device_ptrIiEEEENS6_16discard_iteratorINS6_11use_defaultEEEZNS1_13binary_searchIS3_S9_SE_SE_SH_NS1_16binary_search_opENS7_16wrapped_functionINS0_4lessIvEEbEEEE10hipError_tPvRmT1_T2_T3_mmT4_T5_P12ihipStream_tbEUlRKiE_EESO_SS_ST_mSU_SX_bEUlT_E_NS1_11comp_targetILNS1_3genE8ELNS1_11target_archE1030ELNS1_3gpuE2ELNS1_3repE0EEENS1_30default_config_static_selectorELNS0_4arch9wavefront6targetE0EEEvSR_
    .private_segment_fixed_size: 0
    .sgpr_count:     0
    .sgpr_spill_count: 0
    .symbol:         _ZN7rocprim17ROCPRIM_400000_NS6detail17trampoline_kernelINS0_14default_configENS1_29binary_search_config_selectorIiN6thrust23THRUST_200600_302600_NS6detail10any_assignEEEZNS1_14transform_implILb0ES3_S9_NS7_15normal_iteratorINS6_10device_ptrIiEEEENS6_16discard_iteratorINS6_11use_defaultEEEZNS1_13binary_searchIS3_S9_SE_SE_SH_NS1_16binary_search_opENS7_16wrapped_functionINS0_4lessIvEEbEEEE10hipError_tPvRmT1_T2_T3_mmT4_T5_P12ihipStream_tbEUlRKiE_EESO_SS_ST_mSU_SX_bEUlT_E_NS1_11comp_targetILNS1_3genE8ELNS1_11target_archE1030ELNS1_3gpuE2ELNS1_3repE0EEENS1_30default_config_static_selectorELNS0_4arch9wavefront6targetE0EEEvSR_.kd
    .uniform_work_group_size: 1
    .uses_dynamic_stack: false
    .vgpr_count:     0
    .vgpr_spill_count: 0
    .wavefront_size: 32
    .workgroup_processor_mode: 1
  - .args:
      - .offset:         0
        .size:           64
        .value_kind:     by_value
    .group_segment_fixed_size: 0
    .kernarg_segment_align: 8
    .kernarg_segment_size: 64
    .language:       OpenCL C
    .language_version:
      - 2
      - 0
    .max_flat_workgroup_size: 128
    .name:           _ZN7rocprim17ROCPRIM_400000_NS6detail17trampoline_kernelINS0_14default_configENS1_29binary_search_config_selectorIsN6thrust23THRUST_200600_302600_NS6detail10any_assignEEEZNS1_14transform_implILb0ES3_S9_NS7_15normal_iteratorINS6_10device_ptrIsEEEENS6_16discard_iteratorINS6_11use_defaultEEEZNS1_13binary_searchIS3_S9_SE_SE_SH_NS1_16binary_search_opENS7_16wrapped_functionINS0_4lessIvEEbEEEE10hipError_tPvRmT1_T2_T3_mmT4_T5_P12ihipStream_tbEUlRKsE_EESO_SS_ST_mSU_SX_bEUlT_E_NS1_11comp_targetILNS1_3genE0ELNS1_11target_archE4294967295ELNS1_3gpuE0ELNS1_3repE0EEENS1_30default_config_static_selectorELNS0_4arch9wavefront6targetE0EEEvSR_
    .private_segment_fixed_size: 0
    .sgpr_count:     0
    .sgpr_spill_count: 0
    .symbol:         _ZN7rocprim17ROCPRIM_400000_NS6detail17trampoline_kernelINS0_14default_configENS1_29binary_search_config_selectorIsN6thrust23THRUST_200600_302600_NS6detail10any_assignEEEZNS1_14transform_implILb0ES3_S9_NS7_15normal_iteratorINS6_10device_ptrIsEEEENS6_16discard_iteratorINS6_11use_defaultEEEZNS1_13binary_searchIS3_S9_SE_SE_SH_NS1_16binary_search_opENS7_16wrapped_functionINS0_4lessIvEEbEEEE10hipError_tPvRmT1_T2_T3_mmT4_T5_P12ihipStream_tbEUlRKsE_EESO_SS_ST_mSU_SX_bEUlT_E_NS1_11comp_targetILNS1_3genE0ELNS1_11target_archE4294967295ELNS1_3gpuE0ELNS1_3repE0EEENS1_30default_config_static_selectorELNS0_4arch9wavefront6targetE0EEEvSR_.kd
    .uniform_work_group_size: 1
    .uses_dynamic_stack: false
    .vgpr_count:     0
    .vgpr_spill_count: 0
    .wavefront_size: 32
    .workgroup_processor_mode: 1
  - .args:
      - .offset:         0
        .size:           64
        .value_kind:     by_value
    .group_segment_fixed_size: 0
    .kernarg_segment_align: 8
    .kernarg_segment_size: 64
    .language:       OpenCL C
    .language_version:
      - 2
      - 0
    .max_flat_workgroup_size: 256
    .name:           _ZN7rocprim17ROCPRIM_400000_NS6detail17trampoline_kernelINS0_14default_configENS1_29binary_search_config_selectorIsN6thrust23THRUST_200600_302600_NS6detail10any_assignEEEZNS1_14transform_implILb0ES3_S9_NS7_15normal_iteratorINS6_10device_ptrIsEEEENS6_16discard_iteratorINS6_11use_defaultEEEZNS1_13binary_searchIS3_S9_SE_SE_SH_NS1_16binary_search_opENS7_16wrapped_functionINS0_4lessIvEEbEEEE10hipError_tPvRmT1_T2_T3_mmT4_T5_P12ihipStream_tbEUlRKsE_EESO_SS_ST_mSU_SX_bEUlT_E_NS1_11comp_targetILNS1_3genE5ELNS1_11target_archE942ELNS1_3gpuE9ELNS1_3repE0EEENS1_30default_config_static_selectorELNS0_4arch9wavefront6targetE0EEEvSR_
    .private_segment_fixed_size: 0
    .sgpr_count:     0
    .sgpr_spill_count: 0
    .symbol:         _ZN7rocprim17ROCPRIM_400000_NS6detail17trampoline_kernelINS0_14default_configENS1_29binary_search_config_selectorIsN6thrust23THRUST_200600_302600_NS6detail10any_assignEEEZNS1_14transform_implILb0ES3_S9_NS7_15normal_iteratorINS6_10device_ptrIsEEEENS6_16discard_iteratorINS6_11use_defaultEEEZNS1_13binary_searchIS3_S9_SE_SE_SH_NS1_16binary_search_opENS7_16wrapped_functionINS0_4lessIvEEbEEEE10hipError_tPvRmT1_T2_T3_mmT4_T5_P12ihipStream_tbEUlRKsE_EESO_SS_ST_mSU_SX_bEUlT_E_NS1_11comp_targetILNS1_3genE5ELNS1_11target_archE942ELNS1_3gpuE9ELNS1_3repE0EEENS1_30default_config_static_selectorELNS0_4arch9wavefront6targetE0EEEvSR_.kd
    .uniform_work_group_size: 1
    .uses_dynamic_stack: false
    .vgpr_count:     0
    .vgpr_spill_count: 0
    .wavefront_size: 32
    .workgroup_processor_mode: 1
  - .args:
      - .offset:         0
        .size:           64
        .value_kind:     by_value
    .group_segment_fixed_size: 0
    .kernarg_segment_align: 8
    .kernarg_segment_size: 64
    .language:       OpenCL C
    .language_version:
      - 2
      - 0
    .max_flat_workgroup_size: 256
    .name:           _ZN7rocprim17ROCPRIM_400000_NS6detail17trampoline_kernelINS0_14default_configENS1_29binary_search_config_selectorIsN6thrust23THRUST_200600_302600_NS6detail10any_assignEEEZNS1_14transform_implILb0ES3_S9_NS7_15normal_iteratorINS6_10device_ptrIsEEEENS6_16discard_iteratorINS6_11use_defaultEEEZNS1_13binary_searchIS3_S9_SE_SE_SH_NS1_16binary_search_opENS7_16wrapped_functionINS0_4lessIvEEbEEEE10hipError_tPvRmT1_T2_T3_mmT4_T5_P12ihipStream_tbEUlRKsE_EESO_SS_ST_mSU_SX_bEUlT_E_NS1_11comp_targetILNS1_3genE4ELNS1_11target_archE910ELNS1_3gpuE8ELNS1_3repE0EEENS1_30default_config_static_selectorELNS0_4arch9wavefront6targetE0EEEvSR_
    .private_segment_fixed_size: 0
    .sgpr_count:     0
    .sgpr_spill_count: 0
    .symbol:         _ZN7rocprim17ROCPRIM_400000_NS6detail17trampoline_kernelINS0_14default_configENS1_29binary_search_config_selectorIsN6thrust23THRUST_200600_302600_NS6detail10any_assignEEEZNS1_14transform_implILb0ES3_S9_NS7_15normal_iteratorINS6_10device_ptrIsEEEENS6_16discard_iteratorINS6_11use_defaultEEEZNS1_13binary_searchIS3_S9_SE_SE_SH_NS1_16binary_search_opENS7_16wrapped_functionINS0_4lessIvEEbEEEE10hipError_tPvRmT1_T2_T3_mmT4_T5_P12ihipStream_tbEUlRKsE_EESO_SS_ST_mSU_SX_bEUlT_E_NS1_11comp_targetILNS1_3genE4ELNS1_11target_archE910ELNS1_3gpuE8ELNS1_3repE0EEENS1_30default_config_static_selectorELNS0_4arch9wavefront6targetE0EEEvSR_.kd
    .uniform_work_group_size: 1
    .uses_dynamic_stack: false
    .vgpr_count:     0
    .vgpr_spill_count: 0
    .wavefront_size: 32
    .workgroup_processor_mode: 1
  - .args:
      - .offset:         0
        .size:           64
        .value_kind:     by_value
    .group_segment_fixed_size: 0
    .kernarg_segment_align: 8
    .kernarg_segment_size: 64
    .language:       OpenCL C
    .language_version:
      - 2
      - 0
    .max_flat_workgroup_size: 128
    .name:           _ZN7rocprim17ROCPRIM_400000_NS6detail17trampoline_kernelINS0_14default_configENS1_29binary_search_config_selectorIsN6thrust23THRUST_200600_302600_NS6detail10any_assignEEEZNS1_14transform_implILb0ES3_S9_NS7_15normal_iteratorINS6_10device_ptrIsEEEENS6_16discard_iteratorINS6_11use_defaultEEEZNS1_13binary_searchIS3_S9_SE_SE_SH_NS1_16binary_search_opENS7_16wrapped_functionINS0_4lessIvEEbEEEE10hipError_tPvRmT1_T2_T3_mmT4_T5_P12ihipStream_tbEUlRKsE_EESO_SS_ST_mSU_SX_bEUlT_E_NS1_11comp_targetILNS1_3genE3ELNS1_11target_archE908ELNS1_3gpuE7ELNS1_3repE0EEENS1_30default_config_static_selectorELNS0_4arch9wavefront6targetE0EEEvSR_
    .private_segment_fixed_size: 0
    .sgpr_count:     0
    .sgpr_spill_count: 0
    .symbol:         _ZN7rocprim17ROCPRIM_400000_NS6detail17trampoline_kernelINS0_14default_configENS1_29binary_search_config_selectorIsN6thrust23THRUST_200600_302600_NS6detail10any_assignEEEZNS1_14transform_implILb0ES3_S9_NS7_15normal_iteratorINS6_10device_ptrIsEEEENS6_16discard_iteratorINS6_11use_defaultEEEZNS1_13binary_searchIS3_S9_SE_SE_SH_NS1_16binary_search_opENS7_16wrapped_functionINS0_4lessIvEEbEEEE10hipError_tPvRmT1_T2_T3_mmT4_T5_P12ihipStream_tbEUlRKsE_EESO_SS_ST_mSU_SX_bEUlT_E_NS1_11comp_targetILNS1_3genE3ELNS1_11target_archE908ELNS1_3gpuE7ELNS1_3repE0EEENS1_30default_config_static_selectorELNS0_4arch9wavefront6targetE0EEEvSR_.kd
    .uniform_work_group_size: 1
    .uses_dynamic_stack: false
    .vgpr_count:     0
    .vgpr_spill_count: 0
    .wavefront_size: 32
    .workgroup_processor_mode: 1
  - .args:
      - .offset:         0
        .size:           64
        .value_kind:     by_value
    .group_segment_fixed_size: 0
    .kernarg_segment_align: 8
    .kernarg_segment_size: 64
    .language:       OpenCL C
    .language_version:
      - 2
      - 0
    .max_flat_workgroup_size: 256
    .name:           _ZN7rocprim17ROCPRIM_400000_NS6detail17trampoline_kernelINS0_14default_configENS1_29binary_search_config_selectorIsN6thrust23THRUST_200600_302600_NS6detail10any_assignEEEZNS1_14transform_implILb0ES3_S9_NS7_15normal_iteratorINS6_10device_ptrIsEEEENS6_16discard_iteratorINS6_11use_defaultEEEZNS1_13binary_searchIS3_S9_SE_SE_SH_NS1_16binary_search_opENS7_16wrapped_functionINS0_4lessIvEEbEEEE10hipError_tPvRmT1_T2_T3_mmT4_T5_P12ihipStream_tbEUlRKsE_EESO_SS_ST_mSU_SX_bEUlT_E_NS1_11comp_targetILNS1_3genE2ELNS1_11target_archE906ELNS1_3gpuE6ELNS1_3repE0EEENS1_30default_config_static_selectorELNS0_4arch9wavefront6targetE0EEEvSR_
    .private_segment_fixed_size: 0
    .sgpr_count:     0
    .sgpr_spill_count: 0
    .symbol:         _ZN7rocprim17ROCPRIM_400000_NS6detail17trampoline_kernelINS0_14default_configENS1_29binary_search_config_selectorIsN6thrust23THRUST_200600_302600_NS6detail10any_assignEEEZNS1_14transform_implILb0ES3_S9_NS7_15normal_iteratorINS6_10device_ptrIsEEEENS6_16discard_iteratorINS6_11use_defaultEEEZNS1_13binary_searchIS3_S9_SE_SE_SH_NS1_16binary_search_opENS7_16wrapped_functionINS0_4lessIvEEbEEEE10hipError_tPvRmT1_T2_T3_mmT4_T5_P12ihipStream_tbEUlRKsE_EESO_SS_ST_mSU_SX_bEUlT_E_NS1_11comp_targetILNS1_3genE2ELNS1_11target_archE906ELNS1_3gpuE6ELNS1_3repE0EEENS1_30default_config_static_selectorELNS0_4arch9wavefront6targetE0EEEvSR_.kd
    .uniform_work_group_size: 1
    .uses_dynamic_stack: false
    .vgpr_count:     0
    .vgpr_spill_count: 0
    .wavefront_size: 32
    .workgroup_processor_mode: 1
  - .args:
      - .offset:         0
        .size:           64
        .value_kind:     by_value
    .group_segment_fixed_size: 0
    .kernarg_segment_align: 8
    .kernarg_segment_size: 64
    .language:       OpenCL C
    .language_version:
      - 2
      - 0
    .max_flat_workgroup_size: 256
    .name:           _ZN7rocprim17ROCPRIM_400000_NS6detail17trampoline_kernelINS0_14default_configENS1_29binary_search_config_selectorIsN6thrust23THRUST_200600_302600_NS6detail10any_assignEEEZNS1_14transform_implILb0ES3_S9_NS7_15normal_iteratorINS6_10device_ptrIsEEEENS6_16discard_iteratorINS6_11use_defaultEEEZNS1_13binary_searchIS3_S9_SE_SE_SH_NS1_16binary_search_opENS7_16wrapped_functionINS0_4lessIvEEbEEEE10hipError_tPvRmT1_T2_T3_mmT4_T5_P12ihipStream_tbEUlRKsE_EESO_SS_ST_mSU_SX_bEUlT_E_NS1_11comp_targetILNS1_3genE10ELNS1_11target_archE1201ELNS1_3gpuE5ELNS1_3repE0EEENS1_30default_config_static_selectorELNS0_4arch9wavefront6targetE0EEEvSR_
    .private_segment_fixed_size: 0
    .sgpr_count:     0
    .sgpr_spill_count: 0
    .symbol:         _ZN7rocprim17ROCPRIM_400000_NS6detail17trampoline_kernelINS0_14default_configENS1_29binary_search_config_selectorIsN6thrust23THRUST_200600_302600_NS6detail10any_assignEEEZNS1_14transform_implILb0ES3_S9_NS7_15normal_iteratorINS6_10device_ptrIsEEEENS6_16discard_iteratorINS6_11use_defaultEEEZNS1_13binary_searchIS3_S9_SE_SE_SH_NS1_16binary_search_opENS7_16wrapped_functionINS0_4lessIvEEbEEEE10hipError_tPvRmT1_T2_T3_mmT4_T5_P12ihipStream_tbEUlRKsE_EESO_SS_ST_mSU_SX_bEUlT_E_NS1_11comp_targetILNS1_3genE10ELNS1_11target_archE1201ELNS1_3gpuE5ELNS1_3repE0EEENS1_30default_config_static_selectorELNS0_4arch9wavefront6targetE0EEEvSR_.kd
    .uniform_work_group_size: 1
    .uses_dynamic_stack: false
    .vgpr_count:     0
    .vgpr_spill_count: 0
    .wavefront_size: 32
    .workgroup_processor_mode: 1
  - .args:
      - .offset:         0
        .size:           64
        .value_kind:     by_value
    .group_segment_fixed_size: 0
    .kernarg_segment_align: 8
    .kernarg_segment_size: 64
    .language:       OpenCL C
    .language_version:
      - 2
      - 0
    .max_flat_workgroup_size: 256
    .name:           _ZN7rocprim17ROCPRIM_400000_NS6detail17trampoline_kernelINS0_14default_configENS1_29binary_search_config_selectorIsN6thrust23THRUST_200600_302600_NS6detail10any_assignEEEZNS1_14transform_implILb0ES3_S9_NS7_15normal_iteratorINS6_10device_ptrIsEEEENS6_16discard_iteratorINS6_11use_defaultEEEZNS1_13binary_searchIS3_S9_SE_SE_SH_NS1_16binary_search_opENS7_16wrapped_functionINS0_4lessIvEEbEEEE10hipError_tPvRmT1_T2_T3_mmT4_T5_P12ihipStream_tbEUlRKsE_EESO_SS_ST_mSU_SX_bEUlT_E_NS1_11comp_targetILNS1_3genE10ELNS1_11target_archE1200ELNS1_3gpuE4ELNS1_3repE0EEENS1_30default_config_static_selectorELNS0_4arch9wavefront6targetE0EEEvSR_
    .private_segment_fixed_size: 0
    .sgpr_count:     0
    .sgpr_spill_count: 0
    .symbol:         _ZN7rocprim17ROCPRIM_400000_NS6detail17trampoline_kernelINS0_14default_configENS1_29binary_search_config_selectorIsN6thrust23THRUST_200600_302600_NS6detail10any_assignEEEZNS1_14transform_implILb0ES3_S9_NS7_15normal_iteratorINS6_10device_ptrIsEEEENS6_16discard_iteratorINS6_11use_defaultEEEZNS1_13binary_searchIS3_S9_SE_SE_SH_NS1_16binary_search_opENS7_16wrapped_functionINS0_4lessIvEEbEEEE10hipError_tPvRmT1_T2_T3_mmT4_T5_P12ihipStream_tbEUlRKsE_EESO_SS_ST_mSU_SX_bEUlT_E_NS1_11comp_targetILNS1_3genE10ELNS1_11target_archE1200ELNS1_3gpuE4ELNS1_3repE0EEENS1_30default_config_static_selectorELNS0_4arch9wavefront6targetE0EEEvSR_.kd
    .uniform_work_group_size: 1
    .uses_dynamic_stack: false
    .vgpr_count:     0
    .vgpr_spill_count: 0
    .wavefront_size: 32
    .workgroup_processor_mode: 1
  - .args:
      - .offset:         0
        .size:           64
        .value_kind:     by_value
    .group_segment_fixed_size: 0
    .kernarg_segment_align: 8
    .kernarg_segment_size: 64
    .language:       OpenCL C
    .language_version:
      - 2
      - 0
    .max_flat_workgroup_size: 64
    .name:           _ZN7rocprim17ROCPRIM_400000_NS6detail17trampoline_kernelINS0_14default_configENS1_29binary_search_config_selectorIsN6thrust23THRUST_200600_302600_NS6detail10any_assignEEEZNS1_14transform_implILb0ES3_S9_NS7_15normal_iteratorINS6_10device_ptrIsEEEENS6_16discard_iteratorINS6_11use_defaultEEEZNS1_13binary_searchIS3_S9_SE_SE_SH_NS1_16binary_search_opENS7_16wrapped_functionINS0_4lessIvEEbEEEE10hipError_tPvRmT1_T2_T3_mmT4_T5_P12ihipStream_tbEUlRKsE_EESO_SS_ST_mSU_SX_bEUlT_E_NS1_11comp_targetILNS1_3genE9ELNS1_11target_archE1100ELNS1_3gpuE3ELNS1_3repE0EEENS1_30default_config_static_selectorELNS0_4arch9wavefront6targetE0EEEvSR_
    .private_segment_fixed_size: 0
    .sgpr_count:     0
    .sgpr_spill_count: 0
    .symbol:         _ZN7rocprim17ROCPRIM_400000_NS6detail17trampoline_kernelINS0_14default_configENS1_29binary_search_config_selectorIsN6thrust23THRUST_200600_302600_NS6detail10any_assignEEEZNS1_14transform_implILb0ES3_S9_NS7_15normal_iteratorINS6_10device_ptrIsEEEENS6_16discard_iteratorINS6_11use_defaultEEEZNS1_13binary_searchIS3_S9_SE_SE_SH_NS1_16binary_search_opENS7_16wrapped_functionINS0_4lessIvEEbEEEE10hipError_tPvRmT1_T2_T3_mmT4_T5_P12ihipStream_tbEUlRKsE_EESO_SS_ST_mSU_SX_bEUlT_E_NS1_11comp_targetILNS1_3genE9ELNS1_11target_archE1100ELNS1_3gpuE3ELNS1_3repE0EEENS1_30default_config_static_selectorELNS0_4arch9wavefront6targetE0EEEvSR_.kd
    .uniform_work_group_size: 1
    .uses_dynamic_stack: false
    .vgpr_count:     0
    .vgpr_spill_count: 0
    .wavefront_size: 32
    .workgroup_processor_mode: 1
  - .args:
      - .offset:         0
        .size:           64
        .value_kind:     by_value
    .group_segment_fixed_size: 0
    .kernarg_segment_align: 8
    .kernarg_segment_size: 64
    .language:       OpenCL C
    .language_version:
      - 2
      - 0
    .max_flat_workgroup_size: 128
    .name:           _ZN7rocprim17ROCPRIM_400000_NS6detail17trampoline_kernelINS0_14default_configENS1_29binary_search_config_selectorIsN6thrust23THRUST_200600_302600_NS6detail10any_assignEEEZNS1_14transform_implILb0ES3_S9_NS7_15normal_iteratorINS6_10device_ptrIsEEEENS6_16discard_iteratorINS6_11use_defaultEEEZNS1_13binary_searchIS3_S9_SE_SE_SH_NS1_16binary_search_opENS7_16wrapped_functionINS0_4lessIvEEbEEEE10hipError_tPvRmT1_T2_T3_mmT4_T5_P12ihipStream_tbEUlRKsE_EESO_SS_ST_mSU_SX_bEUlT_E_NS1_11comp_targetILNS1_3genE8ELNS1_11target_archE1030ELNS1_3gpuE2ELNS1_3repE0EEENS1_30default_config_static_selectorELNS0_4arch9wavefront6targetE0EEEvSR_
    .private_segment_fixed_size: 0
    .sgpr_count:     0
    .sgpr_spill_count: 0
    .symbol:         _ZN7rocprim17ROCPRIM_400000_NS6detail17trampoline_kernelINS0_14default_configENS1_29binary_search_config_selectorIsN6thrust23THRUST_200600_302600_NS6detail10any_assignEEEZNS1_14transform_implILb0ES3_S9_NS7_15normal_iteratorINS6_10device_ptrIsEEEENS6_16discard_iteratorINS6_11use_defaultEEEZNS1_13binary_searchIS3_S9_SE_SE_SH_NS1_16binary_search_opENS7_16wrapped_functionINS0_4lessIvEEbEEEE10hipError_tPvRmT1_T2_T3_mmT4_T5_P12ihipStream_tbEUlRKsE_EESO_SS_ST_mSU_SX_bEUlT_E_NS1_11comp_targetILNS1_3genE8ELNS1_11target_archE1030ELNS1_3gpuE2ELNS1_3repE0EEENS1_30default_config_static_selectorELNS0_4arch9wavefront6targetE0EEEvSR_.kd
    .uniform_work_group_size: 1
    .uses_dynamic_stack: false
    .vgpr_count:     0
    .vgpr_spill_count: 0
    .wavefront_size: 32
    .workgroup_processor_mode: 1
amdhsa.target:   amdgcn-amd-amdhsa--gfx1100
amdhsa.version:
  - 1
  - 2
...

	.end_amdgpu_metadata
